;; amdgpu-corpus repo=ROCm/rocSPARSE kind=compiled arch=gfx90a opt=O3
	.text
	.amdgcn_target "amdgcn-amd-amdhsa--gfx90a"
	.amdhsa_code_object_version 6
	.section	.text._ZN9rocsparseL25csrgemm_max_row_nnz_part1ILj256EiiEEvT1_PKT0_PS1_,"axG",@progbits,_ZN9rocsparseL25csrgemm_max_row_nnz_part1ILj256EiiEEvT1_PKT0_PS1_,comdat
	.globl	_ZN9rocsparseL25csrgemm_max_row_nnz_part1ILj256EiiEEvT1_PKT0_PS1_ ; -- Begin function _ZN9rocsparseL25csrgemm_max_row_nnz_part1ILj256EiiEEvT1_PKT0_PS1_
	.p2align	8
	.type	_ZN9rocsparseL25csrgemm_max_row_nnz_part1ILj256EiiEEvT1_PKT0_PS1_,@function
_ZN9rocsparseL25csrgemm_max_row_nnz_part1ILj256EiiEEvT1_PKT0_PS1_: ; @_ZN9rocsparseL25csrgemm_max_row_nnz_part1ILj256EiiEEvT1_PKT0_PS1_
; %bb.0:
	s_load_dword s7, s[4:5], 0x0
	s_load_dwordx2 s[0:1], s[4:5], 0x10
	v_lshl_or_b32 v2, s6, 8, v0
	v_mov_b32_e32 v4, 0
	s_waitcnt lgkmcnt(0)
	v_cmp_gt_i32_e32 vcc, s7, v2
	s_and_saveexec_b64 s[2:3], vcc
	s_cbranch_execz .LBB0_4
; %bb.1:
	s_load_dword s10, s[4:5], 0x18
	s_load_dwordx2 s[8:9], s[4:5], 0x8
	s_mov_b64 s[4:5], 0
	v_mov_b32_e32 v4, 0
	s_waitcnt lgkmcnt(0)
	s_lshl_b32 s10, s10, 8
	v_mov_b32_e32 v1, s9
.LBB0_2:                                ; =>This Inner Loop Header: Depth=1
	v_ashrrev_i32_e32 v3, 31, v2
	v_lshlrev_b64 v[6:7], 2, v[2:3]
	v_add_co_u32_e32 v6, vcc, s8, v6
	v_addc_co_u32_e32 v7, vcc, v1, v7, vcc
	global_load_dwordx2 v[6:7], v[6:7], off
	v_add_u32_e32 v2, s10, v2
	v_cmp_le_i32_e32 vcc, s7, v2
	s_or_b64 s[4:5], vcc, s[4:5]
	s_waitcnt vmcnt(0)
	v_sub_u32_e32 v3, v7, v6
	v_max_i32_e32 v4, v4, v3
	s_andn2_b64 exec, exec, s[4:5]
	s_cbranch_execnz .LBB0_2
; %bb.3:
	s_or_b64 exec, exec, s[4:5]
.LBB0_4:
	s_or_b64 exec, exec, s[2:3]
	s_movk_i32 s2, 0x80
	v_lshlrev_b32_e32 v1, 2, v0
	v_cmp_gt_u32_e32 vcc, s2, v0
	ds_write_b32 v1, v4
	s_waitcnt lgkmcnt(0)
	s_barrier
	s_and_saveexec_b64 s[2:3], vcc
	s_cbranch_execz .LBB0_6
; %bb.5:
	ds_read2st64_b32 v[2:3], v1 offset1:2
	s_waitcnt lgkmcnt(0)
	v_max_i32_e32 v2, v2, v3
	ds_write_b32 v1, v2
.LBB0_6:
	s_or_b64 exec, exec, s[2:3]
	v_cmp_gt_u32_e32 vcc, 64, v0
	s_waitcnt lgkmcnt(0)
	s_barrier
	s_and_saveexec_b64 s[2:3], vcc
	s_cbranch_execz .LBB0_8
; %bb.7:
	ds_read2st64_b32 v[2:3], v1 offset1:1
	s_waitcnt lgkmcnt(0)
	v_max_i32_e32 v2, v2, v3
	ds_write_b32 v1, v2
.LBB0_8:
	s_or_b64 exec, exec, s[2:3]
	v_cmp_gt_u32_e32 vcc, 32, v0
	s_waitcnt lgkmcnt(0)
	s_barrier
	s_and_saveexec_b64 s[2:3], vcc
	s_cbranch_execz .LBB0_10
; %bb.9:
	ds_read2_b32 v[2:3], v1 offset1:32
	s_waitcnt lgkmcnt(0)
	v_max_i32_e32 v2, v2, v3
	ds_write_b32 v1, v2
.LBB0_10:
	s_or_b64 exec, exec, s[2:3]
	v_cmp_gt_u32_e32 vcc, 16, v0
	s_waitcnt lgkmcnt(0)
	s_barrier
	s_and_saveexec_b64 s[2:3], vcc
	s_cbranch_execz .LBB0_12
; %bb.11:
	ds_read2_b32 v[2:3], v1 offset1:16
	s_waitcnt lgkmcnt(0)
	v_max_i32_e32 v2, v2, v3
	ds_write_b32 v1, v2
.LBB0_12:
	;; [unrolled: 12-line block ×5, first 2 shown]
	s_or_b64 exec, exec, s[2:3]
	v_cmp_eq_u32_e32 vcc, 0, v0
	s_waitcnt lgkmcnt(0)
	s_barrier
	s_and_saveexec_b64 s[2:3], vcc
	s_cbranch_execz .LBB0_20
; %bb.19:
	v_mov_b32_e32 v2, 0
	ds_read_b64 v[0:1], v2
	s_waitcnt lgkmcnt(0)
	v_max_i32_e32 v0, v0, v1
	ds_write_b32 v2, v0
.LBB0_20:
	s_or_b64 exec, exec, s[2:3]
	s_waitcnt lgkmcnt(0)
	s_barrier
	s_and_saveexec_b64 s[2:3], vcc
	s_cbranch_execz .LBB0_22
; %bb.21:
	v_mov_b32_e32 v0, 0
	ds_read_b32 v1, v0
	s_mov_b32 s7, 0
	s_lshl_b64 s[2:3], s[6:7], 2
	s_add_u32 s0, s0, s2
	s_addc_u32 s1, s1, s3
	s_waitcnt lgkmcnt(0)
	global_store_dword v0, v1, s[0:1]
.LBB0_22:
	s_endpgm
	.section	.rodata,"a",@progbits
	.p2align	6, 0x0
	.amdhsa_kernel _ZN9rocsparseL25csrgemm_max_row_nnz_part1ILj256EiiEEvT1_PKT0_PS1_
		.amdhsa_group_segment_fixed_size 1024
		.amdhsa_private_segment_fixed_size 0
		.amdhsa_kernarg_size 280
		.amdhsa_user_sgpr_count 6
		.amdhsa_user_sgpr_private_segment_buffer 1
		.amdhsa_user_sgpr_dispatch_ptr 0
		.amdhsa_user_sgpr_queue_ptr 0
		.amdhsa_user_sgpr_kernarg_segment_ptr 1
		.amdhsa_user_sgpr_dispatch_id 0
		.amdhsa_user_sgpr_flat_scratch_init 0
		.amdhsa_user_sgpr_kernarg_preload_length 0
		.amdhsa_user_sgpr_kernarg_preload_offset 0
		.amdhsa_user_sgpr_private_segment_size 0
		.amdhsa_uses_dynamic_stack 0
		.amdhsa_system_sgpr_private_segment_wavefront_offset 0
		.amdhsa_system_sgpr_workgroup_id_x 1
		.amdhsa_system_sgpr_workgroup_id_y 0
		.amdhsa_system_sgpr_workgroup_id_z 0
		.amdhsa_system_sgpr_workgroup_info 0
		.amdhsa_system_vgpr_workitem_id 0
		.amdhsa_next_free_vgpr 8
		.amdhsa_next_free_sgpr 11
		.amdhsa_accum_offset 8
		.amdhsa_reserve_vcc 1
		.amdhsa_reserve_flat_scratch 0
		.amdhsa_float_round_mode_32 0
		.amdhsa_float_round_mode_16_64 0
		.amdhsa_float_denorm_mode_32 3
		.amdhsa_float_denorm_mode_16_64 3
		.amdhsa_dx10_clamp 1
		.amdhsa_ieee_mode 1
		.amdhsa_fp16_overflow 0
		.amdhsa_tg_split 0
		.amdhsa_exception_fp_ieee_invalid_op 0
		.amdhsa_exception_fp_denorm_src 0
		.amdhsa_exception_fp_ieee_div_zero 0
		.amdhsa_exception_fp_ieee_overflow 0
		.amdhsa_exception_fp_ieee_underflow 0
		.amdhsa_exception_fp_ieee_inexact 0
		.amdhsa_exception_int_div_zero 0
	.end_amdhsa_kernel
	.section	.text._ZN9rocsparseL25csrgemm_max_row_nnz_part1ILj256EiiEEvT1_PKT0_PS1_,"axG",@progbits,_ZN9rocsparseL25csrgemm_max_row_nnz_part1ILj256EiiEEvT1_PKT0_PS1_,comdat
.Lfunc_end0:
	.size	_ZN9rocsparseL25csrgemm_max_row_nnz_part1ILj256EiiEEvT1_PKT0_PS1_, .Lfunc_end0-_ZN9rocsparseL25csrgemm_max_row_nnz_part1ILj256EiiEEvT1_PKT0_PS1_
                                        ; -- End function
	.section	.AMDGPU.csdata,"",@progbits
; Kernel info:
; codeLenInByte = 612
; NumSgprs: 15
; NumVgprs: 8
; NumAgprs: 0
; TotalNumVgprs: 8
; ScratchSize: 0
; MemoryBound: 0
; FloatMode: 240
; IeeeMode: 1
; LDSByteSize: 1024 bytes/workgroup (compile time only)
; SGPRBlocks: 1
; VGPRBlocks: 0
; NumSGPRsForWavesPerEU: 15
; NumVGPRsForWavesPerEU: 8
; AccumOffset: 8
; Occupancy: 8
; WaveLimiterHint : 0
; COMPUTE_PGM_RSRC2:SCRATCH_EN: 0
; COMPUTE_PGM_RSRC2:USER_SGPR: 6
; COMPUTE_PGM_RSRC2:TRAP_HANDLER: 0
; COMPUTE_PGM_RSRC2:TGID_X_EN: 1
; COMPUTE_PGM_RSRC2:TGID_Y_EN: 0
; COMPUTE_PGM_RSRC2:TGID_Z_EN: 0
; COMPUTE_PGM_RSRC2:TIDIG_COMP_CNT: 0
; COMPUTE_PGM_RSRC3_GFX90A:ACCUM_OFFSET: 1
; COMPUTE_PGM_RSRC3_GFX90A:TG_SPLIT: 0
	.section	.text._ZN9rocsparseL25csrgemm_max_row_nnz_part2ILj256EiEEvPT0_,"axG",@progbits,_ZN9rocsparseL25csrgemm_max_row_nnz_part2ILj256EiEEvPT0_,comdat
	.globl	_ZN9rocsparseL25csrgemm_max_row_nnz_part2ILj256EiEEvPT0_ ; -- Begin function _ZN9rocsparseL25csrgemm_max_row_nnz_part2ILj256EiEEvPT0_
	.p2align	8
	.type	_ZN9rocsparseL25csrgemm_max_row_nnz_part2ILj256EiEEvPT0_,@function
_ZN9rocsparseL25csrgemm_max_row_nnz_part2ILj256EiEEvPT0_: ; @_ZN9rocsparseL25csrgemm_max_row_nnz_part2ILj256EiEEvPT0_
; %bb.0:
	s_load_dwordx2 s[0:1], s[4:5], 0x0
	v_lshlrev_b32_e32 v1, 2, v0
	s_movk_i32 s2, 0x80
	v_cmp_gt_u32_e32 vcc, s2, v0
	s_waitcnt lgkmcnt(0)
	global_load_dword v2, v1, s[0:1]
	s_waitcnt vmcnt(0)
	ds_write_b32 v1, v2
	s_waitcnt lgkmcnt(0)
	s_barrier
	s_and_saveexec_b64 s[2:3], vcc
	s_cbranch_execz .LBB1_2
; %bb.1:
	ds_read2st64_b32 v[2:3], v1 offset1:2
	s_waitcnt lgkmcnt(0)
	v_max_i32_e32 v2, v2, v3
	ds_write_b32 v1, v2
.LBB1_2:
	s_or_b64 exec, exec, s[2:3]
	v_cmp_gt_u32_e32 vcc, 64, v0
	s_waitcnt lgkmcnt(0)
	s_barrier
	s_and_saveexec_b64 s[2:3], vcc
	s_cbranch_execz .LBB1_4
; %bb.3:
	ds_read2st64_b32 v[2:3], v1 offset1:1
	s_waitcnt lgkmcnt(0)
	v_max_i32_e32 v2, v2, v3
	ds_write_b32 v1, v2
.LBB1_4:
	s_or_b64 exec, exec, s[2:3]
	v_cmp_gt_u32_e32 vcc, 32, v0
	s_waitcnt lgkmcnt(0)
	s_barrier
	s_and_saveexec_b64 s[2:3], vcc
	s_cbranch_execz .LBB1_6
; %bb.5:
	ds_read2_b32 v[2:3], v1 offset1:32
	s_waitcnt lgkmcnt(0)
	v_max_i32_e32 v2, v2, v3
	ds_write_b32 v1, v2
.LBB1_6:
	s_or_b64 exec, exec, s[2:3]
	v_cmp_gt_u32_e32 vcc, 16, v0
	s_waitcnt lgkmcnt(0)
	s_barrier
	s_and_saveexec_b64 s[2:3], vcc
	s_cbranch_execz .LBB1_8
; %bb.7:
	ds_read2_b32 v[2:3], v1 offset1:16
	s_waitcnt lgkmcnt(0)
	v_max_i32_e32 v2, v2, v3
	ds_write_b32 v1, v2
.LBB1_8:
	s_or_b64 exec, exec, s[2:3]
	v_cmp_gt_u32_e32 vcc, 8, v0
	s_waitcnt lgkmcnt(0)
	s_barrier
	s_and_saveexec_b64 s[2:3], vcc
	s_cbranch_execz .LBB1_10
; %bb.9:
	ds_read2_b32 v[2:3], v1 offset1:8
	s_waitcnt lgkmcnt(0)
	v_max_i32_e32 v2, v2, v3
	ds_write_b32 v1, v2
.LBB1_10:
	s_or_b64 exec, exec, s[2:3]
	v_cmp_gt_u32_e32 vcc, 4, v0
	s_waitcnt lgkmcnt(0)
	s_barrier
	s_and_saveexec_b64 s[2:3], vcc
	s_cbranch_execz .LBB1_12
; %bb.11:
	ds_read2_b32 v[2:3], v1 offset1:4
	s_waitcnt lgkmcnt(0)
	v_max_i32_e32 v2, v2, v3
	ds_write_b32 v1, v2
.LBB1_12:
	s_or_b64 exec, exec, s[2:3]
	v_cmp_gt_u32_e32 vcc, 2, v0
	s_waitcnt lgkmcnt(0)
	s_barrier
	s_and_saveexec_b64 s[2:3], vcc
	s_cbranch_execz .LBB1_14
; %bb.13:
	ds_read2_b32 v[2:3], v1 offset1:2
	s_waitcnt lgkmcnt(0)
	v_max_i32_e32 v2, v2, v3
	ds_write_b32 v1, v2
.LBB1_14:
	s_or_b64 exec, exec, s[2:3]
	v_cmp_eq_u32_e32 vcc, 0, v0
	s_waitcnt lgkmcnt(0)
	s_barrier
	s_and_saveexec_b64 s[2:3], vcc
	s_cbranch_execz .LBB1_16
; %bb.15:
	v_mov_b32_e32 v2, 0
	ds_read_b64 v[0:1], v2
	s_waitcnt lgkmcnt(0)
	v_max_i32_e32 v0, v0, v1
	ds_write_b32 v2, v0
.LBB1_16:
	s_or_b64 exec, exec, s[2:3]
	s_waitcnt lgkmcnt(0)
	s_barrier
	s_and_saveexec_b64 s[2:3], vcc
	s_cbranch_execz .LBB1_18
; %bb.17:
	v_mov_b32_e32 v0, 0
	ds_read_b32 v1, v0
	s_waitcnt lgkmcnt(0)
	global_store_dword v0, v1, s[0:1]
.LBB1_18:
	s_endpgm
	.section	.rodata,"a",@progbits
	.p2align	6, 0x0
	.amdhsa_kernel _ZN9rocsparseL25csrgemm_max_row_nnz_part2ILj256EiEEvPT0_
		.amdhsa_group_segment_fixed_size 1024
		.amdhsa_private_segment_fixed_size 0
		.amdhsa_kernarg_size 8
		.amdhsa_user_sgpr_count 6
		.amdhsa_user_sgpr_private_segment_buffer 1
		.amdhsa_user_sgpr_dispatch_ptr 0
		.amdhsa_user_sgpr_queue_ptr 0
		.amdhsa_user_sgpr_kernarg_segment_ptr 1
		.amdhsa_user_sgpr_dispatch_id 0
		.amdhsa_user_sgpr_flat_scratch_init 0
		.amdhsa_user_sgpr_kernarg_preload_length 0
		.amdhsa_user_sgpr_kernarg_preload_offset 0
		.amdhsa_user_sgpr_private_segment_size 0
		.amdhsa_uses_dynamic_stack 0
		.amdhsa_system_sgpr_private_segment_wavefront_offset 0
		.amdhsa_system_sgpr_workgroup_id_x 1
		.amdhsa_system_sgpr_workgroup_id_y 0
		.amdhsa_system_sgpr_workgroup_id_z 0
		.amdhsa_system_sgpr_workgroup_info 0
		.amdhsa_system_vgpr_workitem_id 0
		.amdhsa_next_free_vgpr 4
		.amdhsa_next_free_sgpr 6
		.amdhsa_accum_offset 4
		.amdhsa_reserve_vcc 1
		.amdhsa_reserve_flat_scratch 0
		.amdhsa_float_round_mode_32 0
		.amdhsa_float_round_mode_16_64 0
		.amdhsa_float_denorm_mode_32 3
		.amdhsa_float_denorm_mode_16_64 3
		.amdhsa_dx10_clamp 1
		.amdhsa_ieee_mode 1
		.amdhsa_fp16_overflow 0
		.amdhsa_tg_split 0
		.amdhsa_exception_fp_ieee_invalid_op 0
		.amdhsa_exception_fp_denorm_src 0
		.amdhsa_exception_fp_ieee_div_zero 0
		.amdhsa_exception_fp_ieee_overflow 0
		.amdhsa_exception_fp_ieee_underflow 0
		.amdhsa_exception_fp_ieee_inexact 0
		.amdhsa_exception_int_div_zero 0
	.end_amdhsa_kernel
	.section	.text._ZN9rocsparseL25csrgemm_max_row_nnz_part2ILj256EiEEvPT0_,"axG",@progbits,_ZN9rocsparseL25csrgemm_max_row_nnz_part2ILj256EiEEvPT0_,comdat
.Lfunc_end1:
	.size	_ZN9rocsparseL25csrgemm_max_row_nnz_part2ILj256EiEEvPT0_, .Lfunc_end1-_ZN9rocsparseL25csrgemm_max_row_nnz_part2ILj256EiEEvPT0_
                                        ; -- End function
	.section	.AMDGPU.csdata,"",@progbits
; Kernel info:
; codeLenInByte = 472
; NumSgprs: 10
; NumVgprs: 4
; NumAgprs: 0
; TotalNumVgprs: 4
; ScratchSize: 0
; MemoryBound: 0
; FloatMode: 240
; IeeeMode: 1
; LDSByteSize: 1024 bytes/workgroup (compile time only)
; SGPRBlocks: 1
; VGPRBlocks: 0
; NumSGPRsForWavesPerEU: 10
; NumVGPRsForWavesPerEU: 4
; AccumOffset: 4
; Occupancy: 8
; WaveLimiterHint : 0
; COMPUTE_PGM_RSRC2:SCRATCH_EN: 0
; COMPUTE_PGM_RSRC2:USER_SGPR: 6
; COMPUTE_PGM_RSRC2:TRAP_HANDLER: 0
; COMPUTE_PGM_RSRC2:TGID_X_EN: 1
; COMPUTE_PGM_RSRC2:TGID_Y_EN: 0
; COMPUTE_PGM_RSRC2:TGID_Z_EN: 0
; COMPUTE_PGM_RSRC2:TIDIG_COMP_CNT: 0
; COMPUTE_PGM_RSRC3_GFX90A:ACCUM_OFFSET: 0
; COMPUTE_PGM_RSRC3_GFX90A:TG_SPLIT: 0
	.section	.text._ZN9rocsparseL26csrgemm_group_reduce_part2ILj256ELj11EfiiEEvT3_PKT2_PS1_Pij,"axG",@progbits,_ZN9rocsparseL26csrgemm_group_reduce_part2ILj256ELj11EfiiEEvT3_PKT2_PS1_Pij,comdat
	.globl	_ZN9rocsparseL26csrgemm_group_reduce_part2ILj256ELj11EfiiEEvT3_PKT2_PS1_Pij ; -- Begin function _ZN9rocsparseL26csrgemm_group_reduce_part2ILj256ELj11EfiiEEvT3_PKT2_PS1_Pij
	.p2align	8
	.type	_ZN9rocsparseL26csrgemm_group_reduce_part2ILj256ELj11EfiiEEvT3_PKT2_PS1_Pij,@function
_ZN9rocsparseL26csrgemm_group_reduce_part2ILj256ELj11EfiiEEvT3_PKT2_PS1_Pij: ; @_ZN9rocsparseL26csrgemm_group_reduce_part2ILj256ELj11EfiiEEvT3_PKT2_PS1_Pij
; %bb.0:
	s_load_dword s7, s[4:5], 0x0
	s_load_dwordx2 s[0:1], s[4:5], 0x10
	v_mul_u32_u24_e32 v1, 11, v0
	v_lshl_or_b32 v2, s6, 8, v0
	v_lshlrev_b32_e32 v1, 2, v1
	v_mov_b32_e32 v6, 0
	s_waitcnt lgkmcnt(0)
	v_cmp_gt_i32_e32 vcc, s7, v2
	ds_write2_b32 v1, v6, v6 offset1:1
	ds_write2_b32 v1, v6, v6 offset0:2 offset1:3
	ds_write2_b32 v1, v6, v6 offset0:4 offset1:5
	;; [unrolled: 1-line block ×4, first 2 shown]
	ds_write_b32 v1, v6 offset:40
	s_waitcnt lgkmcnt(0)
	s_and_saveexec_b64 s[2:3], vcc
	s_cbranch_execz .LBB2_43
; %bb.1:
	s_load_dword s18, s[4:5], 0x20
	s_load_dwordx2 s[8:9], s[4:5], 0x8
	s_load_dwordx2 s[10:11], s[4:5], 0x18
	s_load_dword s20, s[4:5], 0x28
	s_mov_b64 s[4:5], 0
	s_waitcnt lgkmcnt(0)
	s_cmpk_lt_u32 s18, 0x8084
	s_cselect_b64 s[12:13], -1, 0
	s_cmp_lt_u32 s18, 0x10084
	s_cselect_b64 s[14:15], -1, 0
	s_cmp_lt_u32 s18, 0x20084
	s_cselect_b64 s[16:17], -1, 0
	s_cmp_lt_u32 s18, 0x40084
	s_cselect_b64 s[18:19], -1, 0
	s_lshl_b32 s33, s20, 8
	v_mov_b32_e32 v7, s9
	s_movk_i32 s9, 0x100
	s_movk_i32 s42, 0x200
	s_movk_i32 s43, 0x400
	s_movk_i32 s44, 0x800
	s_movk_i32 s45, 0x1001
	s_xor_b64 s[12:13], s[12:13], -1
	v_mov_b32_e32 v8, 6
	s_movk_i32 s46, 0x2001
	s_xor_b64 s[14:15], s[14:15], -1
	v_mov_b32_e32 v9, 7
	s_movk_i32 s47, 0x4001
	s_xor_b64 s[16:17], s[16:17], -1
	v_mov_b32_e32 v10, 8
	s_mov_b32 s48, 0x8001
	s_xor_b64 s[18:19], s[18:19], -1
	v_mov_b32_e32 v11, 9
	v_mov_b32_e32 v12, 10
	;; [unrolled: 1-line block ×7, first 2 shown]
	s_branch .LBB2_3
.LBB2_2:                                ;   in Loop: Header=BB2_3 Depth=1
	s_or_b64 exec, exec, s[20:21]
	v_add_u32_e32 v2, s33, v2
	v_cmp_le_i32_e32 vcc, s7, v2
	s_or_b64 s[4:5], vcc, s[4:5]
	s_andn2_b64 exec, exec, s[4:5]
	s_cbranch_execz .LBB2_43
.LBB2_3:                                ; =>This Inner Loop Header: Depth=1
	v_ashrrev_i32_e32 v3, 31, v2
	v_lshlrev_b64 v[4:5], 2, v[2:3]
	v_add_co_u32_e32 v18, vcc, s8, v4
	v_addc_co_u32_e32 v19, vcc, v7, v5, vcc
	global_load_dwordx2 v[18:19], v[18:19], off
	s_waitcnt vmcnt(0)
	v_sub_u32_e32 v3, v19, v18
	v_cmp_lt_i32_e32 vcc, 16, v3
	s_and_saveexec_b64 s[20:21], vcc
	s_xor_b64 s[20:21], exec, s[20:21]
	s_cbranch_execz .LBB2_41
; %bb.4:                                ;   in Loop: Header=BB2_3 Depth=1
	v_cmp_lt_u32_e32 vcc, 32, v3
	s_and_saveexec_b64 s[22:23], vcc
	s_xor_b64 s[22:23], exec, s[22:23]
	s_cbranch_execz .LBB2_38
; %bb.5:                                ;   in Loop: Header=BB2_3 Depth=1
	v_cmp_lt_u32_e32 vcc, s9, v3
	;; [unrolled: 5-line block ×5, first 2 shown]
	s_and_saveexec_b64 s[30:31], vcc
	s_xor_b64 s[30:31], exec, s[30:31]
	s_cbranch_execz .LBB2_26
; %bb.9:                                ;   in Loop: Header=BB2_3 Depth=1
	v_cmp_gt_u32_e32 vcc, s45, v3
	s_and_b64 s[34:35], s[12:13], vcc
	s_and_saveexec_b64 s[36:37], s[34:35]
	s_xor_b64 s[34:35], exec, s[36:37]
	s_cbranch_execz .LBB2_11
; %bb.10:                               ;   in Loop: Header=BB2_3 Depth=1
	ds_read_b32 v3, v1 offset:24
	v_mov_b32_e32 v18, s11
	v_add_co_u32_e32 v4, vcc, s10, v4
	v_addc_co_u32_e32 v5, vcc, v18, v5, vcc
	s_waitcnt lgkmcnt(0)
	v_add_u32_e32 v3, 1, v3
	ds_write_b32 v1, v3 offset:24
	global_store_dword v[4:5], v8, off
                                        ; implicit-def: $vgpr3
                                        ; implicit-def: $vgpr4_vgpr5
.LBB2_11:                               ;   in Loop: Header=BB2_3 Depth=1
	s_andn2_saveexec_b64 s[34:35], s[34:35]
	s_cbranch_execz .LBB2_25
; %bb.12:                               ;   in Loop: Header=BB2_3 Depth=1
	v_cmp_gt_u32_e32 vcc, s46, v3
	s_and_b64 s[36:37], s[14:15], vcc
	s_and_saveexec_b64 s[38:39], s[36:37]
	s_xor_b64 s[36:37], exec, s[38:39]
	s_cbranch_execz .LBB2_14
; %bb.13:                               ;   in Loop: Header=BB2_3 Depth=1
	ds_read_b32 v3, v1 offset:28
	v_mov_b32_e32 v18, s11
	v_add_co_u32_e32 v4, vcc, s10, v4
	v_addc_co_u32_e32 v5, vcc, v18, v5, vcc
	s_waitcnt lgkmcnt(0)
	v_add_u32_e32 v3, 1, v3
	ds_write_b32 v1, v3 offset:28
	global_store_dword v[4:5], v9, off
                                        ; implicit-def: $vgpr3
                                        ; implicit-def: $vgpr4_vgpr5
.LBB2_14:                               ;   in Loop: Header=BB2_3 Depth=1
	s_andn2_saveexec_b64 s[36:37], s[36:37]
	s_cbranch_execz .LBB2_24
; %bb.15:                               ;   in Loop: Header=BB2_3 Depth=1
	;; [unrolled: 20-line block ×3, first 2 shown]
	v_cmp_gt_u32_e32 vcc, s48, v3
	s_and_b64 s[40:41], s[18:19], vcc
	v_mov_b32_e32 v3, s11
	v_add_co_u32_e32 v4, vcc, s10, v4
	v_addc_co_u32_e32 v5, vcc, v3, v5, vcc
	s_and_saveexec_b64 s[50:51], s[40:41]
	s_xor_b64 s[40:41], exec, s[50:51]
	s_cbranch_execz .LBB2_20
; %bb.19:                               ;   in Loop: Header=BB2_3 Depth=1
	ds_read_b32 v3, v1 offset:36
	global_store_dword v[4:5], v11, off
                                        ; implicit-def: $vgpr4_vgpr5
	s_waitcnt lgkmcnt(0)
	v_add_u32_e32 v3, 1, v3
	ds_write_b32 v1, v3 offset:36
.LBB2_20:                               ;   in Loop: Header=BB2_3 Depth=1
	s_andn2_saveexec_b64 s[40:41], s[40:41]
	s_cbranch_execz .LBB2_22
; %bb.21:                               ;   in Loop: Header=BB2_3 Depth=1
	ds_read_b32 v3, v1 offset:40
	global_store_dword v[4:5], v12, off
	s_waitcnt lgkmcnt(0)
	v_add_u32_e32 v3, 1, v3
	ds_write_b32 v1, v3 offset:40
.LBB2_22:                               ;   in Loop: Header=BB2_3 Depth=1
	s_or_b64 exec, exec, s[40:41]
.LBB2_23:                               ;   in Loop: Header=BB2_3 Depth=1
	s_or_b64 exec, exec, s[38:39]
.LBB2_24:                               ;   in Loop: Header=BB2_3 Depth=1
	s_or_b64 exec, exec, s[36:37]
.LBB2_25:                               ;   in Loop: Header=BB2_3 Depth=1
	s_or_b64 exec, exec, s[34:35]
                                        ; implicit-def: $vgpr4_vgpr5
.LBB2_26:                               ;   in Loop: Header=BB2_3 Depth=1
	s_andn2_saveexec_b64 s[30:31], s[30:31]
	s_cbranch_execz .LBB2_28
; %bb.27:                               ;   in Loop: Header=BB2_3 Depth=1
	ds_read_b32 v3, v1 offset:20
	v_mov_b32_e32 v18, s11
	v_add_co_u32_e32 v4, vcc, s10, v4
	v_addc_co_u32_e32 v5, vcc, v18, v5, vcc
	s_waitcnt lgkmcnt(0)
	v_add_u32_e32 v3, 1, v3
	ds_write_b32 v1, v3 offset:20
	global_store_dword v[4:5], v13, off
.LBB2_28:                               ;   in Loop: Header=BB2_3 Depth=1
	s_or_b64 exec, exec, s[30:31]
                                        ; implicit-def: $vgpr4_vgpr5
.LBB2_29:                               ;   in Loop: Header=BB2_3 Depth=1
	s_andn2_saveexec_b64 s[28:29], s[28:29]
	s_cbranch_execz .LBB2_31
; %bb.30:                               ;   in Loop: Header=BB2_3 Depth=1
	ds_read_b32 v3, v1 offset:16
	v_mov_b32_e32 v18, s11
	v_add_co_u32_e32 v4, vcc, s10, v4
	v_addc_co_u32_e32 v5, vcc, v18, v5, vcc
	s_waitcnt lgkmcnt(0)
	v_add_u32_e32 v3, 1, v3
	ds_write_b32 v1, v3 offset:16
	global_store_dword v[4:5], v14, off
.LBB2_31:                               ;   in Loop: Header=BB2_3 Depth=1
	s_or_b64 exec, exec, s[28:29]
                                        ; implicit-def: $vgpr4_vgpr5
.LBB2_32:                               ;   in Loop: Header=BB2_3 Depth=1
	s_andn2_saveexec_b64 s[26:27], s[26:27]
	s_cbranch_execz .LBB2_34
; %bb.33:                               ;   in Loop: Header=BB2_3 Depth=1
	ds_read_b32 v3, v1 offset:12
	v_mov_b32_e32 v18, s11
	v_add_co_u32_e32 v4, vcc, s10, v4
	v_addc_co_u32_e32 v5, vcc, v18, v5, vcc
	s_waitcnt lgkmcnt(0)
	v_add_u32_e32 v3, 1, v3
	ds_write_b32 v1, v3 offset:12
	global_store_dword v[4:5], v15, off
.LBB2_34:                               ;   in Loop: Header=BB2_3 Depth=1
	s_or_b64 exec, exec, s[26:27]
                                        ; implicit-def: $vgpr4_vgpr5
.LBB2_35:                               ;   in Loop: Header=BB2_3 Depth=1
	s_andn2_saveexec_b64 s[24:25], s[24:25]
	s_cbranch_execz .LBB2_37
; %bb.36:                               ;   in Loop: Header=BB2_3 Depth=1
	ds_read_b32 v3, v1 offset:8
	v_mov_b32_e32 v18, s11
	v_add_co_u32_e32 v4, vcc, s10, v4
	v_addc_co_u32_e32 v5, vcc, v18, v5, vcc
	s_waitcnt lgkmcnt(0)
	v_add_u32_e32 v3, 1, v3
	ds_write_b32 v1, v3 offset:8
	global_store_dword v[4:5], v16, off
.LBB2_37:                               ;   in Loop: Header=BB2_3 Depth=1
	s_or_b64 exec, exec, s[24:25]
                                        ; implicit-def: $vgpr4_vgpr5
.LBB2_38:                               ;   in Loop: Header=BB2_3 Depth=1
	s_andn2_saveexec_b64 s[22:23], s[22:23]
	s_cbranch_execz .LBB2_40
; %bb.39:                               ;   in Loop: Header=BB2_3 Depth=1
	ds_read_b32 v3, v1 offset:4
	v_mov_b32_e32 v18, s11
	v_add_co_u32_e32 v4, vcc, s10, v4
	v_addc_co_u32_e32 v5, vcc, v18, v5, vcc
	s_waitcnt lgkmcnt(0)
	v_add_u32_e32 v3, 1, v3
	ds_write_b32 v1, v3 offset:4
	global_store_dword v[4:5], v17, off
.LBB2_40:                               ;   in Loop: Header=BB2_3 Depth=1
	s_or_b64 exec, exec, s[22:23]
                                        ; implicit-def: $vgpr4_vgpr5
.LBB2_41:                               ;   in Loop: Header=BB2_3 Depth=1
	s_andn2_saveexec_b64 s[20:21], s[20:21]
	s_cbranch_execz .LBB2_2
; %bb.42:                               ;   in Loop: Header=BB2_3 Depth=1
	ds_read_b32 v3, v1
	v_mov_b32_e32 v18, s11
	v_add_co_u32_e32 v4, vcc, s10, v4
	v_addc_co_u32_e32 v5, vcc, v18, v5, vcc
	s_waitcnt lgkmcnt(0)
	v_add_u32_e32 v3, 1, v3
	ds_write_b32 v1, v3
	global_store_dword v[4:5], v6, off
	s_branch .LBB2_2
.LBB2_43:
	s_or_b64 exec, exec, s[2:3]
	s_movk_i32 s2, 0x80
	v_cmp_gt_u32_e32 vcc, s2, v0
	s_waitcnt lgkmcnt(0)
	s_barrier
	s_barrier
	;; [unrolled: 1-line block ×3, first 2 shown]
	s_and_saveexec_b64 s[2:3], vcc
	s_cbranch_execz .LBB2_45
; %bb.44:
	v_add_u32_e32 v2, 0x1600, v1
	v_add_u32_e32 v4, 0x1608, v1
	;; [unrolled: 1-line block ×3, first 2 shown]
	ds_read2_b32 v[2:3], v2 offset1:1
	ds_read2_b32 v[4:5], v4 offset1:1
	;; [unrolled: 1-line block ×4, first 2 shown]
	ds_read2_b32 v[10:11], v1 offset0:2 offset1:3
	ds_read2_b32 v[12:13], v1 offset0:4 offset1:5
	;; [unrolled: 1-line block ×4, first 2 shown]
	s_waitcnt lgkmcnt(4)
	v_add_u32_e32 v3, v9, v3
	v_add_u32_e32 v2, v8, v2
	ds_write2_b32 v1, v2, v3 offset1:1
	s_waitcnt lgkmcnt(4)
	v_add_u32_e32 v2, v11, v5
	v_add_u32_e32 v3, v10, v4
	ds_write2_b32 v1, v3, v2 offset0:2 offset1:3
	v_add_u32_e32 v2, 0x1618, v1
	ds_read2_b32 v[2:3], v2 offset1:1
	s_waitcnt lgkmcnt(5)
	v_add_u32_e32 v4, v13, v7
	v_add_u32_e32 v5, v12, v6
	ds_write2_b32 v1, v5, v4 offset0:4 offset1:5
	v_add_u32_e32 v4, 0x1620, v1
	ds_read2_b32 v[4:5], v4 offset1:1
	s_waitcnt lgkmcnt(2)
	v_add_u32_e32 v7, v14, v2
	v_add_u32_e32 v2, 40, v1
	;; [unrolled: 1-line block ×3, first 2 shown]
	ds_read2st64_b32 v[2:3], v2 offset1:22
	s_waitcnt lgkmcnt(1)
	v_add_u32_e32 v5, v17, v5
	v_add_u32_e32 v4, v16, v4
	ds_write2_b32 v1, v7, v6 offset0:6 offset1:7
	ds_write2_b32 v1, v4, v5 offset0:8 offset1:9
	s_waitcnt lgkmcnt(2)
	v_add_u32_e32 v2, v2, v3
	ds_write_b32 v1, v2 offset:40
.LBB2_45:
	s_or_b64 exec, exec, s[2:3]
	v_cmp_gt_u32_e32 vcc, 64, v0
	s_waitcnt lgkmcnt(0)
	s_barrier
	s_and_saveexec_b64 s[2:3], vcc
	s_cbranch_execz .LBB2_47
; %bb.46:
	v_add_u32_e32 v2, 0xb00, v1
	v_add_u32_e32 v4, 0xb08, v1
	;; [unrolled: 1-line block ×3, first 2 shown]
	ds_read2_b32 v[2:3], v2 offset1:1
	ds_read2_b32 v[4:5], v4 offset1:1
	;; [unrolled: 1-line block ×4, first 2 shown]
	ds_read2_b32 v[10:11], v1 offset0:2 offset1:3
	ds_read2_b32 v[12:13], v1 offset0:4 offset1:5
	;; [unrolled: 1-line block ×4, first 2 shown]
	s_waitcnt lgkmcnt(4)
	v_add_u32_e32 v3, v9, v3
	v_add_u32_e32 v2, v8, v2
	ds_write2_b32 v1, v2, v3 offset1:1
	s_waitcnt lgkmcnt(4)
	v_add_u32_e32 v2, v11, v5
	v_add_u32_e32 v3, v10, v4
	ds_write2_b32 v1, v3, v2 offset0:2 offset1:3
	v_add_u32_e32 v2, 0xb18, v1
	ds_read2_b32 v[2:3], v2 offset1:1
	s_waitcnt lgkmcnt(5)
	v_add_u32_e32 v4, v13, v7
	v_add_u32_e32 v5, v12, v6
	ds_write2_b32 v1, v5, v4 offset0:4 offset1:5
	v_add_u32_e32 v4, 0xb20, v1
	ds_read2_b32 v[4:5], v4 offset1:1
	s_waitcnt lgkmcnt(2)
	v_add_u32_e32 v7, v14, v2
	v_add_u32_e32 v2, 40, v1
	;; [unrolled: 1-line block ×3, first 2 shown]
	ds_read2st64_b32 v[2:3], v2 offset1:11
	s_waitcnt lgkmcnt(1)
	v_add_u32_e32 v5, v17, v5
	v_add_u32_e32 v4, v16, v4
	ds_write2_b32 v1, v7, v6 offset0:6 offset1:7
	ds_write2_b32 v1, v4, v5 offset0:8 offset1:9
	s_waitcnt lgkmcnt(2)
	v_add_u32_e32 v2, v2, v3
	ds_write_b32 v1, v2 offset:40
.LBB2_47:
	s_or_b64 exec, exec, s[2:3]
	v_cmp_gt_u32_e32 vcc, 32, v0
	s_waitcnt lgkmcnt(0)
	s_barrier
	s_and_saveexec_b64 s[2:3], vcc
	s_cbranch_execz .LBB2_49
; %bb.48:
	v_add_u32_e32 v2, 0x580, v1
	ds_read2_b32 v[2:3], v2 offset1:1
	ds_read2_b32 v[4:5], v1 offset1:1
	ds_read2_b32 v[6:7], v1 offset0:2 offset1:3
	ds_read2_b32 v[8:9], v1 offset0:4 offset1:5
	;; [unrolled: 1-line block ×3, first 2 shown]
	ds_read_b32 v16, v1 offset:1448
	s_waitcnt lgkmcnt(4)
	v_add_u32_e32 v3, v5, v3
	v_add_u32_e32 v2, v4, v2
	ds_write2_b32 v1, v2, v3 offset1:1
	v_add_u32_e32 v2, 0x588, v1
	ds_read2_b32 v[2:3], v2 offset1:1
	v_add_u32_e32 v4, 0x590, v1
	v_add_u32_e32 v12, 0x598, v1
	;; [unrolled: 1-line block ×3, first 2 shown]
	ds_read2_b32 v[4:5], v4 offset1:1
	ds_read2_b32 v[12:13], v12 offset1:1
	;; [unrolled: 1-line block ×3, first 2 shown]
	s_waitcnt lgkmcnt(3)
	v_add_u32_e32 v3, v7, v3
	v_add_u32_e32 v2, v6, v2
	ds_write2_b32 v1, v2, v3 offset0:2 offset1:3
	s_waitcnt lgkmcnt(3)
	v_add_u32_e32 v2, v9, v5
	v_add_u32_e32 v3, v8, v4
	ds_write2_b32 v1, v3, v2 offset0:4 offset1:5
	ds_read2_b32 v[2:3], v1 offset0:8 offset1:9
	ds_read_b32 v6, v1 offset:40
	s_waitcnt lgkmcnt(5)
	v_add_u32_e32 v4, v11, v13
	v_add_u32_e32 v5, v10, v12
	ds_write2_b32 v1, v5, v4 offset0:6 offset1:7
	s_waitcnt lgkmcnt(2)
	v_add_u32_e32 v3, v3, v15
	v_add_u32_e32 v2, v2, v14
	ds_write2_b32 v1, v2, v3 offset0:8 offset1:9
	s_waitcnt lgkmcnt(2)
	v_add_u32_e32 v2, v6, v16
	ds_write_b32 v1, v2 offset:40
.LBB2_49:
	s_or_b64 exec, exec, s[2:3]
	v_cmp_gt_u32_e32 vcc, 16, v0
	s_waitcnt lgkmcnt(0)
	s_barrier
	s_and_saveexec_b64 s[2:3], vcc
	s_cbranch_execz .LBB2_51
; %bb.50:
	ds_read2_b32 v[2:3], v1 offset0:176 offset1:177
	ds_read2_b32 v[4:5], v1 offset0:178 offset1:179
	ds_read2_b32 v[6:7], v1 offset0:180 offset1:181
	ds_read2_b32 v[8:9], v1 offset1:1
	ds_read2_b32 v[10:11], v1 offset0:2 offset1:3
	ds_read2_b32 v[12:13], v1 offset0:4 offset1:5
	ds_read2_b32 v[14:15], v1 offset0:6 offset1:7
	ds_read2_b32 v[16:17], v1 offset0:8 offset1:9
	s_waitcnt lgkmcnt(4)
	v_add_u32_e32 v3, v9, v3
	v_add_u32_e32 v2, v8, v2
	ds_write2_b32 v1, v2, v3 offset1:1
	s_waitcnt lgkmcnt(4)
	v_add_u32_e32 v2, v11, v5
	v_add_u32_e32 v3, v10, v4
	ds_write2_b32 v1, v3, v2 offset0:2 offset1:3
	ds_read2_b32 v[2:3], v1 offset0:182 offset1:183
	s_waitcnt lgkmcnt(5)
	v_add_u32_e32 v4, v13, v7
	v_add_u32_e32 v5, v12, v6
	ds_write2_b32 v1, v5, v4 offset0:4 offset1:5
	ds_read2_b32 v[4:5], v1 offset0:184 offset1:185
	s_waitcnt lgkmcnt(2)
	v_add_u32_e32 v6, v15, v3
	v_add_u32_e32 v7, v14, v2
	ds_read2_b32 v[2:3], v1 offset0:10 offset1:186
	ds_write2_b32 v1, v7, v6 offset0:6 offset1:7
	s_waitcnt lgkmcnt(2)
	v_add_u32_e32 v5, v17, v5
	v_add_u32_e32 v4, v16, v4
	ds_write2_b32 v1, v4, v5 offset0:8 offset1:9
	s_waitcnt lgkmcnt(2)
	v_add_u32_e32 v2, v2, v3
	ds_write_b32 v1, v2 offset:40
.LBB2_51:
	s_or_b64 exec, exec, s[2:3]
	v_cmp_gt_u32_e32 vcc, 8, v0
	s_waitcnt lgkmcnt(0)
	s_barrier
	s_and_saveexec_b64 s[2:3], vcc
	s_cbranch_execz .LBB2_53
; %bb.52:
	ds_read2_b32 v[2:3], v1 offset0:88 offset1:89
	ds_read2_b32 v[4:5], v1 offset0:90 offset1:91
	ds_read2_b32 v[6:7], v1 offset0:92 offset1:93
	ds_read2_b32 v[8:9], v1 offset1:1
	ds_read2_b32 v[10:11], v1 offset0:2 offset1:3
	ds_read2_b32 v[12:13], v1 offset0:4 offset1:5
	ds_read2_b32 v[14:15], v1 offset0:6 offset1:7
	ds_read2_b32 v[16:17], v1 offset0:8 offset1:9
	s_waitcnt lgkmcnt(4)
	v_add_u32_e32 v3, v9, v3
	v_add_u32_e32 v2, v8, v2
	ds_write2_b32 v1, v2, v3 offset1:1
	s_waitcnt lgkmcnt(4)
	v_add_u32_e32 v2, v11, v5
	v_add_u32_e32 v3, v10, v4
	ds_write2_b32 v1, v3, v2 offset0:2 offset1:3
	ds_read2_b32 v[2:3], v1 offset0:94 offset1:95
	s_waitcnt lgkmcnt(5)
	v_add_u32_e32 v4, v13, v7
	v_add_u32_e32 v5, v12, v6
	ds_write2_b32 v1, v5, v4 offset0:4 offset1:5
	ds_read2_b32 v[4:5], v1 offset0:96 offset1:97
	s_waitcnt lgkmcnt(2)
	v_add_u32_e32 v6, v15, v3
	v_add_u32_e32 v7, v14, v2
	ds_read2_b32 v[2:3], v1 offset0:10 offset1:98
	ds_write2_b32 v1, v7, v6 offset0:6 offset1:7
	s_waitcnt lgkmcnt(2)
	v_add_u32_e32 v5, v17, v5
	v_add_u32_e32 v4, v16, v4
	ds_write2_b32 v1, v4, v5 offset0:8 offset1:9
	s_waitcnt lgkmcnt(2)
	v_add_u32_e32 v2, v2, v3
	ds_write_b32 v1, v2 offset:40
.LBB2_53:
	;; [unrolled: 42-line block ×4, first 2 shown]
	s_or_b64 exec, exec, s[2:3]
	v_cmp_eq_u32_e32 vcc, 0, v0
	s_waitcnt lgkmcnt(0)
	s_barrier
	s_and_saveexec_b64 s[2:3], vcc
	s_cbranch_execz .LBB2_59
; %bb.58:
	v_mov_b32_e32 v1, 0
	ds_read2_b32 v[14:15], v1 offset0:11 offset1:12
	ds_read_b128 v[2:5], v1
	ds_read_b128 v[6:9], v1 offset:16
	ds_read_b96 v[10:12], v1 offset:32
	ds_read2_b32 v[16:17], v1 offset0:13 offset1:14
	s_waitcnt lgkmcnt(3)
	v_add_u32_e32 v3, v3, v15
	v_add_u32_e32 v2, v2, v14
	ds_read2_b32 v[14:15], v1 offset0:15 offset1:16
	ds_read2_b32 v[18:19], v1 offset0:17 offset1:18
	;; [unrolled: 1-line block ×3, first 2 shown]
	s_waitcnt lgkmcnt(3)
	v_add_u32_e32 v5, v5, v17
	v_add_u32_e32 v4, v4, v16
	ds_write_b128 v1, v[2:5]
	s_waitcnt lgkmcnt(3)
	v_add_u32_e32 v2, v6, v14
	ds_read_b32 v6, v1 offset:84
	v_add_u32_e32 v3, v7, v15
	s_waitcnt lgkmcnt(3)
	v_add_u32_e32 v5, v9, v19
	v_add_u32_e32 v4, v8, v18
	ds_write_b128 v1, v[2:5] offset:16
	s_waitcnt lgkmcnt(3)
	v_add_u32_e32 v3, v11, v21
	v_add_u32_e32 v2, v10, v20
	s_waitcnt lgkmcnt(1)
	v_add_u32_e32 v4, v12, v6
	ds_write_b96 v1, v[2:4] offset:32
.LBB2_59:
	s_or_b64 exec, exec, s[2:3]
	v_cmp_gt_u32_e32 vcc, 11, v0
	s_waitcnt lgkmcnt(0)
	s_barrier
	s_and_saveexec_b64 s[2:3], vcc
	s_cbranch_execz .LBB2_61
; %bb.60:
	v_mad_u64_u32 v[2:3], s[2:3], s6, 11, v[0:1]
	v_lshlrev_b32_e32 v0, 2, v0
	ds_read_b32 v4, v0
	v_mov_b32_e32 v3, 0
	v_lshlrev_b64 v[2:3], 2, v[2:3]
	v_mov_b32_e32 v1, s1
	v_add_co_u32_e32 v0, vcc, s0, v2
	v_addc_co_u32_e32 v1, vcc, v1, v3, vcc
	s_waitcnt lgkmcnt(0)
	global_store_dword v[0:1], v4, off
.LBB2_61:
	s_endpgm
	.section	.rodata,"a",@progbits
	.p2align	6, 0x0
	.amdhsa_kernel _ZN9rocsparseL26csrgemm_group_reduce_part2ILj256ELj11EfiiEEvT3_PKT2_PS1_Pij
		.amdhsa_group_segment_fixed_size 11264
		.amdhsa_private_segment_fixed_size 0
		.amdhsa_kernarg_size 296
		.amdhsa_user_sgpr_count 6
		.amdhsa_user_sgpr_private_segment_buffer 1
		.amdhsa_user_sgpr_dispatch_ptr 0
		.amdhsa_user_sgpr_queue_ptr 0
		.amdhsa_user_sgpr_kernarg_segment_ptr 1
		.amdhsa_user_sgpr_dispatch_id 0
		.amdhsa_user_sgpr_flat_scratch_init 0
		.amdhsa_user_sgpr_kernarg_preload_length 0
		.amdhsa_user_sgpr_kernarg_preload_offset 0
		.amdhsa_user_sgpr_private_segment_size 0
		.amdhsa_uses_dynamic_stack 0
		.amdhsa_system_sgpr_private_segment_wavefront_offset 0
		.amdhsa_system_sgpr_workgroup_id_x 1
		.amdhsa_system_sgpr_workgroup_id_y 0
		.amdhsa_system_sgpr_workgroup_id_z 0
		.amdhsa_system_sgpr_workgroup_info 0
		.amdhsa_system_vgpr_workitem_id 0
		.amdhsa_next_free_vgpr 22
		.amdhsa_next_free_sgpr 52
		.amdhsa_accum_offset 24
		.amdhsa_reserve_vcc 1
		.amdhsa_reserve_flat_scratch 0
		.amdhsa_float_round_mode_32 0
		.amdhsa_float_round_mode_16_64 0
		.amdhsa_float_denorm_mode_32 3
		.amdhsa_float_denorm_mode_16_64 3
		.amdhsa_dx10_clamp 1
		.amdhsa_ieee_mode 1
		.amdhsa_fp16_overflow 0
		.amdhsa_tg_split 0
		.amdhsa_exception_fp_ieee_invalid_op 0
		.amdhsa_exception_fp_denorm_src 0
		.amdhsa_exception_fp_ieee_div_zero 0
		.amdhsa_exception_fp_ieee_overflow 0
		.amdhsa_exception_fp_ieee_underflow 0
		.amdhsa_exception_fp_ieee_inexact 0
		.amdhsa_exception_int_div_zero 0
	.end_amdhsa_kernel
	.section	.text._ZN9rocsparseL26csrgemm_group_reduce_part2ILj256ELj11EfiiEEvT3_PKT2_PS1_Pij,"axG",@progbits,_ZN9rocsparseL26csrgemm_group_reduce_part2ILj256ELj11EfiiEEvT3_PKT2_PS1_Pij,comdat
.Lfunc_end2:
	.size	_ZN9rocsparseL26csrgemm_group_reduce_part2ILj256ELj11EfiiEEvT3_PKT2_PS1_Pij, .Lfunc_end2-_ZN9rocsparseL26csrgemm_group_reduce_part2ILj256ELj11EfiiEEvT3_PKT2_PS1_Pij
                                        ; -- End function
	.section	.AMDGPU.csdata,"",@progbits
; Kernel info:
; codeLenInByte = 3140
; NumSgprs: 56
; NumVgprs: 22
; NumAgprs: 0
; TotalNumVgprs: 22
; ScratchSize: 0
; MemoryBound: 0
; FloatMode: 240
; IeeeMode: 1
; LDSByteSize: 11264 bytes/workgroup (compile time only)
; SGPRBlocks: 6
; VGPRBlocks: 2
; NumSGPRsForWavesPerEU: 56
; NumVGPRsForWavesPerEU: 22
; AccumOffset: 24
; Occupancy: 5
; WaveLimiterHint : 0
; COMPUTE_PGM_RSRC2:SCRATCH_EN: 0
; COMPUTE_PGM_RSRC2:USER_SGPR: 6
; COMPUTE_PGM_RSRC2:TRAP_HANDLER: 0
; COMPUTE_PGM_RSRC2:TGID_X_EN: 1
; COMPUTE_PGM_RSRC2:TGID_Y_EN: 0
; COMPUTE_PGM_RSRC2:TGID_Z_EN: 0
; COMPUTE_PGM_RSRC2:TIDIG_COMP_CNT: 0
; COMPUTE_PGM_RSRC3_GFX90A:ACCUM_OFFSET: 5
; COMPUTE_PGM_RSRC3_GFX90A:TG_SPLIT: 0
	.section	.text._ZN9rocsparseL26csrgemm_group_reduce_part3ILj256ELj11EiEEvPT1_,"axG",@progbits,_ZN9rocsparseL26csrgemm_group_reduce_part3ILj256ELj11EiEEvPT1_,comdat
	.globl	_ZN9rocsparseL26csrgemm_group_reduce_part3ILj256ELj11EiEEvPT1_ ; -- Begin function _ZN9rocsparseL26csrgemm_group_reduce_part3ILj256ELj11EiEEvPT1_
	.p2align	8
	.type	_ZN9rocsparseL26csrgemm_group_reduce_part3ILj256ELj11EiEEvPT1_,@function
_ZN9rocsparseL26csrgemm_group_reduce_part3ILj256ELj11EiEEvPT1_: ; @_ZN9rocsparseL26csrgemm_group_reduce_part3ILj256ELj11EiEEvPT1_
; %bb.0:
	s_load_dwordx2 s[0:1], s[4:5], 0x0
	v_lshlrev_b32_e32 v4, 2, v0
	v_or_b32_e32 v1, 0xffffff00, v0
	s_mov_b64 s[2:3], 0
	s_movk_i32 s4, 0x9ff
	s_waitcnt lgkmcnt(0)
	v_mov_b32_e32 v3, s1
	v_add_co_u32_e32 v2, vcc, s0, v4
	v_addc_co_u32_e32 v3, vcc, 0, v3, vcc
.LBB3_1:                                ; =>This Inner Loop Header: Depth=1
	global_load_dword v5, v[2:3], off
	v_add_co_u32_e32 v2, vcc, 0x400, v2
	v_add_u32_e32 v1, 0x100, v1
	v_addc_co_u32_e32 v3, vcc, 0, v3, vcc
	v_cmp_lt_u32_e32 vcc, s4, v1
	s_or_b64 s[2:3], vcc, s[2:3]
	s_waitcnt vmcnt(0)
	ds_write_b32 v4, v5
	v_add_u32_e32 v4, 0x400, v4
	s_andn2_b64 exec, exec, s[2:3]
	s_cbranch_execnz .LBB3_1
; %bb.2:
	s_or_b64 exec, exec, s[2:3]
	s_movk_i32 s2, 0x80
	v_cmp_gt_u32_e32 vcc, s2, v0
	v_mul_u32_u24_e32 v1, 44, v0
	s_waitcnt lgkmcnt(0)
	s_barrier
	s_barrier
	;; [unrolled: 1-line block ×3, first 2 shown]
	s_and_saveexec_b64 s[2:3], vcc
	s_cbranch_execz .LBB3_4
; %bb.3:
	v_mov_b32_e32 v2, 0x1600
	v_mad_u32_u24 v8, v0, 44, v2
	v_mov_b32_e32 v2, 0x1608
	v_mad_u32_u24 v10, v0, 44, v2
	v_mov_b32_e32 v2, 0x1610
	v_mov_b32_e32 v9, 0x1618
	v_mad_u32_u24 v12, v0, 44, v2
	ds_read2_b32 v[2:3], v1 offset1:1
	ds_read2_b32 v[4:5], v1 offset0:2 offset1:3
	ds_read2_b32 v[6:7], v1 offset0:4 offset1:5
	v_mad_u32_u24 v14, v0, 44, v9
	ds_read2_b32 v[8:9], v8 offset1:1
	ds_read2_b32 v[10:11], v10 offset1:1
	;; [unrolled: 1-line block ×4, first 2 shown]
	v_mov_b32_e32 v16, 0x1620
	s_waitcnt lgkmcnt(3)
	v_add_u32_e32 v3, v3, v9
	v_add_u32_e32 v2, v2, v8
	ds_write2_b32 v1, v2, v3 offset1:1
	s_waitcnt lgkmcnt(3)
	v_add_u32_e32 v2, v5, v11
	v_add_u32_e32 v3, v4, v10
	ds_write2_b32 v1, v3, v2 offset0:2 offset1:3
	ds_read2_b32 v[2:3], v1 offset0:6 offset1:7
	v_mad_u32_u24 v16, v0, 44, v16
	s_waitcnt lgkmcnt(4)
	v_add_u32_e32 v4, v7, v13
	v_add_u32_e32 v5, v6, v12
	ds_read2_b32 v[16:17], v16 offset1:1
	ds_write2_b32 v1, v5, v4 offset0:4 offset1:5
	ds_read2_b32 v[4:5], v1 offset0:8 offset1:9
	s_waitcnt lgkmcnt(3)
	v_add_u32_e32 v7, v2, v14
	v_add_u32_e32 v2, 40, v1
	;; [unrolled: 1-line block ×3, first 2 shown]
	ds_read2st64_b32 v[2:3], v2 offset1:22
	s_waitcnt lgkmcnt(1)
	v_add_u32_e32 v5, v5, v17
	v_add_u32_e32 v4, v4, v16
	ds_write2_b32 v1, v7, v6 offset0:6 offset1:7
	ds_write2_b32 v1, v4, v5 offset0:8 offset1:9
	s_waitcnt lgkmcnt(2)
	v_add_u32_e32 v2, v2, v3
	ds_write_b32 v1, v2 offset:40
.LBB3_4:
	s_or_b64 exec, exec, s[2:3]
	v_cmp_gt_u32_e32 vcc, 64, v0
	s_waitcnt lgkmcnt(0)
	s_barrier
	s_and_saveexec_b64 s[2:3], vcc
	s_cbranch_execz .LBB3_6
; %bb.5:
	v_mov_b32_e32 v2, 0xb00
	v_mad_u32_u24 v8, v0, 44, v2
	v_mov_b32_e32 v2, 0xb08
	v_mad_u32_u24 v10, v0, 44, v2
	v_mov_b32_e32 v2, 0xb10
	v_mov_b32_e32 v9, 0xb18
	v_mad_u32_u24 v12, v0, 44, v2
	ds_read2_b32 v[2:3], v1 offset1:1
	ds_read2_b32 v[4:5], v1 offset0:2 offset1:3
	ds_read2_b32 v[6:7], v1 offset0:4 offset1:5
	v_mad_u32_u24 v14, v0, 44, v9
	ds_read2_b32 v[8:9], v8 offset1:1
	ds_read2_b32 v[10:11], v10 offset1:1
	;; [unrolled: 1-line block ×4, first 2 shown]
	v_mov_b32_e32 v16, 0xb20
	s_waitcnt lgkmcnt(3)
	v_add_u32_e32 v3, v3, v9
	v_add_u32_e32 v2, v2, v8
	ds_write2_b32 v1, v2, v3 offset1:1
	s_waitcnt lgkmcnt(3)
	v_add_u32_e32 v2, v5, v11
	v_add_u32_e32 v3, v4, v10
	ds_write2_b32 v1, v3, v2 offset0:2 offset1:3
	ds_read2_b32 v[2:3], v1 offset0:6 offset1:7
	v_mad_u32_u24 v16, v0, 44, v16
	s_waitcnt lgkmcnt(4)
	v_add_u32_e32 v4, v7, v13
	v_add_u32_e32 v5, v6, v12
	ds_read2_b32 v[16:17], v16 offset1:1
	ds_write2_b32 v1, v5, v4 offset0:4 offset1:5
	ds_read2_b32 v[4:5], v1 offset0:8 offset1:9
	s_waitcnt lgkmcnt(3)
	v_add_u32_e32 v7, v2, v14
	v_add_u32_e32 v2, 40, v1
	;; [unrolled: 1-line block ×3, first 2 shown]
	ds_read2st64_b32 v[2:3], v2 offset1:11
	s_waitcnt lgkmcnt(1)
	v_add_u32_e32 v5, v5, v17
	v_add_u32_e32 v4, v4, v16
	ds_write2_b32 v1, v7, v6 offset0:6 offset1:7
	ds_write2_b32 v1, v4, v5 offset0:8 offset1:9
	s_waitcnt lgkmcnt(2)
	v_add_u32_e32 v2, v2, v3
	ds_write_b32 v1, v2 offset:40
.LBB3_6:
	s_or_b64 exec, exec, s[2:3]
	v_cmp_gt_u32_e32 vcc, 32, v0
	s_waitcnt lgkmcnt(0)
	s_barrier
	s_and_saveexec_b64 s[2:3], vcc
	s_cbranch_execz .LBB3_8
; %bb.7:
	v_mov_b32_e32 v2, 0x580
	v_mad_u32_u24 v8, v0, 44, v2
	v_mov_b32_e32 v2, 0x588
	v_mad_u32_u24 v10, v0, 44, v2
	v_mov_b32_e32 v2, 0x590
	v_mov_b32_e32 v9, 0x598
	v_mad_u32_u24 v12, v0, 44, v2
	ds_read2_b32 v[2:3], v1 offset1:1
	ds_read2_b32 v[4:5], v1 offset0:2 offset1:3
	ds_read2_b32 v[6:7], v1 offset0:4 offset1:5
	v_mad_u32_u24 v14, v0, 44, v9
	ds_read2_b32 v[8:9], v8 offset1:1
	ds_read2_b32 v[10:11], v10 offset1:1
	;; [unrolled: 1-line block ×4, first 2 shown]
	v_mov_b32_e32 v16, 0x5a0
	s_waitcnt lgkmcnt(3)
	v_add_u32_e32 v3, v3, v9
	v_add_u32_e32 v2, v2, v8
	v_mad_u32_u24 v16, v0, 44, v16
	ds_write2_b32 v1, v2, v3 offset1:1
	s_waitcnt lgkmcnt(3)
	v_add_u32_e32 v2, v5, v11
	v_add_u32_e32 v3, v4, v10
	ds_read2_b32 v[16:17], v16 offset1:1
	ds_write2_b32 v1, v3, v2 offset0:2 offset1:3
	ds_read2_b32 v[2:3], v1 offset0:6 offset1:7
	s_waitcnt lgkmcnt(5)
	v_add_u32_e32 v4, v7, v13
	v_add_u32_e32 v5, v6, v12
	ds_write2_b32 v1, v5, v4 offset0:4 offset1:5
	ds_read2_b32 v[4:5], v1 offset0:8 offset1:9
	ds_read_b32 v6, v1 offset:1448
	ds_read_b32 v7, v1 offset:40
	s_waitcnt lgkmcnt(4)
	v_add_u32_e32 v3, v3, v15
	v_add_u32_e32 v2, v2, v14
	ds_write2_b32 v1, v2, v3 offset0:6 offset1:7
	s_waitcnt lgkmcnt(3)
	v_add_u32_e32 v2, v5, v17
	v_add_u32_e32 v3, v4, v16
	ds_write2_b32 v1, v3, v2 offset0:8 offset1:9
	s_waitcnt lgkmcnt(2)
	v_add_u32_e32 v2, v7, v6
	ds_write_b32 v1, v2 offset:40
.LBB3_8:
	s_or_b64 exec, exec, s[2:3]
	v_cmp_gt_u32_e32 vcc, 16, v0
	s_waitcnt lgkmcnt(0)
	s_barrier
	s_and_saveexec_b64 s[2:3], vcc
	s_cbranch_execz .LBB3_10
; %bb.9:
	ds_read2_b32 v[2:3], v1 offset0:176 offset1:177
	ds_read2_b32 v[4:5], v1 offset0:178 offset1:179
	ds_read2_b32 v[6:7], v1 offset0:180 offset1:181
	ds_read2_b32 v[8:9], v1 offset1:1
	ds_read2_b32 v[10:11], v1 offset0:2 offset1:3
	ds_read2_b32 v[12:13], v1 offset0:4 offset1:5
	ds_read2_b32 v[14:15], v1 offset0:6 offset1:7
	ds_read2_b32 v[16:17], v1 offset0:8 offset1:9
	s_waitcnt lgkmcnt(4)
	v_add_u32_e32 v3, v9, v3
	v_add_u32_e32 v2, v8, v2
	ds_write2_b32 v1, v2, v3 offset1:1
	s_waitcnt lgkmcnt(4)
	v_add_u32_e32 v2, v11, v5
	v_add_u32_e32 v3, v10, v4
	ds_write2_b32 v1, v3, v2 offset0:2 offset1:3
	ds_read2_b32 v[2:3], v1 offset0:182 offset1:183
	s_waitcnt lgkmcnt(5)
	v_add_u32_e32 v4, v13, v7
	v_add_u32_e32 v5, v12, v6
	ds_write2_b32 v1, v5, v4 offset0:4 offset1:5
	ds_read2_b32 v[4:5], v1 offset0:184 offset1:185
	s_waitcnt lgkmcnt(2)
	v_add_u32_e32 v6, v15, v3
	v_add_u32_e32 v7, v14, v2
	ds_read2_b32 v[2:3], v1 offset0:10 offset1:186
	ds_write2_b32 v1, v7, v6 offset0:6 offset1:7
	s_waitcnt lgkmcnt(2)
	v_add_u32_e32 v5, v17, v5
	v_add_u32_e32 v4, v16, v4
	ds_write2_b32 v1, v4, v5 offset0:8 offset1:9
	s_waitcnt lgkmcnt(2)
	v_add_u32_e32 v2, v2, v3
	ds_write_b32 v1, v2 offset:40
.LBB3_10:
	s_or_b64 exec, exec, s[2:3]
	v_cmp_gt_u32_e32 vcc, 8, v0
	s_waitcnt lgkmcnt(0)
	s_barrier
	s_and_saveexec_b64 s[2:3], vcc
	s_cbranch_execz .LBB3_12
; %bb.11:
	ds_read2_b32 v[2:3], v1 offset0:88 offset1:89
	ds_read2_b32 v[4:5], v1 offset0:90 offset1:91
	ds_read2_b32 v[6:7], v1 offset0:92 offset1:93
	ds_read2_b32 v[8:9], v1 offset1:1
	ds_read2_b32 v[10:11], v1 offset0:2 offset1:3
	ds_read2_b32 v[12:13], v1 offset0:4 offset1:5
	ds_read2_b32 v[14:15], v1 offset0:6 offset1:7
	ds_read2_b32 v[16:17], v1 offset0:8 offset1:9
	s_waitcnt lgkmcnt(4)
	v_add_u32_e32 v3, v9, v3
	v_add_u32_e32 v2, v8, v2
	ds_write2_b32 v1, v2, v3 offset1:1
	s_waitcnt lgkmcnt(4)
	v_add_u32_e32 v2, v11, v5
	v_add_u32_e32 v3, v10, v4
	ds_write2_b32 v1, v3, v2 offset0:2 offset1:3
	ds_read2_b32 v[2:3], v1 offset0:94 offset1:95
	s_waitcnt lgkmcnt(5)
	v_add_u32_e32 v4, v13, v7
	v_add_u32_e32 v5, v12, v6
	ds_write2_b32 v1, v5, v4 offset0:4 offset1:5
	ds_read2_b32 v[4:5], v1 offset0:96 offset1:97
	s_waitcnt lgkmcnt(2)
	v_add_u32_e32 v6, v15, v3
	v_add_u32_e32 v7, v14, v2
	ds_read2_b32 v[2:3], v1 offset0:10 offset1:98
	ds_write2_b32 v1, v7, v6 offset0:6 offset1:7
	s_waitcnt lgkmcnt(2)
	v_add_u32_e32 v5, v17, v5
	v_add_u32_e32 v4, v16, v4
	ds_write2_b32 v1, v4, v5 offset0:8 offset1:9
	s_waitcnt lgkmcnt(2)
	v_add_u32_e32 v2, v2, v3
	ds_write_b32 v1, v2 offset:40
.LBB3_12:
	;; [unrolled: 42-line block ×3, first 2 shown]
	s_or_b64 exec, exec, s[2:3]
	v_cmp_gt_u32_e32 vcc, 2, v0
	s_waitcnt lgkmcnt(0)
	s_barrier
	s_and_saveexec_b64 s[2:3], vcc
	s_cbranch_execz .LBB3_16
; %bb.15:
	v_mul_u32_u24_e32 v1, 11, v0
	v_lshlrev_b32_e32 v1, 2, v1
	ds_read2_b32 v[2:3], v1 offset0:22 offset1:23
	ds_read2_b32 v[4:5], v1 offset0:24 offset1:25
	;; [unrolled: 1-line block ×3, first 2 shown]
	ds_read2_b32 v[8:9], v1 offset1:1
	ds_read2_b32 v[10:11], v1 offset0:2 offset1:3
	ds_read2_b32 v[12:13], v1 offset0:4 offset1:5
	;; [unrolled: 1-line block ×4, first 2 shown]
	s_waitcnt lgkmcnt(4)
	v_add_u32_e32 v3, v9, v3
	v_add_u32_e32 v2, v8, v2
	ds_write2_b32 v1, v2, v3 offset1:1
	s_waitcnt lgkmcnt(4)
	v_add_u32_e32 v2, v11, v5
	v_add_u32_e32 v3, v10, v4
	ds_write2_b32 v1, v3, v2 offset0:2 offset1:3
	ds_read2_b32 v[2:3], v1 offset0:28 offset1:29
	s_waitcnt lgkmcnt(5)
	v_add_u32_e32 v4, v13, v7
	v_add_u32_e32 v5, v12, v6
	ds_write2_b32 v1, v5, v4 offset0:4 offset1:5
	ds_read2_b32 v[4:5], v1 offset0:30 offset1:31
	s_waitcnt lgkmcnt(2)
	v_add_u32_e32 v6, v15, v3
	v_add_u32_e32 v7, v14, v2
	ds_read2_b32 v[2:3], v1 offset0:10 offset1:32
	ds_write2_b32 v1, v7, v6 offset0:6 offset1:7
	s_waitcnt lgkmcnt(2)
	v_add_u32_e32 v5, v17, v5
	v_add_u32_e32 v4, v16, v4
	ds_write2_b32 v1, v4, v5 offset0:8 offset1:9
	s_waitcnt lgkmcnt(2)
	v_add_u32_e32 v2, v2, v3
	ds_write_b32 v1, v2 offset:40
.LBB3_16:
	s_or_b64 exec, exec, s[2:3]
	v_cmp_eq_u32_e32 vcc, 0, v0
	s_waitcnt lgkmcnt(0)
	s_barrier
	s_and_saveexec_b64 s[2:3], vcc
	s_cbranch_execz .LBB3_18
; %bb.17:
	v_mov_b32_e32 v1, 0
	ds_read2_b32 v[14:15], v1 offset0:11 offset1:12
	ds_read_b128 v[2:5], v1
	ds_read_b128 v[6:9], v1 offset:16
	ds_read_b96 v[10:12], v1 offset:32
	ds_read2_b32 v[16:17], v1 offset0:13 offset1:14
	s_waitcnt lgkmcnt(3)
	v_add_u32_e32 v3, v3, v15
	v_add_u32_e32 v2, v2, v14
	ds_read2_b32 v[14:15], v1 offset0:15 offset1:16
	ds_read2_b32 v[18:19], v1 offset0:17 offset1:18
	;; [unrolled: 1-line block ×3, first 2 shown]
	s_waitcnt lgkmcnt(3)
	v_add_u32_e32 v5, v5, v17
	v_add_u32_e32 v4, v4, v16
	ds_write_b128 v1, v[2:5]
	s_waitcnt lgkmcnt(3)
	v_add_u32_e32 v2, v6, v14
	ds_read_b32 v6, v1 offset:84
	v_add_u32_e32 v3, v7, v15
	s_waitcnt lgkmcnt(3)
	v_add_u32_e32 v5, v9, v19
	v_add_u32_e32 v4, v8, v18
	ds_write_b128 v1, v[2:5] offset:16
	s_waitcnt lgkmcnt(3)
	v_add_u32_e32 v3, v11, v21
	v_add_u32_e32 v2, v10, v20
	s_waitcnt lgkmcnt(1)
	v_add_u32_e32 v4, v12, v6
	ds_write_b96 v1, v[2:4] offset:32
.LBB3_18:
	s_or_b64 exec, exec, s[2:3]
	v_cmp_gt_u32_e32 vcc, 11, v0
	s_waitcnt lgkmcnt(0)
	s_barrier
	s_and_saveexec_b64 s[2:3], vcc
	s_cbranch_execz .LBB3_20
; %bb.19:
	v_lshlrev_b32_e32 v0, 2, v0
	ds_read_b32 v1, v0
	s_waitcnt lgkmcnt(0)
	global_store_dword v0, v1, s[0:1]
.LBB3_20:
	s_endpgm
	.section	.rodata,"a",@progbits
	.p2align	6, 0x0
	.amdhsa_kernel _ZN9rocsparseL26csrgemm_group_reduce_part3ILj256ELj11EiEEvPT1_
		.amdhsa_group_segment_fixed_size 11264
		.amdhsa_private_segment_fixed_size 0
		.amdhsa_kernarg_size 8
		.amdhsa_user_sgpr_count 6
		.amdhsa_user_sgpr_private_segment_buffer 1
		.amdhsa_user_sgpr_dispatch_ptr 0
		.amdhsa_user_sgpr_queue_ptr 0
		.amdhsa_user_sgpr_kernarg_segment_ptr 1
		.amdhsa_user_sgpr_dispatch_id 0
		.amdhsa_user_sgpr_flat_scratch_init 0
		.amdhsa_user_sgpr_kernarg_preload_length 0
		.amdhsa_user_sgpr_kernarg_preload_offset 0
		.amdhsa_user_sgpr_private_segment_size 0
		.amdhsa_uses_dynamic_stack 0
		.amdhsa_system_sgpr_private_segment_wavefront_offset 0
		.amdhsa_system_sgpr_workgroup_id_x 1
		.amdhsa_system_sgpr_workgroup_id_y 0
		.amdhsa_system_sgpr_workgroup_id_z 0
		.amdhsa_system_sgpr_workgroup_info 0
		.amdhsa_system_vgpr_workitem_id 0
		.amdhsa_next_free_vgpr 22
		.amdhsa_next_free_sgpr 6
		.amdhsa_accum_offset 24
		.amdhsa_reserve_vcc 1
		.amdhsa_reserve_flat_scratch 0
		.amdhsa_float_round_mode_32 0
		.amdhsa_float_round_mode_16_64 0
		.amdhsa_float_denorm_mode_32 3
		.amdhsa_float_denorm_mode_16_64 3
		.amdhsa_dx10_clamp 1
		.amdhsa_ieee_mode 1
		.amdhsa_fp16_overflow 0
		.amdhsa_tg_split 0
		.amdhsa_exception_fp_ieee_invalid_op 0
		.amdhsa_exception_fp_denorm_src 0
		.amdhsa_exception_fp_ieee_div_zero 0
		.amdhsa_exception_fp_ieee_overflow 0
		.amdhsa_exception_fp_ieee_underflow 0
		.amdhsa_exception_fp_ieee_inexact 0
		.amdhsa_exception_int_div_zero 0
	.end_amdhsa_kernel
	.section	.text._ZN9rocsparseL26csrgemm_group_reduce_part3ILj256ELj11EiEEvPT1_,"axG",@progbits,_ZN9rocsparseL26csrgemm_group_reduce_part3ILj256ELj11EiEEvPT1_,comdat
.Lfunc_end3:
	.size	_ZN9rocsparseL26csrgemm_group_reduce_part3ILj256ELj11EiEEvPT1_, .Lfunc_end3-_ZN9rocsparseL26csrgemm_group_reduce_part3ILj256ELj11EiEEvPT1_
                                        ; -- End function
	.section	.AMDGPU.csdata,"",@progbits
; Kernel info:
; codeLenInByte = 2228
; NumSgprs: 10
; NumVgprs: 22
; NumAgprs: 0
; TotalNumVgprs: 22
; ScratchSize: 0
; MemoryBound: 1
; FloatMode: 240
; IeeeMode: 1
; LDSByteSize: 11264 bytes/workgroup (compile time only)
; SGPRBlocks: 1
; VGPRBlocks: 2
; NumSGPRsForWavesPerEU: 10
; NumVGPRsForWavesPerEU: 22
; AccumOffset: 24
; Occupancy: 5
; WaveLimiterHint : 1
; COMPUTE_PGM_RSRC2:SCRATCH_EN: 0
; COMPUTE_PGM_RSRC2:USER_SGPR: 6
; COMPUTE_PGM_RSRC2:TRAP_HANDLER: 0
; COMPUTE_PGM_RSRC2:TGID_X_EN: 1
; COMPUTE_PGM_RSRC2:TGID_Y_EN: 0
; COMPUTE_PGM_RSRC2:TGID_Z_EN: 0
; COMPUTE_PGM_RSRC2:TIDIG_COMP_CNT: 0
; COMPUTE_PGM_RSRC3_GFX90A:ACCUM_OFFSET: 5
; COMPUTE_PGM_RSRC3_GFX90A:TG_SPLIT: 0
	.section	.text._ZN9rocsparseL23csrgemm_fill_wf_per_rowILj256ELj8ELj16ELj137EiifEEvT4_S1_PKS1_S3_NS_24const_host_device_scalarIT5_EEPKT3_S3_PKS5_S9_S3_SB_S6_S9_S3_SB_S9_PS1_PS5_21rocsparse_index_base_SE_SE_SE_bbb,"axG",@progbits,_ZN9rocsparseL23csrgemm_fill_wf_per_rowILj256ELj8ELj16ELj137EiifEEvT4_S1_PKS1_S3_NS_24const_host_device_scalarIT5_EEPKT3_S3_PKS5_S9_S3_SB_S6_S9_S3_SB_S9_PS1_PS5_21rocsparse_index_base_SE_SE_SE_bbb,comdat
	.globl	_ZN9rocsparseL23csrgemm_fill_wf_per_rowILj256ELj8ELj16ELj137EiifEEvT4_S1_PKS1_S3_NS_24const_host_device_scalarIT5_EEPKT3_S3_PKS5_S9_S3_SB_S6_S9_S3_SB_S9_PS1_PS5_21rocsparse_index_base_SE_SE_SE_bbb ; -- Begin function _ZN9rocsparseL23csrgemm_fill_wf_per_rowILj256ELj8ELj16ELj137EiifEEvT4_S1_PKS1_S3_NS_24const_host_device_scalarIT5_EEPKT3_S3_PKS5_S9_S3_SB_S6_S9_S3_SB_S9_PS1_PS5_21rocsparse_index_base_SE_SE_SE_bbb
	.p2align	8
	.type	_ZN9rocsparseL23csrgemm_fill_wf_per_rowILj256ELj8ELj16ELj137EiifEEvT4_S1_PKS1_S3_NS_24const_host_device_scalarIT5_EEPKT3_S3_PKS5_S9_S3_SB_S6_S9_S3_SB_S9_PS1_PS5_21rocsparse_index_base_SE_SE_SE_bbb,@function
_ZN9rocsparseL23csrgemm_fill_wf_per_rowILj256ELj8ELj16ELj137EiifEEvT4_S1_PKS1_S3_NS_24const_host_device_scalarIT5_EEPKT3_S3_PKS5_S9_S3_SB_S6_S9_S3_SB_S9_PS1_PS5_21rocsparse_index_base_SE_SE_SE_bbb: ; @_ZN9rocsparseL23csrgemm_fill_wf_per_rowILj256ELj8ELj16ELj137EiifEEvT4_S1_PKS1_S3_NS_24const_host_device_scalarIT5_EEPKT3_S3_PKS5_S9_S3_SB_S6_S9_S3_SB_S9_PS1_PS5_21rocsparse_index_base_SE_SE_SE_bbb
; %bb.0:
	s_load_dword s7, s[4:5], 0x98
	s_load_dwordx4 s[24:27], s[4:5], 0x88
	s_load_dwordx2 s[0:1], s[4:5], 0x18
	s_load_dwordx2 s[34:35], s[4:5], 0x50
	s_waitcnt lgkmcnt(0)
	s_bitcmp1_b32 s7, 0
	s_cselect_b64 s[2:3], -1, 0
	s_bitcmp1_b32 s7, 16
	s_cselect_b64 s[44:45], -1, 0
	s_xor_b64 s[8:9], s[2:3], -1
	s_or_b64 s[8:9], s[8:9], s[44:45]
	s_and_b64 vcc, exec, s[8:9]
	s_cbranch_vccnz .LBB4_2
; %bb.1:
	s_load_dword s0, s[0:1], 0x0
	s_waitcnt lgkmcnt(0)
	v_mov_b32_e32 v13, s0
	s_branch .LBB4_3
.LBB4_2:
	v_mov_b32_e32 v1, s0
	v_cndmask_b32_e64 v13, 0, v1, s[2:3]
.LBB4_3:
	s_load_dwordx4 s[28:31], s[4:5], 0x78
	s_load_dwordx8 s[8:15], s[4:5], 0x58
	s_load_dwordx4 s[36:39], s[4:5], 0x40
	s_load_dwordx4 s[40:43], s[4:5], 0x8
	s_load_dwordx8 s[16:23], s[4:5], 0x20
	s_bitcmp1_b32 s7, 8
	s_cselect_b64 s[0:1], -1, 0
	s_xor_b64 s[46:47], s[0:1], -1
	s_or_b64 s[44:45], s[46:47], s[44:45]
	s_and_b64 vcc, exec, s[44:45]
	s_cbranch_vccnz .LBB4_5
; %bb.4:
	s_load_dword s7, s[34:35], 0x0
	s_waitcnt lgkmcnt(0)
	v_mov_b32_e32 v11, s7
	s_branch .LBB4_6
.LBB4_5:
	v_mov_b32_e32 v1, s34
	v_cndmask_b32_e64 v11, 0, v1, s[0:1]
.LBB4_6:
	s_load_dwordx2 s[4:5], s[4:5], 0x0
	v_and_b32_e32 v14, 7, v0
	v_lshrrev_b32_e32 v1, 3, v0
	v_lshlrev_b32_e32 v0, 2, v14
	v_or_b32_e32 v8, -8, v14
	v_lshl_or_b32 v9, v1, 6, v0
	s_mov_b64 s[34:35], 0
	s_waitcnt lgkmcnt(0)
	v_mov_b32_e32 v0, s5
	v_mov_b32_e32 v2, 0
	;; [unrolled: 1-line block ×4, first 2 shown]
.LBB4_7:                                ; =>This Inner Loop Header: Depth=1
	v_add_co_u32_e32 v4, vcc, 8, v4
	s_xor_b64 s[44:45], vcc, -1
	s_and_b64 s[44:45], exec, s[44:45]
	ds_write2st64_b32 v3, v2, v0 offset1:8
	s_or_b64 s[34:35], s[44:45], s[34:35]
	v_add_u32_e32 v3, 32, v3
	s_andn2_b64 exec, exec, s[34:35]
	s_cbranch_execnz .LBB4_7
; %bb.8:
	s_or_b64 exec, exec, s[34:35]
	s_lshl_b32 s6, s6, 5
	s_and_b32 s6, s6, 0x1fffffe0
	v_or_b32_e32 v0, s6, v1
	v_cmp_gt_i32_e32 vcc, s4, v0
	s_waitcnt lgkmcnt(0)
	s_and_saveexec_b64 s[6:7], vcc
	s_cbranch_execz .LBB4_52
; %bb.9:
	s_cmp_eq_u64 s[42:43], 0
	s_cbranch_scc1 .LBB4_11
; %bb.10:
	s_load_dword s4, s[40:41], 0x0
	v_mov_b32_e32 v4, s43
	s_waitcnt lgkmcnt(0)
	v_add_u32_e32 v2, s4, v0
	v_ashrrev_i32_e32 v3, 31, v2
	v_lshlrev_b64 v[2:3], 2, v[2:3]
	v_add_co_u32_e32 v2, vcc, s42, v2
	v_addc_co_u32_e32 v3, vcc, v4, v3, vcc
	global_load_dword v0, v[2:3], off
.LBB4_11:
	v_lshlrev_b32_e32 v12, 6, v1
	s_waitcnt vmcnt(0)
	v_ashrrev_i32_e32 v1, 31, v0
	v_or_b32_e32 v10, 0x800, v12
	s_andn2_b64 vcc, exec, s[2:3]
	v_lshlrev_b64 v[0:1], 2, v[0:1]
	s_cbranch_vccnz .LBB4_31
; %bb.12:
	v_mov_b32_e32 v3, s17
	v_add_co_u32_e32 v2, vcc, s16, v0
	v_addc_co_u32_e32 v3, vcc, v3, v1, vcc
	global_load_dwordx2 v[2:3], v[2:3], off
	v_subrev_u32_e32 v4, s24, v14
	s_waitcnt vmcnt(0)
	v_subrev_u32_e32 v15, s24, v3
	v_add_u32_e32 v2, v2, v4
	v_cmp_lt_i32_e32 vcc, v2, v15
	s_and_saveexec_b64 s[2:3], vcc
	s_cbranch_execz .LBB4_30
; %bb.13:
	s_mov_b64 s[6:7], 0
	v_mov_b32_e32 v16, s19
	v_mov_b32_e32 v17, s23
	s_branch .LBB4_15
.LBB4_14:                               ;   in Loop: Header=BB4_15 Depth=1
	s_or_b64 exec, exec, s[16:17]
	v_add_u32_e32 v2, 8, v2
	v_cmp_ge_i32_e32 vcc, v2, v15
	s_or_b64 s[6:7], vcc, s[6:7]
	s_andn2_b64 exec, exec, s[6:7]
	s_cbranch_execz .LBB4_30
.LBB4_15:                               ; =>This Loop Header: Depth=1
                                        ;     Child Loop BB4_18 Depth 2
                                        ;       Child Loop BB4_20 Depth 3
	v_ashrrev_i32_e32 v3, 31, v2
	v_lshlrev_b64 v[4:5], 2, v[2:3]
	v_add_co_u32_e32 v6, vcc, s18, v4
	v_addc_co_u32_e32 v7, vcc, v16, v5, vcc
	global_load_dword v3, v[6:7], off
	s_waitcnt vmcnt(0)
	v_subrev_u32_e32 v6, s24, v3
	v_ashrrev_i32_e32 v7, 31, v6
	v_lshlrev_b64 v[6:7], 2, v[6:7]
	v_add_co_u32_e32 v6, vcc, s22, v6
	v_addc_co_u32_e32 v7, vcc, v17, v7, vcc
	global_load_dwordx2 v[6:7], v[6:7], off
	s_waitcnt vmcnt(0)
	v_cmp_lt_i32_e32 vcc, v6, v7
	s_and_saveexec_b64 s[16:17], vcc
	s_cbranch_execz .LBB4_14
; %bb.16:                               ;   in Loop: Header=BB4_15 Depth=1
	v_mov_b32_e32 v3, s21
	v_add_co_u32_e32 v4, vcc, s20, v4
	v_addc_co_u32_e32 v5, vcc, v3, v5, vcc
	global_load_dword v5, v[4:5], off
	v_subrev_u32_e32 v3, s25, v7
	v_subrev_u32_e32 v4, s25, v6
	s_mov_b64 s[34:35], 0
	s_waitcnt vmcnt(0)
	v_mul_f32_e32 v6, v13, v5
	s_branch .LBB4_18
.LBB4_17:                               ;   in Loop: Header=BB4_18 Depth=2
	s_or_b64 exec, exec, s[40:41]
	v_add_u32_e32 v4, 1, v4
	v_cmp_ge_i32_e32 vcc, v4, v3
	s_or_b64 s[34:35], vcc, s[34:35]
	s_andn2_b64 exec, exec, s[34:35]
	s_cbranch_execz .LBB4_14
.LBB4_18:                               ;   Parent Loop BB4_15 Depth=1
                                        ; =>  This Loop Header: Depth=2
                                        ;       Child Loop BB4_20 Depth 3
	v_ashrrev_i32_e32 v5, 31, v4
	v_lshlrev_b64 v[18:19], 2, v[4:5]
	v_mov_b32_e32 v5, s37
	v_add_co_u32_e32 v20, vcc, s36, v18
	v_addc_co_u32_e32 v21, vcc, v5, v19, vcc
	global_load_dword v5, v[20:21], off
	v_mov_b32_e32 v7, s39
	v_add_co_u32_e32 v18, vcc, s38, v18
	v_addc_co_u32_e32 v19, vcc, v7, v19, vcc
	global_load_dword v7, v[18:19], off
	s_mov_b64 s[40:41], 0
	s_waitcnt vmcnt(1)
	v_subrev_u32_e32 v5, s25, v5
	v_lshl_add_u32 v18, v5, 3, v5
	v_and_b32_e32 v18, 15, v18
	s_waitcnt vmcnt(0)
	v_mul_f32_e32 v7, v6, v7
	s_branch .LBB4_20
.LBB4_19:                               ;   in Loop: Header=BB4_20 Depth=3
	s_or_b64 exec, exec, s[42:43]
	s_xor_b64 s[42:43], s[44:45], -1
	s_and_b64 s[42:43], exec, s[42:43]
	s_or_b64 s[40:41], s[42:43], s[40:41]
	s_andn2_b64 exec, exec, s[40:41]
	s_cbranch_execz .LBB4_17
.LBB4_20:                               ;   Parent Loop BB4_15 Depth=1
                                        ;     Parent Loop BB4_18 Depth=2
                                        ; =>    This Inner Loop Header: Depth=3
	v_lshl_add_u32 v19, v18, 2, v10
	ds_read_b32 v20, v19
                                        ; implicit-def: $sgpr44_sgpr45
	s_waitcnt lgkmcnt(0)
	v_cmp_ne_u32_e32 vcc, v20, v5
	s_and_saveexec_b64 s[42:43], vcc
	s_xor_b64 s[42:43], exec, s[42:43]
	s_cbranch_execz .LBB4_28
; %bb.21:                               ;   in Loop: Header=BB4_20 Depth=3
	v_cmp_ne_u32_e32 vcc, s5, v20
                                        ; implicit-def: $sgpr44_sgpr45
	s_and_saveexec_b64 s[46:47], vcc
	s_xor_b64 s[46:47], exec, s[46:47]
; %bb.22:                               ;   in Loop: Header=BB4_20 Depth=3
	v_add_u32_e32 v18, 1, v18
	v_and_b32_e32 v18, 15, v18
	s_mov_b64 s[44:45], -1
                                        ; implicit-def: $vgpr19
; %bb.23:                               ;   in Loop: Header=BB4_20 Depth=3
	s_andn2_saveexec_b64 s[46:47], s[46:47]
	s_cbranch_execz .LBB4_27
; %bb.24:                               ;   in Loop: Header=BB4_20 Depth=3
	v_mov_b32_e32 v20, s5
	ds_cmpst_rtn_b32 v19, v19, v20, v5
	s_mov_b64 s[48:49], -1
	s_waitcnt lgkmcnt(0)
	v_cmp_eq_u32_e32 vcc, s5, v19
	s_and_saveexec_b64 s[50:51], vcc
	s_cbranch_execz .LBB4_26
; %bb.25:                               ;   in Loop: Header=BB4_20 Depth=3
	v_lshl_add_u32 v19, v18, 2, v12
	ds_add_f32 v19, v7
	s_xor_b64 s[48:49], exec, -1
.LBB4_26:                               ;   in Loop: Header=BB4_20 Depth=3
	s_or_b64 exec, exec, s[50:51]
	s_andn2_b64 s[44:45], s[44:45], exec
	s_and_b64 s[48:49], s[48:49], exec
	s_or_b64 s[44:45], s[44:45], s[48:49]
.LBB4_27:                               ;   in Loop: Header=BB4_20 Depth=3
	s_or_b64 exec, exec, s[46:47]
	s_and_b64 s[44:45], s[44:45], exec
.LBB4_28:                               ;   in Loop: Header=BB4_20 Depth=3
	s_andn2_saveexec_b64 s[42:43], s[42:43]
	s_cbranch_execz .LBB4_19
; %bb.29:                               ;   in Loop: Header=BB4_20 Depth=3
	v_lshl_add_u32 v19, v18, 2, v12
	ds_add_f32 v19, v7
	s_andn2_b64 s[44:45], s[44:45], exec
	s_branch .LBB4_19
.LBB4_30:
	s_or_b64 exec, exec, s[2:3]
.LBB4_31:
	s_andn2_b64 vcc, exec, s[0:1]
	s_cbranch_vccnz .LBB4_48
; %bb.32:
	v_mov_b32_e32 v3, s9
	v_add_co_u32_e32 v2, vcc, s8, v0
	v_addc_co_u32_e32 v3, vcc, v3, v1, vcc
	global_load_dwordx2 v[2:3], v[2:3], off
	v_subrev_u32_e32 v5, s27, v14
	s_waitcnt vmcnt(0)
	v_subrev_u32_e32 v4, s27, v3
	v_add_u32_e32 v2, v2, v5
	v_cmp_lt_i32_e32 vcc, v2, v4
	s_and_saveexec_b64 s[0:1], vcc
	s_cbranch_execz .LBB4_47
; %bb.33:
	s_mov_b64 s[2:3], 0
	v_mov_b32_e32 v5, s11
	v_mov_b32_e32 v6, s13
	s_branch .LBB4_35
.LBB4_34:                               ;   in Loop: Header=BB4_35 Depth=1
	s_or_b64 exec, exec, s[6:7]
	v_add_u32_e32 v2, 8, v2
	v_cmp_ge_i32_e32 vcc, v2, v4
	s_or_b64 s[2:3], vcc, s[2:3]
	s_andn2_b64 exec, exec, s[2:3]
	s_cbranch_execz .LBB4_47
.LBB4_35:                               ; =>This Loop Header: Depth=1
                                        ;     Child Loop BB4_37 Depth 2
	v_ashrrev_i32_e32 v3, 31, v2
	v_lshlrev_b64 v[14:15], 2, v[2:3]
	v_add_co_u32_e32 v16, vcc, s10, v14
	v_addc_co_u32_e32 v17, vcc, v5, v15, vcc
	global_load_dword v3, v[16:17], off
	v_add_co_u32_e32 v14, vcc, s12, v14
	v_addc_co_u32_e32 v15, vcc, v6, v15, vcc
	global_load_dword v7, v[14:15], off
	s_mov_b64 s[6:7], 0
	s_waitcnt vmcnt(1)
	v_subrev_u32_e32 v3, s27, v3
	v_lshl_add_u32 v13, v3, 3, v3
	v_and_b32_e32 v13, 15, v13
	s_waitcnt vmcnt(0)
	v_mul_f32_e32 v7, v11, v7
	s_branch .LBB4_37
.LBB4_36:                               ;   in Loop: Header=BB4_37 Depth=2
	s_or_b64 exec, exec, s[8:9]
	s_xor_b64 s[8:9], s[16:17], -1
	s_and_b64 s[8:9], exec, s[8:9]
	s_or_b64 s[6:7], s[8:9], s[6:7]
	s_andn2_b64 exec, exec, s[6:7]
	s_cbranch_execz .LBB4_34
.LBB4_37:                               ;   Parent Loop BB4_35 Depth=1
                                        ; =>  This Inner Loop Header: Depth=2
	v_lshl_add_u32 v14, v13, 2, v10
	ds_read_b32 v15, v14
                                        ; implicit-def: $sgpr16_sgpr17
	s_waitcnt lgkmcnt(0)
	v_cmp_ne_u32_e32 vcc, v15, v3
	s_and_saveexec_b64 s[8:9], vcc
	s_xor_b64 s[8:9], exec, s[8:9]
	s_cbranch_execz .LBB4_45
; %bb.38:                               ;   in Loop: Header=BB4_37 Depth=2
	v_cmp_ne_u32_e32 vcc, s5, v15
                                        ; implicit-def: $sgpr16_sgpr17
	s_and_saveexec_b64 s[18:19], vcc
	s_xor_b64 s[18:19], exec, s[18:19]
; %bb.39:                               ;   in Loop: Header=BB4_37 Depth=2
	v_add_u32_e32 v13, 1, v13
	v_and_b32_e32 v13, 15, v13
	s_mov_b64 s[16:17], -1
                                        ; implicit-def: $vgpr14
; %bb.40:                               ;   in Loop: Header=BB4_37 Depth=2
	s_andn2_saveexec_b64 s[18:19], s[18:19]
	s_cbranch_execz .LBB4_44
; %bb.41:                               ;   in Loop: Header=BB4_37 Depth=2
	v_mov_b32_e32 v15, s5
	ds_cmpst_rtn_b32 v14, v14, v15, v3
	s_mov_b64 s[20:21], -1
	s_waitcnt lgkmcnt(0)
	v_cmp_eq_u32_e32 vcc, s5, v14
	s_and_saveexec_b64 s[22:23], vcc
	s_cbranch_execz .LBB4_43
; %bb.42:                               ;   in Loop: Header=BB4_37 Depth=2
	v_lshl_add_u32 v14, v13, 2, v12
	ds_add_f32 v14, v7
	s_xor_b64 s[20:21], exec, -1
.LBB4_43:                               ;   in Loop: Header=BB4_37 Depth=2
	s_or_b64 exec, exec, s[22:23]
	s_andn2_b64 s[16:17], s[16:17], exec
	s_and_b64 s[20:21], s[20:21], exec
	s_or_b64 s[16:17], s[16:17], s[20:21]
.LBB4_44:                               ;   in Loop: Header=BB4_37 Depth=2
	s_or_b64 exec, exec, s[18:19]
	s_and_b64 s[16:17], s[16:17], exec
.LBB4_45:                               ;   in Loop: Header=BB4_37 Depth=2
	s_andn2_saveexec_b64 s[8:9], s[8:9]
	s_cbranch_execz .LBB4_36
; %bb.46:                               ;   in Loop: Header=BB4_37 Depth=2
	v_lshl_add_u32 v14, v13, 2, v12
	ds_add_f32 v14, v7
	s_andn2_b64 s[16:17], s[16:17], exec
	s_branch .LBB4_36
.LBB4_47:
	s_or_b64 exec, exec, s[0:1]
.LBB4_48:
	v_mov_b32_e32 v2, s15
	v_add_co_u32_e32 v0, vcc, s14, v0
	v_addc_co_u32_e32 v1, vcc, v2, v1, vcc
	s_waitcnt lgkmcnt(0)
	global_load_dword v0, v[0:1], off
	s_mov_b64 s[0:1], 0
	s_waitcnt vmcnt(0)
	v_subrev_u32_e32 v0, s26, v0
	s_branch .LBB4_50
.LBB4_49:                               ;   in Loop: Header=BB4_50 Depth=1
	s_or_b64 exec, exec, s[2:3]
	v_add_co_u32_e32 v8, vcc, 8, v8
	s_xor_b64 s[2:3], vcc, -1
	s_and_b64 s[2:3], exec, s[2:3]
	s_or_b64 s[0:1], s[2:3], s[0:1]
	v_add_u32_e32 v9, 32, v9
	s_andn2_b64 exec, exec, s[0:1]
	s_cbranch_execz .LBB4_52
.LBB4_50:                               ; =>This Inner Loop Header: Depth=1
	ds_read_b32 v1, v9 offset:2048
	s_waitcnt lgkmcnt(0)
	v_cmp_gt_i32_e32 vcc, s5, v1
	s_and_saveexec_b64 s[2:3], vcc
	s_cbranch_execz .LBB4_49
; %bb.51:                               ;   in Loop: Header=BB4_50 Depth=1
	ds_read_b128 v[2:5], v10
	ds_read_b128 v[12:15], v10 offset:16
	ds_read_b128 v[16:19], v10 offset:32
	;; [unrolled: 1-line block ×3, first 2 shown]
	s_waitcnt lgkmcnt(3)
	v_cmp_gt_i32_e32 vcc, v1, v2
	v_cndmask_b32_e64 v2, 0, 1, vcc
	v_cmp_gt_i32_e32 vcc, v1, v3
	v_addc_co_u32_e32 v2, vcc, v0, v2, vcc
	v_cmp_gt_i32_e32 vcc, v1, v4
	v_cndmask_b32_e64 v3, 0, 1, vcc
	v_cmp_gt_i32_e32 vcc, v1, v5
	v_addc_co_u32_e32 v2, vcc, v2, v3, vcc
	s_waitcnt lgkmcnt(2)
	v_cmp_gt_i32_e32 vcc, v1, v12
	v_cndmask_b32_e64 v3, 0, 1, vcc
	v_cmp_gt_i32_e32 vcc, v1, v13
	v_addc_co_u32_e32 v2, vcc, v2, v3, vcc
	v_cmp_gt_i32_e32 vcc, v1, v14
	v_cndmask_b32_e64 v3, 0, 1, vcc
	v_cmp_gt_i32_e32 vcc, v1, v15
	v_addc_co_u32_e32 v2, vcc, v2, v3, vcc
	s_waitcnt lgkmcnt(1)
	v_cmp_gt_i32_e32 vcc, v1, v16
	v_cndmask_b32_e64 v3, 0, 1, vcc
	v_cmp_gt_i32_e32 vcc, v1, v17
	v_addc_co_u32_e32 v2, vcc, v2, v3, vcc
	v_cmp_gt_i32_e32 vcc, v1, v18
	v_cndmask_b32_e64 v3, 0, 1, vcc
	v_cmp_gt_i32_e32 vcc, v1, v19
	v_addc_co_u32_e32 v2, vcc, v2, v3, vcc
	s_waitcnt lgkmcnt(0)
	v_cmp_gt_i32_e32 vcc, v1, v20
	v_cndmask_b32_e64 v3, 0, 1, vcc
	v_cmp_gt_i32_e32 vcc, v1, v21
	v_addc_co_u32_e32 v2, vcc, v2, v3, vcc
	v_cmp_gt_i32_e32 vcc, v1, v22
	v_cndmask_b32_e64 v3, 0, 1, vcc
	v_cmp_gt_i32_e32 vcc, v1, v23
	v_addc_co_u32_e32 v2, vcc, v2, v3, vcc
	v_ashrrev_i32_e32 v3, 31, v2
	v_lshlrev_b64 v[2:3], 2, v[2:3]
	v_mov_b32_e32 v5, s29
	v_add_co_u32_e32 v4, vcc, s28, v2
	v_add_u32_e32 v1, s26, v1
	v_addc_co_u32_e32 v5, vcc, v5, v3, vcc
	global_store_dword v[4:5], v1, off
	ds_read_b32 v1, v9
	v_mov_b32_e32 v4, s31
	v_add_co_u32_e32 v2, vcc, s30, v2
	v_addc_co_u32_e32 v3, vcc, v4, v3, vcc
	s_waitcnt lgkmcnt(0)
	global_store_dword v[2:3], v1, off
	s_branch .LBB4_49
.LBB4_52:
	s_endpgm
	.section	.rodata,"a",@progbits
	.p2align	6, 0x0
	.amdhsa_kernel _ZN9rocsparseL23csrgemm_fill_wf_per_rowILj256ELj8ELj16ELj137EiifEEvT4_S1_PKS1_S3_NS_24const_host_device_scalarIT5_EEPKT3_S3_PKS5_S9_S3_SB_S6_S9_S3_SB_S9_PS1_PS5_21rocsparse_index_base_SE_SE_SE_bbb
		.amdhsa_group_segment_fixed_size 4096
		.amdhsa_private_segment_fixed_size 0
		.amdhsa_kernarg_size 156
		.amdhsa_user_sgpr_count 6
		.amdhsa_user_sgpr_private_segment_buffer 1
		.amdhsa_user_sgpr_dispatch_ptr 0
		.amdhsa_user_sgpr_queue_ptr 0
		.amdhsa_user_sgpr_kernarg_segment_ptr 1
		.amdhsa_user_sgpr_dispatch_id 0
		.amdhsa_user_sgpr_flat_scratch_init 0
		.amdhsa_user_sgpr_kernarg_preload_length 0
		.amdhsa_user_sgpr_kernarg_preload_offset 0
		.amdhsa_user_sgpr_private_segment_size 0
		.amdhsa_uses_dynamic_stack 0
		.amdhsa_system_sgpr_private_segment_wavefront_offset 0
		.amdhsa_system_sgpr_workgroup_id_x 1
		.amdhsa_system_sgpr_workgroup_id_y 0
		.amdhsa_system_sgpr_workgroup_id_z 0
		.amdhsa_system_sgpr_workgroup_info 0
		.amdhsa_system_vgpr_workitem_id 0
		.amdhsa_next_free_vgpr 24
		.amdhsa_next_free_sgpr 52
		.amdhsa_accum_offset 24
		.amdhsa_reserve_vcc 1
		.amdhsa_reserve_flat_scratch 0
		.amdhsa_float_round_mode_32 0
		.amdhsa_float_round_mode_16_64 0
		.amdhsa_float_denorm_mode_32 3
		.amdhsa_float_denorm_mode_16_64 3
		.amdhsa_dx10_clamp 1
		.amdhsa_ieee_mode 1
		.amdhsa_fp16_overflow 0
		.amdhsa_tg_split 0
		.amdhsa_exception_fp_ieee_invalid_op 0
		.amdhsa_exception_fp_denorm_src 0
		.amdhsa_exception_fp_ieee_div_zero 0
		.amdhsa_exception_fp_ieee_overflow 0
		.amdhsa_exception_fp_ieee_underflow 0
		.amdhsa_exception_fp_ieee_inexact 0
		.amdhsa_exception_int_div_zero 0
	.end_amdhsa_kernel
	.section	.text._ZN9rocsparseL23csrgemm_fill_wf_per_rowILj256ELj8ELj16ELj137EiifEEvT4_S1_PKS1_S3_NS_24const_host_device_scalarIT5_EEPKT3_S3_PKS5_S9_S3_SB_S6_S9_S3_SB_S9_PS1_PS5_21rocsparse_index_base_SE_SE_SE_bbb,"axG",@progbits,_ZN9rocsparseL23csrgemm_fill_wf_per_rowILj256ELj8ELj16ELj137EiifEEvT4_S1_PKS1_S3_NS_24const_host_device_scalarIT5_EEPKT3_S3_PKS5_S9_S3_SB_S6_S9_S3_SB_S9_PS1_PS5_21rocsparse_index_base_SE_SE_SE_bbb,comdat
.Lfunc_end4:
	.size	_ZN9rocsparseL23csrgemm_fill_wf_per_rowILj256ELj8ELj16ELj137EiifEEvT4_S1_PKS1_S3_NS_24const_host_device_scalarIT5_EEPKT3_S3_PKS5_S9_S3_SB_S6_S9_S3_SB_S9_PS1_PS5_21rocsparse_index_base_SE_SE_SE_bbb, .Lfunc_end4-_ZN9rocsparseL23csrgemm_fill_wf_per_rowILj256ELj8ELj16ELj137EiifEEvT4_S1_PKS1_S3_NS_24const_host_device_scalarIT5_EEPKT3_S3_PKS5_S9_S3_SB_S6_S9_S3_SB_S9_PS1_PS5_21rocsparse_index_base_SE_SE_SE_bbb
                                        ; -- End function
	.section	.AMDGPU.csdata,"",@progbits
; Kernel info:
; codeLenInByte = 1704
; NumSgprs: 56
; NumVgprs: 24
; NumAgprs: 0
; TotalNumVgprs: 24
; ScratchSize: 0
; MemoryBound: 0
; FloatMode: 240
; IeeeMode: 1
; LDSByteSize: 4096 bytes/workgroup (compile time only)
; SGPRBlocks: 6
; VGPRBlocks: 2
; NumSGPRsForWavesPerEU: 56
; NumVGPRsForWavesPerEU: 24
; AccumOffset: 24
; Occupancy: 8
; WaveLimiterHint : 1
; COMPUTE_PGM_RSRC2:SCRATCH_EN: 0
; COMPUTE_PGM_RSRC2:USER_SGPR: 6
; COMPUTE_PGM_RSRC2:TRAP_HANDLER: 0
; COMPUTE_PGM_RSRC2:TGID_X_EN: 1
; COMPUTE_PGM_RSRC2:TGID_Y_EN: 0
; COMPUTE_PGM_RSRC2:TGID_Z_EN: 0
; COMPUTE_PGM_RSRC2:TIDIG_COMP_CNT: 0
; COMPUTE_PGM_RSRC3_GFX90A:ACCUM_OFFSET: 5
; COMPUTE_PGM_RSRC3_GFX90A:TG_SPLIT: 0
	.section	.text._ZN9rocsparseL23csrgemm_fill_wf_per_rowILj256ELj16ELj32ELj137EiifEEvT4_S1_PKS1_S3_NS_24const_host_device_scalarIT5_EEPKT3_S3_PKS5_S9_S3_SB_S6_S9_S3_SB_S9_PS1_PS5_21rocsparse_index_base_SE_SE_SE_bbb,"axG",@progbits,_ZN9rocsparseL23csrgemm_fill_wf_per_rowILj256ELj16ELj32ELj137EiifEEvT4_S1_PKS1_S3_NS_24const_host_device_scalarIT5_EEPKT3_S3_PKS5_S9_S3_SB_S6_S9_S3_SB_S9_PS1_PS5_21rocsparse_index_base_SE_SE_SE_bbb,comdat
	.globl	_ZN9rocsparseL23csrgemm_fill_wf_per_rowILj256ELj16ELj32ELj137EiifEEvT4_S1_PKS1_S3_NS_24const_host_device_scalarIT5_EEPKT3_S3_PKS5_S9_S3_SB_S6_S9_S3_SB_S9_PS1_PS5_21rocsparse_index_base_SE_SE_SE_bbb ; -- Begin function _ZN9rocsparseL23csrgemm_fill_wf_per_rowILj256ELj16ELj32ELj137EiifEEvT4_S1_PKS1_S3_NS_24const_host_device_scalarIT5_EEPKT3_S3_PKS5_S9_S3_SB_S6_S9_S3_SB_S9_PS1_PS5_21rocsparse_index_base_SE_SE_SE_bbb
	.p2align	8
	.type	_ZN9rocsparseL23csrgemm_fill_wf_per_rowILj256ELj16ELj32ELj137EiifEEvT4_S1_PKS1_S3_NS_24const_host_device_scalarIT5_EEPKT3_S3_PKS5_S9_S3_SB_S6_S9_S3_SB_S9_PS1_PS5_21rocsparse_index_base_SE_SE_SE_bbb,@function
_ZN9rocsparseL23csrgemm_fill_wf_per_rowILj256ELj16ELj32ELj137EiifEEvT4_S1_PKS1_S3_NS_24const_host_device_scalarIT5_EEPKT3_S3_PKS5_S9_S3_SB_S6_S9_S3_SB_S9_PS1_PS5_21rocsparse_index_base_SE_SE_SE_bbb: ; @_ZN9rocsparseL23csrgemm_fill_wf_per_rowILj256ELj16ELj32ELj137EiifEEvT4_S1_PKS1_S3_NS_24const_host_device_scalarIT5_EEPKT3_S3_PKS5_S9_S3_SB_S6_S9_S3_SB_S9_PS1_PS5_21rocsparse_index_base_SE_SE_SE_bbb
; %bb.0:
	s_load_dword s7, s[4:5], 0x98
	s_load_dwordx4 s[24:27], s[4:5], 0x88
	s_load_dwordx2 s[0:1], s[4:5], 0x18
	s_load_dwordx2 s[34:35], s[4:5], 0x50
	s_waitcnt lgkmcnt(0)
	s_bitcmp1_b32 s7, 0
	s_cselect_b64 s[2:3], -1, 0
	s_bitcmp1_b32 s7, 16
	s_cselect_b64 s[44:45], -1, 0
	s_xor_b64 s[8:9], s[2:3], -1
	s_or_b64 s[8:9], s[8:9], s[44:45]
	s_and_b64 vcc, exec, s[8:9]
	s_cbranch_vccnz .LBB5_2
; %bb.1:
	s_load_dword s0, s[0:1], 0x0
	s_waitcnt lgkmcnt(0)
	v_mov_b32_e32 v13, s0
	s_branch .LBB5_3
.LBB5_2:
	v_mov_b32_e32 v1, s0
	v_cndmask_b32_e64 v13, 0, v1, s[2:3]
.LBB5_3:
	s_load_dwordx4 s[28:31], s[4:5], 0x78
	s_load_dwordx8 s[8:15], s[4:5], 0x58
	s_load_dwordx4 s[36:39], s[4:5], 0x40
	s_load_dwordx4 s[40:43], s[4:5], 0x8
	s_load_dwordx8 s[16:23], s[4:5], 0x20
	s_bitcmp1_b32 s7, 8
	s_cselect_b64 s[0:1], -1, 0
	s_xor_b64 s[46:47], s[0:1], -1
	s_or_b64 s[44:45], s[46:47], s[44:45]
	s_and_b64 vcc, exec, s[44:45]
	s_cbranch_vccnz .LBB5_5
; %bb.4:
	s_load_dword s7, s[34:35], 0x0
	s_waitcnt lgkmcnt(0)
	v_mov_b32_e32 v11, s7
	s_branch .LBB5_6
.LBB5_5:
	v_mov_b32_e32 v1, s34
	v_cndmask_b32_e64 v11, 0, v1, s[0:1]
.LBB5_6:
	s_load_dwordx2 s[4:5], s[4:5], 0x0
	v_and_b32_e32 v14, 15, v0
	v_lshrrev_b32_e32 v1, 4, v0
	v_lshlrev_b32_e32 v0, 2, v14
	v_or_b32_e32 v8, -16, v14
	v_lshl_or_b32 v9, v1, 7, v0
	s_mov_b64 s[34:35], 0
	s_waitcnt lgkmcnt(0)
	v_mov_b32_e32 v0, s5
	v_mov_b32_e32 v2, 0
	;; [unrolled: 1-line block ×4, first 2 shown]
.LBB5_7:                                ; =>This Inner Loop Header: Depth=1
	v_add_co_u32_e32 v4, vcc, 16, v4
	s_xor_b64 s[44:45], vcc, -1
	s_and_b64 s[44:45], exec, s[44:45]
	ds_write2st64_b32 v3, v2, v0 offset1:8
	s_or_b64 s[34:35], s[44:45], s[34:35]
	v_add_u32_e32 v3, 64, v3
	s_andn2_b64 exec, exec, s[34:35]
	s_cbranch_execnz .LBB5_7
; %bb.8:
	s_or_b64 exec, exec, s[34:35]
	s_lshl_b32 s6, s6, 4
	s_and_b32 s6, s6, 0xffffff0
	v_or_b32_e32 v0, s6, v1
	v_cmp_gt_i32_e32 vcc, s4, v0
	s_waitcnt lgkmcnt(0)
	s_and_saveexec_b64 s[6:7], vcc
	s_cbranch_execz .LBB5_52
; %bb.9:
	s_cmp_eq_u64 s[42:43], 0
	s_cbranch_scc1 .LBB5_11
; %bb.10:
	s_load_dword s4, s[40:41], 0x0
	v_mov_b32_e32 v4, s43
	s_waitcnt lgkmcnt(0)
	v_add_u32_e32 v2, s4, v0
	v_ashrrev_i32_e32 v3, 31, v2
	v_lshlrev_b64 v[2:3], 2, v[2:3]
	v_add_co_u32_e32 v2, vcc, s42, v2
	v_addc_co_u32_e32 v3, vcc, v4, v3, vcc
	global_load_dword v0, v[2:3], off
.LBB5_11:
	v_lshlrev_b32_e32 v12, 7, v1
	s_waitcnt vmcnt(0)
	v_ashrrev_i32_e32 v1, 31, v0
	v_or_b32_e32 v10, 0x800, v12
	s_andn2_b64 vcc, exec, s[2:3]
	v_lshlrev_b64 v[0:1], 2, v[0:1]
	s_cbranch_vccnz .LBB5_31
; %bb.12:
	v_mov_b32_e32 v3, s17
	v_add_co_u32_e32 v2, vcc, s16, v0
	v_addc_co_u32_e32 v3, vcc, v3, v1, vcc
	global_load_dwordx2 v[2:3], v[2:3], off
	v_subrev_u32_e32 v4, s24, v14
	s_waitcnt vmcnt(0)
	v_subrev_u32_e32 v15, s24, v3
	v_add_u32_e32 v2, v2, v4
	v_cmp_lt_i32_e32 vcc, v2, v15
	s_and_saveexec_b64 s[2:3], vcc
	s_cbranch_execz .LBB5_30
; %bb.13:
	s_mov_b64 s[6:7], 0
	v_mov_b32_e32 v16, s19
	v_mov_b32_e32 v17, s23
	s_branch .LBB5_15
.LBB5_14:                               ;   in Loop: Header=BB5_15 Depth=1
	s_or_b64 exec, exec, s[16:17]
	v_add_u32_e32 v2, 16, v2
	v_cmp_ge_i32_e32 vcc, v2, v15
	s_or_b64 s[6:7], vcc, s[6:7]
	s_andn2_b64 exec, exec, s[6:7]
	s_cbranch_execz .LBB5_30
.LBB5_15:                               ; =>This Loop Header: Depth=1
                                        ;     Child Loop BB5_18 Depth 2
                                        ;       Child Loop BB5_20 Depth 3
	v_ashrrev_i32_e32 v3, 31, v2
	v_lshlrev_b64 v[4:5], 2, v[2:3]
	v_add_co_u32_e32 v6, vcc, s18, v4
	v_addc_co_u32_e32 v7, vcc, v16, v5, vcc
	global_load_dword v3, v[6:7], off
	s_waitcnt vmcnt(0)
	v_subrev_u32_e32 v6, s24, v3
	v_ashrrev_i32_e32 v7, 31, v6
	v_lshlrev_b64 v[6:7], 2, v[6:7]
	v_add_co_u32_e32 v6, vcc, s22, v6
	v_addc_co_u32_e32 v7, vcc, v17, v7, vcc
	global_load_dwordx2 v[6:7], v[6:7], off
	s_waitcnt vmcnt(0)
	v_cmp_lt_i32_e32 vcc, v6, v7
	s_and_saveexec_b64 s[16:17], vcc
	s_cbranch_execz .LBB5_14
; %bb.16:                               ;   in Loop: Header=BB5_15 Depth=1
	v_mov_b32_e32 v3, s21
	v_add_co_u32_e32 v4, vcc, s20, v4
	v_addc_co_u32_e32 v5, vcc, v3, v5, vcc
	global_load_dword v5, v[4:5], off
	v_subrev_u32_e32 v3, s25, v7
	v_subrev_u32_e32 v4, s25, v6
	s_mov_b64 s[34:35], 0
	s_waitcnt vmcnt(0)
	v_mul_f32_e32 v6, v13, v5
	s_branch .LBB5_18
.LBB5_17:                               ;   in Loop: Header=BB5_18 Depth=2
	s_or_b64 exec, exec, s[40:41]
	v_add_u32_e32 v4, 1, v4
	v_cmp_ge_i32_e32 vcc, v4, v3
	s_or_b64 s[34:35], vcc, s[34:35]
	s_andn2_b64 exec, exec, s[34:35]
	s_cbranch_execz .LBB5_14
.LBB5_18:                               ;   Parent Loop BB5_15 Depth=1
                                        ; =>  This Loop Header: Depth=2
                                        ;       Child Loop BB5_20 Depth 3
	v_ashrrev_i32_e32 v5, 31, v4
	v_lshlrev_b64 v[18:19], 2, v[4:5]
	v_mov_b32_e32 v5, s37
	v_add_co_u32_e32 v20, vcc, s36, v18
	v_addc_co_u32_e32 v21, vcc, v5, v19, vcc
	global_load_dword v5, v[20:21], off
	v_mov_b32_e32 v7, s39
	v_add_co_u32_e32 v18, vcc, s38, v18
	v_addc_co_u32_e32 v19, vcc, v7, v19, vcc
	global_load_dword v7, v[18:19], off
	s_mov_b64 s[40:41], 0
	s_waitcnt vmcnt(1)
	v_subrev_u32_e32 v5, s25, v5
	v_lshl_add_u32 v18, v5, 3, v5
	v_and_b32_e32 v18, 31, v18
	s_waitcnt vmcnt(0)
	v_mul_f32_e32 v7, v6, v7
	s_branch .LBB5_20
.LBB5_19:                               ;   in Loop: Header=BB5_20 Depth=3
	s_or_b64 exec, exec, s[42:43]
	s_xor_b64 s[42:43], s[44:45], -1
	s_and_b64 s[42:43], exec, s[42:43]
	s_or_b64 s[40:41], s[42:43], s[40:41]
	s_andn2_b64 exec, exec, s[40:41]
	s_cbranch_execz .LBB5_17
.LBB5_20:                               ;   Parent Loop BB5_15 Depth=1
                                        ;     Parent Loop BB5_18 Depth=2
                                        ; =>    This Inner Loop Header: Depth=3
	v_lshl_add_u32 v19, v18, 2, v10
	ds_read_b32 v20, v19
                                        ; implicit-def: $sgpr44_sgpr45
	s_waitcnt lgkmcnt(0)
	v_cmp_ne_u32_e32 vcc, v20, v5
	s_and_saveexec_b64 s[42:43], vcc
	s_xor_b64 s[42:43], exec, s[42:43]
	s_cbranch_execz .LBB5_28
; %bb.21:                               ;   in Loop: Header=BB5_20 Depth=3
	v_cmp_ne_u32_e32 vcc, s5, v20
                                        ; implicit-def: $sgpr44_sgpr45
	s_and_saveexec_b64 s[46:47], vcc
	s_xor_b64 s[46:47], exec, s[46:47]
; %bb.22:                               ;   in Loop: Header=BB5_20 Depth=3
	v_add_u32_e32 v18, 1, v18
	v_and_b32_e32 v18, 31, v18
	s_mov_b64 s[44:45], -1
                                        ; implicit-def: $vgpr19
; %bb.23:                               ;   in Loop: Header=BB5_20 Depth=3
	s_andn2_saveexec_b64 s[46:47], s[46:47]
	s_cbranch_execz .LBB5_27
; %bb.24:                               ;   in Loop: Header=BB5_20 Depth=3
	v_mov_b32_e32 v20, s5
	ds_cmpst_rtn_b32 v19, v19, v20, v5
	s_mov_b64 s[48:49], -1
	s_waitcnt lgkmcnt(0)
	v_cmp_eq_u32_e32 vcc, s5, v19
	s_and_saveexec_b64 s[50:51], vcc
	s_cbranch_execz .LBB5_26
; %bb.25:                               ;   in Loop: Header=BB5_20 Depth=3
	v_lshl_add_u32 v19, v18, 2, v12
	ds_add_f32 v19, v7
	s_xor_b64 s[48:49], exec, -1
.LBB5_26:                               ;   in Loop: Header=BB5_20 Depth=3
	s_or_b64 exec, exec, s[50:51]
	s_andn2_b64 s[44:45], s[44:45], exec
	s_and_b64 s[48:49], s[48:49], exec
	s_or_b64 s[44:45], s[44:45], s[48:49]
.LBB5_27:                               ;   in Loop: Header=BB5_20 Depth=3
	s_or_b64 exec, exec, s[46:47]
	s_and_b64 s[44:45], s[44:45], exec
.LBB5_28:                               ;   in Loop: Header=BB5_20 Depth=3
	s_andn2_saveexec_b64 s[42:43], s[42:43]
	s_cbranch_execz .LBB5_19
; %bb.29:                               ;   in Loop: Header=BB5_20 Depth=3
	v_lshl_add_u32 v19, v18, 2, v12
	ds_add_f32 v19, v7
	s_andn2_b64 s[44:45], s[44:45], exec
	s_branch .LBB5_19
.LBB5_30:
	s_or_b64 exec, exec, s[2:3]
.LBB5_31:
	s_andn2_b64 vcc, exec, s[0:1]
	s_cbranch_vccnz .LBB5_48
; %bb.32:
	v_mov_b32_e32 v3, s9
	v_add_co_u32_e32 v2, vcc, s8, v0
	v_addc_co_u32_e32 v3, vcc, v3, v1, vcc
	global_load_dwordx2 v[2:3], v[2:3], off
	v_subrev_u32_e32 v5, s27, v14
	s_waitcnt vmcnt(0)
	v_subrev_u32_e32 v4, s27, v3
	v_add_u32_e32 v2, v2, v5
	v_cmp_lt_i32_e32 vcc, v2, v4
	s_and_saveexec_b64 s[0:1], vcc
	s_cbranch_execz .LBB5_47
; %bb.33:
	s_mov_b64 s[2:3], 0
	v_mov_b32_e32 v5, s11
	v_mov_b32_e32 v6, s13
	s_branch .LBB5_35
.LBB5_34:                               ;   in Loop: Header=BB5_35 Depth=1
	s_or_b64 exec, exec, s[6:7]
	v_add_u32_e32 v2, 16, v2
	v_cmp_ge_i32_e32 vcc, v2, v4
	s_or_b64 s[2:3], vcc, s[2:3]
	s_andn2_b64 exec, exec, s[2:3]
	s_cbranch_execz .LBB5_47
.LBB5_35:                               ; =>This Loop Header: Depth=1
                                        ;     Child Loop BB5_37 Depth 2
	v_ashrrev_i32_e32 v3, 31, v2
	v_lshlrev_b64 v[14:15], 2, v[2:3]
	v_add_co_u32_e32 v16, vcc, s10, v14
	v_addc_co_u32_e32 v17, vcc, v5, v15, vcc
	global_load_dword v3, v[16:17], off
	v_add_co_u32_e32 v14, vcc, s12, v14
	v_addc_co_u32_e32 v15, vcc, v6, v15, vcc
	global_load_dword v7, v[14:15], off
	s_mov_b64 s[6:7], 0
	s_waitcnt vmcnt(1)
	v_subrev_u32_e32 v3, s27, v3
	v_lshl_add_u32 v13, v3, 3, v3
	v_and_b32_e32 v13, 31, v13
	s_waitcnt vmcnt(0)
	v_mul_f32_e32 v7, v11, v7
	s_branch .LBB5_37
.LBB5_36:                               ;   in Loop: Header=BB5_37 Depth=2
	s_or_b64 exec, exec, s[8:9]
	s_xor_b64 s[8:9], s[16:17], -1
	s_and_b64 s[8:9], exec, s[8:9]
	s_or_b64 s[6:7], s[8:9], s[6:7]
	s_andn2_b64 exec, exec, s[6:7]
	s_cbranch_execz .LBB5_34
.LBB5_37:                               ;   Parent Loop BB5_35 Depth=1
                                        ; =>  This Inner Loop Header: Depth=2
	v_lshl_add_u32 v14, v13, 2, v10
	ds_read_b32 v15, v14
                                        ; implicit-def: $sgpr16_sgpr17
	s_waitcnt lgkmcnt(0)
	v_cmp_ne_u32_e32 vcc, v15, v3
	s_and_saveexec_b64 s[8:9], vcc
	s_xor_b64 s[8:9], exec, s[8:9]
	s_cbranch_execz .LBB5_45
; %bb.38:                               ;   in Loop: Header=BB5_37 Depth=2
	v_cmp_ne_u32_e32 vcc, s5, v15
                                        ; implicit-def: $sgpr16_sgpr17
	s_and_saveexec_b64 s[18:19], vcc
	s_xor_b64 s[18:19], exec, s[18:19]
; %bb.39:                               ;   in Loop: Header=BB5_37 Depth=2
	v_add_u32_e32 v13, 1, v13
	v_and_b32_e32 v13, 31, v13
	s_mov_b64 s[16:17], -1
                                        ; implicit-def: $vgpr14
; %bb.40:                               ;   in Loop: Header=BB5_37 Depth=2
	s_andn2_saveexec_b64 s[18:19], s[18:19]
	s_cbranch_execz .LBB5_44
; %bb.41:                               ;   in Loop: Header=BB5_37 Depth=2
	v_mov_b32_e32 v15, s5
	ds_cmpst_rtn_b32 v14, v14, v15, v3
	s_mov_b64 s[20:21], -1
	s_waitcnt lgkmcnt(0)
	v_cmp_eq_u32_e32 vcc, s5, v14
	s_and_saveexec_b64 s[22:23], vcc
	s_cbranch_execz .LBB5_43
; %bb.42:                               ;   in Loop: Header=BB5_37 Depth=2
	v_lshl_add_u32 v14, v13, 2, v12
	ds_add_f32 v14, v7
	s_xor_b64 s[20:21], exec, -1
.LBB5_43:                               ;   in Loop: Header=BB5_37 Depth=2
	s_or_b64 exec, exec, s[22:23]
	s_andn2_b64 s[16:17], s[16:17], exec
	s_and_b64 s[20:21], s[20:21], exec
	s_or_b64 s[16:17], s[16:17], s[20:21]
.LBB5_44:                               ;   in Loop: Header=BB5_37 Depth=2
	s_or_b64 exec, exec, s[18:19]
	s_and_b64 s[16:17], s[16:17], exec
.LBB5_45:                               ;   in Loop: Header=BB5_37 Depth=2
	s_andn2_saveexec_b64 s[8:9], s[8:9]
	s_cbranch_execz .LBB5_36
; %bb.46:                               ;   in Loop: Header=BB5_37 Depth=2
	v_lshl_add_u32 v14, v13, 2, v12
	ds_add_f32 v14, v7
	s_andn2_b64 s[16:17], s[16:17], exec
	s_branch .LBB5_36
.LBB5_47:
	s_or_b64 exec, exec, s[0:1]
.LBB5_48:
	v_mov_b32_e32 v2, s15
	v_add_co_u32_e32 v0, vcc, s14, v0
	v_addc_co_u32_e32 v1, vcc, v2, v1, vcc
	s_waitcnt lgkmcnt(0)
	global_load_dword v0, v[0:1], off
	s_mov_b64 s[0:1], 0
	s_waitcnt vmcnt(0)
	v_subrev_u32_e32 v0, s26, v0
	s_branch .LBB5_50
.LBB5_49:                               ;   in Loop: Header=BB5_50 Depth=1
	s_or_b64 exec, exec, s[2:3]
	v_add_co_u32_e32 v8, vcc, 16, v8
	s_xor_b64 s[2:3], vcc, -1
	s_and_b64 s[2:3], exec, s[2:3]
	s_or_b64 s[0:1], s[2:3], s[0:1]
	v_add_u32_e32 v9, 64, v9
	s_andn2_b64 exec, exec, s[0:1]
	s_cbranch_execz .LBB5_52
.LBB5_50:                               ; =>This Inner Loop Header: Depth=1
	ds_read_b32 v1, v9 offset:2048
	s_waitcnt lgkmcnt(0)
	v_cmp_gt_i32_e32 vcc, s5, v1
	s_and_saveexec_b64 s[2:3], vcc
	s_cbranch_execz .LBB5_49
; %bb.51:                               ;   in Loop: Header=BB5_50 Depth=1
	ds_read_b128 v[2:5], v10
	ds_read_b128 v[12:15], v10 offset:16
	ds_read_b128 v[16:19], v10 offset:32
	;; [unrolled: 1-line block ×3, first 2 shown]
	s_waitcnt lgkmcnt(3)
	v_cmp_gt_i32_e32 vcc, v1, v2
	v_cndmask_b32_e64 v2, 0, 1, vcc
	v_cmp_gt_i32_e32 vcc, v1, v3
	v_addc_co_u32_e32 v2, vcc, v0, v2, vcc
	v_cmp_gt_i32_e32 vcc, v1, v4
	v_cndmask_b32_e64 v3, 0, 1, vcc
	v_cmp_gt_i32_e32 vcc, v1, v5
	v_addc_co_u32_e32 v2, vcc, v2, v3, vcc
	s_waitcnt lgkmcnt(2)
	v_cmp_gt_i32_e32 vcc, v1, v12
	v_cndmask_b32_e64 v3, 0, 1, vcc
	v_cmp_gt_i32_e32 vcc, v1, v13
	v_addc_co_u32_e32 v2, vcc, v2, v3, vcc
	v_cmp_gt_i32_e32 vcc, v1, v14
	v_cndmask_b32_e64 v3, 0, 1, vcc
	v_cmp_gt_i32_e32 vcc, v1, v15
	v_addc_co_u32_e32 v2, vcc, v2, v3, vcc
	;; [unrolled: 9-line block ×3, first 2 shown]
	s_waitcnt lgkmcnt(0)
	v_cmp_gt_i32_e32 vcc, v1, v20
	v_cndmask_b32_e64 v3, 0, 1, vcc
	v_cmp_gt_i32_e32 vcc, v1, v21
	v_addc_co_u32_e32 v6, vcc, v2, v3, vcc
	ds_read_b128 v[2:5], v10 offset:64
	ds_read_b128 v[12:15], v10 offset:80
	v_cmp_gt_i32_e32 vcc, v1, v22
	v_cndmask_b32_e64 v7, 0, 1, vcc
	v_cmp_gt_i32_e32 vcc, v1, v23
	v_addc_co_u32_e32 v6, vcc, v6, v7, vcc
	s_waitcnt lgkmcnt(1)
	v_cmp_gt_i32_e32 vcc, v1, v2
	v_cndmask_b32_e64 v2, 0, 1, vcc
	v_cmp_gt_i32_e32 vcc, v1, v3
	v_addc_co_u32_e32 v2, vcc, v6, v2, vcc
	v_cmp_gt_i32_e32 vcc, v1, v4
	v_cndmask_b32_e64 v3, 0, 1, vcc
	v_cmp_gt_i32_e32 vcc, v1, v5
	v_addc_co_u32_e32 v2, vcc, v2, v3, vcc
	s_waitcnt lgkmcnt(0)
	v_cmp_gt_i32_e32 vcc, v1, v12
	v_cndmask_b32_e64 v3, 0, 1, vcc
	v_cmp_gt_i32_e32 vcc, v1, v13
	v_addc_co_u32_e32 v6, vcc, v2, v3, vcc
	ds_read_b128 v[2:5], v10 offset:96
	v_cmp_gt_i32_e32 vcc, v1, v14
	v_cndmask_b32_e64 v7, 0, 1, vcc
	v_cmp_gt_i32_e32 vcc, v1, v15
	ds_read_b128 v[12:15], v10 offset:112
	v_addc_co_u32_e32 v6, vcc, v6, v7, vcc
	s_waitcnt lgkmcnt(1)
	v_cmp_gt_i32_e32 vcc, v1, v2
	v_cndmask_b32_e64 v2, 0, 1, vcc
	v_cmp_gt_i32_e32 vcc, v1, v3
	v_addc_co_u32_e32 v2, vcc, v6, v2, vcc
	v_cmp_gt_i32_e32 vcc, v1, v4
	v_cndmask_b32_e64 v3, 0, 1, vcc
	v_cmp_gt_i32_e32 vcc, v1, v5
	v_addc_co_u32_e32 v2, vcc, v2, v3, vcc
	s_waitcnt lgkmcnt(0)
	v_cmp_gt_i32_e32 vcc, v1, v12
	v_cndmask_b32_e64 v3, 0, 1, vcc
	v_cmp_gt_i32_e32 vcc, v1, v13
	v_addc_co_u32_e32 v2, vcc, v2, v3, vcc
	v_cmp_gt_i32_e32 vcc, v1, v14
	v_cndmask_b32_e64 v3, 0, 1, vcc
	v_cmp_gt_i32_e32 vcc, v1, v15
	v_addc_co_u32_e32 v2, vcc, v2, v3, vcc
	v_ashrrev_i32_e32 v3, 31, v2
	v_lshlrev_b64 v[2:3], 2, v[2:3]
	v_mov_b32_e32 v5, s29
	v_add_co_u32_e32 v4, vcc, s28, v2
	v_add_u32_e32 v1, s26, v1
	v_addc_co_u32_e32 v5, vcc, v5, v3, vcc
	global_store_dword v[4:5], v1, off
	ds_read_b32 v1, v9
	v_mov_b32_e32 v4, s31
	v_add_co_u32_e32 v2, vcc, s30, v2
	v_addc_co_u32_e32 v3, vcc, v4, v3, vcc
	s_waitcnt lgkmcnt(0)
	global_store_dword v[2:3], v1, off
	s_branch .LBB5_49
.LBB5_52:
	s_endpgm
	.section	.rodata,"a",@progbits
	.p2align	6, 0x0
	.amdhsa_kernel _ZN9rocsparseL23csrgemm_fill_wf_per_rowILj256ELj16ELj32ELj137EiifEEvT4_S1_PKS1_S3_NS_24const_host_device_scalarIT5_EEPKT3_S3_PKS5_S9_S3_SB_S6_S9_S3_SB_S9_PS1_PS5_21rocsparse_index_base_SE_SE_SE_bbb
		.amdhsa_group_segment_fixed_size 4096
		.amdhsa_private_segment_fixed_size 0
		.amdhsa_kernarg_size 156
		.amdhsa_user_sgpr_count 6
		.amdhsa_user_sgpr_private_segment_buffer 1
		.amdhsa_user_sgpr_dispatch_ptr 0
		.amdhsa_user_sgpr_queue_ptr 0
		.amdhsa_user_sgpr_kernarg_segment_ptr 1
		.amdhsa_user_sgpr_dispatch_id 0
		.amdhsa_user_sgpr_flat_scratch_init 0
		.amdhsa_user_sgpr_kernarg_preload_length 0
		.amdhsa_user_sgpr_kernarg_preload_offset 0
		.amdhsa_user_sgpr_private_segment_size 0
		.amdhsa_uses_dynamic_stack 0
		.amdhsa_system_sgpr_private_segment_wavefront_offset 0
		.amdhsa_system_sgpr_workgroup_id_x 1
		.amdhsa_system_sgpr_workgroup_id_y 0
		.amdhsa_system_sgpr_workgroup_id_z 0
		.amdhsa_system_sgpr_workgroup_info 0
		.amdhsa_system_vgpr_workitem_id 0
		.amdhsa_next_free_vgpr 24
		.amdhsa_next_free_sgpr 52
		.amdhsa_accum_offset 24
		.amdhsa_reserve_vcc 1
		.amdhsa_reserve_flat_scratch 0
		.amdhsa_float_round_mode_32 0
		.amdhsa_float_round_mode_16_64 0
		.amdhsa_float_denorm_mode_32 3
		.amdhsa_float_denorm_mode_16_64 3
		.amdhsa_dx10_clamp 1
		.amdhsa_ieee_mode 1
		.amdhsa_fp16_overflow 0
		.amdhsa_tg_split 0
		.amdhsa_exception_fp_ieee_invalid_op 0
		.amdhsa_exception_fp_denorm_src 0
		.amdhsa_exception_fp_ieee_div_zero 0
		.amdhsa_exception_fp_ieee_overflow 0
		.amdhsa_exception_fp_ieee_underflow 0
		.amdhsa_exception_fp_ieee_inexact 0
		.amdhsa_exception_int_div_zero 0
	.end_amdhsa_kernel
	.section	.text._ZN9rocsparseL23csrgemm_fill_wf_per_rowILj256ELj16ELj32ELj137EiifEEvT4_S1_PKS1_S3_NS_24const_host_device_scalarIT5_EEPKT3_S3_PKS5_S9_S3_SB_S6_S9_S3_SB_S9_PS1_PS5_21rocsparse_index_base_SE_SE_SE_bbb,"axG",@progbits,_ZN9rocsparseL23csrgemm_fill_wf_per_rowILj256ELj16ELj32ELj137EiifEEvT4_S1_PKS1_S3_NS_24const_host_device_scalarIT5_EEPKT3_S3_PKS5_S9_S3_SB_S6_S9_S3_SB_S9_PS1_PS5_21rocsparse_index_base_SE_SE_SE_bbb,comdat
.Lfunc_end5:
	.size	_ZN9rocsparseL23csrgemm_fill_wf_per_rowILj256ELj16ELj32ELj137EiifEEvT4_S1_PKS1_S3_NS_24const_host_device_scalarIT5_EEPKT3_S3_PKS5_S9_S3_SB_S6_S9_S3_SB_S9_PS1_PS5_21rocsparse_index_base_SE_SE_SE_bbb, .Lfunc_end5-_ZN9rocsparseL23csrgemm_fill_wf_per_rowILj256ELj16ELj32ELj137EiifEEvT4_S1_PKS1_S3_NS_24const_host_device_scalarIT5_EEPKT3_S3_PKS5_S9_S3_SB_S6_S9_S3_SB_S9_PS1_PS5_21rocsparse_index_base_SE_SE_SE_bbb
                                        ; -- End function
	.section	.AMDGPU.csdata,"",@progbits
; Kernel info:
; codeLenInByte = 1912
; NumSgprs: 56
; NumVgprs: 24
; NumAgprs: 0
; TotalNumVgprs: 24
; ScratchSize: 0
; MemoryBound: 0
; FloatMode: 240
; IeeeMode: 1
; LDSByteSize: 4096 bytes/workgroup (compile time only)
; SGPRBlocks: 6
; VGPRBlocks: 2
; NumSGPRsForWavesPerEU: 56
; NumVGPRsForWavesPerEU: 24
; AccumOffset: 24
; Occupancy: 8
; WaveLimiterHint : 1
; COMPUTE_PGM_RSRC2:SCRATCH_EN: 0
; COMPUTE_PGM_RSRC2:USER_SGPR: 6
; COMPUTE_PGM_RSRC2:TRAP_HANDLER: 0
; COMPUTE_PGM_RSRC2:TGID_X_EN: 1
; COMPUTE_PGM_RSRC2:TGID_Y_EN: 0
; COMPUTE_PGM_RSRC2:TGID_Z_EN: 0
; COMPUTE_PGM_RSRC2:TIDIG_COMP_CNT: 0
; COMPUTE_PGM_RSRC3_GFX90A:ACCUM_OFFSET: 5
; COMPUTE_PGM_RSRC3_GFX90A:TG_SPLIT: 0
	.section	.text._ZN9rocsparseL26csrgemm_fill_block_per_rowILj128ELj16ELj256ELj137ELj32EiifEEvT5_PKS1_S3_NS_24const_host_device_scalarIT6_EEPKT4_S3_PKS5_S9_S3_SB_S6_S9_S3_SB_S9_PS1_PS5_21rocsparse_index_base_SE_SE_SE_bbb,"axG",@progbits,_ZN9rocsparseL26csrgemm_fill_block_per_rowILj128ELj16ELj256ELj137ELj32EiifEEvT5_PKS1_S3_NS_24const_host_device_scalarIT6_EEPKT4_S3_PKS5_S9_S3_SB_S6_S9_S3_SB_S9_PS1_PS5_21rocsparse_index_base_SE_SE_SE_bbb,comdat
	.globl	_ZN9rocsparseL26csrgemm_fill_block_per_rowILj128ELj16ELj256ELj137ELj32EiifEEvT5_PKS1_S3_NS_24const_host_device_scalarIT6_EEPKT4_S3_PKS5_S9_S3_SB_S6_S9_S3_SB_S9_PS1_PS5_21rocsparse_index_base_SE_SE_SE_bbb ; -- Begin function _ZN9rocsparseL26csrgemm_fill_block_per_rowILj128ELj16ELj256ELj137ELj32EiifEEvT5_PKS1_S3_NS_24const_host_device_scalarIT6_EEPKT4_S3_PKS5_S9_S3_SB_S6_S9_S3_SB_S9_PS1_PS5_21rocsparse_index_base_SE_SE_SE_bbb
	.p2align	8
	.type	_ZN9rocsparseL26csrgemm_fill_block_per_rowILj128ELj16ELj256ELj137ELj32EiifEEvT5_PKS1_S3_NS_24const_host_device_scalarIT6_EEPKT4_S3_PKS5_S9_S3_SB_S6_S9_S3_SB_S9_PS1_PS5_21rocsparse_index_base_SE_SE_SE_bbb,@function
_ZN9rocsparseL26csrgemm_fill_block_per_rowILj128ELj16ELj256ELj137ELj32EiifEEvT5_PKS1_S3_NS_24const_host_device_scalarIT6_EEPKT4_S3_PKS5_S9_S3_SB_S6_S9_S3_SB_S9_PS1_PS5_21rocsparse_index_base_SE_SE_SE_bbb: ; @_ZN9rocsparseL26csrgemm_fill_block_per_rowILj128ELj16ELj256ELj137ELj32EiifEEvT5_PKS1_S3_NS_24const_host_device_scalarIT6_EEPKT4_S3_PKS5_S9_S3_SB_S6_S9_S3_SB_S9_PS1_PS5_21rocsparse_index_base_SE_SE_SE_bbb
; %bb.0:
	s_load_dword s7, s[4:5], 0x98
	s_load_dwordx2 s[2:3], s[4:5], 0x18
	s_load_dwordx2 s[0:1], s[4:5], 0x50
	s_waitcnt lgkmcnt(0)
	s_bitcmp1_b32 s7, 0
	s_cselect_b64 s[8:9], -1, 0
	s_bitcmp1_b32 s7, 16
	s_cselect_b64 s[10:11], -1, 0
	s_xor_b64 s[12:13], s[8:9], -1
	s_or_b64 s[12:13], s[12:13], s[10:11]
	s_and_b64 vcc, exec, s[12:13]
	s_cbranch_vccnz .LBB6_2
; %bb.1:
	s_load_dword s2, s[2:3], 0x0
	s_waitcnt lgkmcnt(0)
	v_mov_b32_e32 v9, s2
	s_branch .LBB6_3
.LBB6_2:
	v_mov_b32_e32 v1, s2
	v_cndmask_b32_e64 v9, 0, v1, s[8:9]
.LBB6_3:
	s_load_dwordx4 s[28:31], s[4:5], 0x88
	s_bitcmp1_b32 s7, 8
	s_cselect_b64 s[2:3], -1, 0
	s_xor_b64 s[12:13], s[2:3], -1
	s_or_b64 s[10:11], s[12:13], s[10:11]
	s_and_b64 vcc, exec, s[10:11]
	s_cbranch_vccnz .LBB6_5
; %bb.4:
	s_load_dword s0, s[0:1], 0x0
	s_waitcnt lgkmcnt(0)
	v_mov_b32_e32 v8, s0
	s_branch .LBB6_6
.LBB6_5:
	v_mov_b32_e32 v1, s0
	v_cndmask_b32_e64 v8, 0, v1, s[2:3]
.LBB6_6:
	s_load_dwordx4 s[36:39], s[4:5], 0x78
	s_load_dwordx8 s[12:19], s[4:5], 0x58
	s_load_dwordx4 s[40:43], s[4:5], 0x40
	s_load_dwordx8 s[20:27], s[4:5], 0x20
	s_load_dwordx4 s[44:47], s[4:5], 0x8
	s_load_dword s33, s[4:5], 0x0
	s_movk_i32 s0, 0x100
	v_cmp_gt_u32_e64 s[0:1], s0, v0
	v_lshl_add_u32 v1, v0, 2, 0
	s_and_saveexec_b64 s[4:5], s[0:1]
	s_cbranch_execz .LBB6_9
; %bb.7:
	v_or_b32_e32 v2, 0xffffff80, v0
	v_lshl_add_u32 v3, v0, 2, 0
	s_mov_b64 s[10:11], 0
	s_waitcnt lgkmcnt(0)
	v_mov_b32_e32 v4, s33
	v_mov_b32_e32 v5, 0
.LBB6_8:                                ; =>This Inner Loop Header: Depth=1
	v_add_co_u32_e32 v2, vcc, 0x80, v2
	s_xor_b64 s[34:35], vcc, -1
	s_and_b64 s[34:35], exec, s[34:35]
	ds_write2st64_b32 v3, v4, v5 offset1:4
	s_or_b64 s[10:11], s[34:35], s[10:11]
	v_add_u32_e32 v3, 0x200, v3
	s_andn2_b64 exec, exec, s[10:11]
	s_cbranch_execnz .LBB6_8
.LBB6_9:
	s_or_b64 exec, exec, s[4:5]
	s_waitcnt lgkmcnt(0)
	s_barrier
	s_load_dword s4, s[44:45], 0x0
	s_mov_b32 s5, 0
	s_waitcnt lgkmcnt(0)
	s_add_i32 s4, s4, s6
	s_lshl_b64 s[4:5], s[4:5], 2
	s_add_u32 s4, s46, s4
	s_addc_u32 s5, s47, s5
	s_load_dword s10, s[4:5], 0x0
	s_and_b64 vcc, exec, s[8:9]
	s_cbranch_vccz .LBB6_29
; %bb.10:
	s_waitcnt lgkmcnt(0)
	s_ashr_i32 s11, s10, 31
	s_lshl_b64 s[4:5], s[10:11], 2
	s_add_u32 s4, s20, s4
	s_addc_u32 s5, s21, s5
	s_load_dwordx2 s[4:5], s[4:5], 0x0
	v_lshrrev_b32_e32 v2, 4, v0
	v_subrev_u32_e32 v2, s28, v2
	s_waitcnt lgkmcnt(0)
	s_sub_i32 s11, s5, s28
	v_add_u32_e32 v2, s4, v2
	v_cmp_gt_i32_e32 vcc, s11, v2
	s_and_saveexec_b64 s[4:5], vcc
	s_cbranch_execz .LBB6_28
; %bb.11:
	v_and_b32_e32 v3, 15, v0
	v_subrev_u32_e32 v10, s29, v3
	s_mov_b64 s[6:7], 0
	v_mov_b32_e32 v11, s23
	v_mov_b32_e32 v12, s27
	s_movk_i32 s23, 0x89
	s_branch .LBB6_13
.LBB6_12:                               ;   in Loop: Header=BB6_13 Depth=1
	s_or_b64 exec, exec, s[8:9]
	v_add_u32_e32 v2, 8, v2
	v_cmp_le_i32_e32 vcc, s11, v2
	s_or_b64 s[6:7], vcc, s[6:7]
	s_andn2_b64 exec, exec, s[6:7]
	s_cbranch_execz .LBB6_28
.LBB6_13:                               ; =>This Loop Header: Depth=1
                                        ;     Child Loop BB6_16 Depth 2
                                        ;       Child Loop BB6_18 Depth 3
	v_ashrrev_i32_e32 v3, 31, v2
	v_lshlrev_b64 v[6:7], 2, v[2:3]
	v_add_co_u32_e32 v4, vcc, s22, v6
	v_addc_co_u32_e32 v5, vcc, v11, v7, vcc
	global_load_dword v3, v[4:5], off
	s_waitcnt vmcnt(0)
	v_subrev_u32_e32 v4, s28, v3
	v_ashrrev_i32_e32 v5, 31, v4
	v_lshlrev_b64 v[4:5], 2, v[4:5]
	v_add_co_u32_e32 v4, vcc, s26, v4
	v_addc_co_u32_e32 v5, vcc, v12, v5, vcc
	global_load_dwordx2 v[4:5], v[4:5], off
	s_waitcnt vmcnt(0)
	v_subrev_u32_e32 v3, s29, v5
	v_add_u32_e32 v4, v4, v10
	v_cmp_lt_i32_e32 vcc, v4, v3
	s_and_saveexec_b64 s[8:9], vcc
	s_cbranch_execz .LBB6_12
; %bb.14:                               ;   in Loop: Header=BB6_13 Depth=1
	v_mov_b32_e32 v5, s25
	v_add_co_u32_e32 v6, vcc, s24, v6
	v_addc_co_u32_e32 v7, vcc, v5, v7, vcc
	global_load_dword v5, v[6:7], off
	s_mov_b64 s[20:21], 0
	s_waitcnt vmcnt(0)
	v_mul_f32_e32 v6, v9, v5
	s_branch .LBB6_16
.LBB6_15:                               ;   in Loop: Header=BB6_16 Depth=2
	s_or_b64 exec, exec, s[34:35]
	v_add_u32_e32 v4, 16, v4
	v_cmp_ge_i32_e32 vcc, v4, v3
	s_or_b64 s[20:21], vcc, s[20:21]
	s_andn2_b64 exec, exec, s[20:21]
	s_cbranch_execz .LBB6_12
.LBB6_16:                               ;   Parent Loop BB6_13 Depth=1
                                        ; =>  This Loop Header: Depth=2
                                        ;       Child Loop BB6_18 Depth 3
	v_ashrrev_i32_e32 v5, 31, v4
	v_lshlrev_b64 v[14:15], 2, v[4:5]
	v_mov_b32_e32 v5, s41
	v_add_co_u32_e32 v16, vcc, s40, v14
	v_addc_co_u32_e32 v17, vcc, v5, v15, vcc
	global_load_dword v5, v[16:17], off
	v_mov_b32_e32 v7, s43
	v_add_co_u32_e32 v14, vcc, s42, v14
	v_addc_co_u32_e32 v15, vcc, v7, v15, vcc
	global_load_dword v7, v[14:15], off
	s_mov_b64 s[34:35], 0
	s_waitcnt vmcnt(1)
	v_subrev_u32_e32 v5, s29, v5
	v_mul_lo_u32 v13, v5, s23
	v_and_b32_e32 v13, 0xff, v13
	s_waitcnt vmcnt(0)
	v_mul_f32_e32 v7, v6, v7
	s_branch .LBB6_18
.LBB6_17:                               ;   in Loop: Header=BB6_18 Depth=3
	s_or_b64 exec, exec, s[44:45]
	s_xor_b64 s[44:45], s[46:47], -1
	s_and_b64 s[44:45], exec, s[44:45]
	s_or_b64 s[34:35], s[44:45], s[34:35]
	s_andn2_b64 exec, exec, s[34:35]
	s_cbranch_execz .LBB6_15
.LBB6_18:                               ;   Parent Loop BB6_13 Depth=1
                                        ;     Parent Loop BB6_16 Depth=2
                                        ; =>    This Inner Loop Header: Depth=3
	v_lshl_add_u32 v14, v13, 2, 0
	ds_read_b32 v15, v14
                                        ; implicit-def: $sgpr46_sgpr47
	s_waitcnt lgkmcnt(0)
	v_cmp_ne_u32_e32 vcc, v15, v5
	s_and_saveexec_b64 s[44:45], vcc
	s_xor_b64 s[44:45], exec, s[44:45]
	s_cbranch_execz .LBB6_26
; %bb.19:                               ;   in Loop: Header=BB6_18 Depth=3
	v_cmp_ne_u32_e32 vcc, s33, v15
                                        ; implicit-def: $sgpr46_sgpr47
	s_and_saveexec_b64 s[48:49], vcc
	s_xor_b64 s[48:49], exec, s[48:49]
; %bb.20:                               ;   in Loop: Header=BB6_18 Depth=3
	v_add_u32_e32 v13, 1, v13
	v_and_b32_e32 v13, 0xff, v13
	s_mov_b64 s[46:47], -1
                                        ; implicit-def: $vgpr14
; %bb.21:                               ;   in Loop: Header=BB6_18 Depth=3
	s_andn2_saveexec_b64 s[48:49], s[48:49]
	s_cbranch_execz .LBB6_25
; %bb.22:                               ;   in Loop: Header=BB6_18 Depth=3
	v_mov_b32_e32 v15, s33
	ds_cmpst_rtn_b32 v15, v14, v15, v5
	s_mov_b64 s[50:51], -1
	s_waitcnt lgkmcnt(0)
	v_cmp_eq_u32_e32 vcc, s33, v15
	s_and_saveexec_b64 s[52:53], vcc
	s_cbranch_execz .LBB6_24
; %bb.23:                               ;   in Loop: Header=BB6_18 Depth=3
	ds_add_f32 v14, v7 offset:1024
	s_xor_b64 s[50:51], exec, -1
.LBB6_24:                               ;   in Loop: Header=BB6_18 Depth=3
	s_or_b64 exec, exec, s[52:53]
	s_andn2_b64 s[46:47], s[46:47], exec
	s_and_b64 s[50:51], s[50:51], exec
	s_or_b64 s[46:47], s[46:47], s[50:51]
.LBB6_25:                               ;   in Loop: Header=BB6_18 Depth=3
	s_or_b64 exec, exec, s[48:49]
	s_and_b64 s[46:47], s[46:47], exec
                                        ; implicit-def: $vgpr14
.LBB6_26:                               ;   in Loop: Header=BB6_18 Depth=3
	s_andn2_saveexec_b64 s[44:45], s[44:45]
	s_cbranch_execz .LBB6_17
; %bb.27:                               ;   in Loop: Header=BB6_18 Depth=3
	ds_add_f32 v14, v7 offset:1024
	s_andn2_b64 s[46:47], s[46:47], exec
	s_branch .LBB6_17
.LBB6_28:
	s_or_b64 exec, exec, s[4:5]
.LBB6_29:
	s_andn2_b64 vcc, exec, s[2:3]
	s_cbranch_vccnz .LBB6_46
; %bb.30:
	s_waitcnt lgkmcnt(0)
	s_ashr_i32 s11, s10, 31
	s_lshl_b64 s[2:3], s[10:11], 2
	s_add_u32 s2, s12, s2
	s_addc_u32 s3, s13, s3
	s_load_dwordx2 s[2:3], s[2:3], 0x0
	v_subrev_u32_e32 v2, s31, v0
	s_waitcnt lgkmcnt(0)
	s_sub_i32 s11, s3, s31
	v_add_u32_e32 v2, s2, v2
	v_cmp_gt_i32_e32 vcc, s11, v2
	s_and_saveexec_b64 s[2:3], vcc
	s_cbranch_execz .LBB6_45
; %bb.31:
	s_mov_b64 s[4:5], 0
	v_mov_b32_e32 v4, s15
	v_mov_b32_e32 v5, s17
	s_movk_i32 s15, 0x89
	s_branch .LBB6_33
.LBB6_32:                               ;   in Loop: Header=BB6_33 Depth=1
	s_or_b64 exec, exec, s[6:7]
	v_add_u32_e32 v2, 0x80, v2
	v_cmp_le_i32_e32 vcc, s11, v2
	s_or_b64 s[4:5], vcc, s[4:5]
	s_andn2_b64 exec, exec, s[4:5]
	s_cbranch_execz .LBB6_45
.LBB6_33:                               ; =>This Loop Header: Depth=1
                                        ;     Child Loop BB6_35 Depth 2
	v_ashrrev_i32_e32 v3, 31, v2
	v_lshlrev_b64 v[6:7], 2, v[2:3]
	v_add_co_u32_e32 v10, vcc, s14, v6
	v_addc_co_u32_e32 v11, vcc, v4, v7, vcc
	global_load_dword v3, v[10:11], off
	v_add_co_u32_e32 v6, vcc, s16, v6
	v_addc_co_u32_e32 v7, vcc, v5, v7, vcc
	global_load_dword v6, v[6:7], off
	s_mov_b64 s[6:7], 0
	s_waitcnt vmcnt(1)
	v_subrev_u32_e32 v3, s31, v3
	v_mul_lo_u32 v7, v3, s15
	v_and_b32_e32 v7, 0xff, v7
	s_waitcnt vmcnt(0)
	v_mul_f32_e32 v6, v8, v6
	s_branch .LBB6_35
.LBB6_34:                               ;   in Loop: Header=BB6_35 Depth=2
	s_or_b64 exec, exec, s[8:9]
	s_xor_b64 s[8:9], s[12:13], -1
	s_and_b64 s[8:9], exec, s[8:9]
	s_or_b64 s[6:7], s[8:9], s[6:7]
	s_andn2_b64 exec, exec, s[6:7]
	s_cbranch_execz .LBB6_32
.LBB6_35:                               ;   Parent Loop BB6_33 Depth=1
                                        ; =>  This Inner Loop Header: Depth=2
	v_lshl_add_u32 v9, v7, 2, 0
	ds_read_b32 v10, v9
                                        ; implicit-def: $sgpr12_sgpr13
	s_waitcnt lgkmcnt(0)
	v_cmp_ne_u32_e32 vcc, v10, v3
	s_and_saveexec_b64 s[8:9], vcc
	s_xor_b64 s[8:9], exec, s[8:9]
	s_cbranch_execz .LBB6_43
; %bb.36:                               ;   in Loop: Header=BB6_35 Depth=2
	v_cmp_ne_u32_e32 vcc, s33, v10
                                        ; implicit-def: $sgpr12_sgpr13
	s_and_saveexec_b64 s[20:21], vcc
	s_xor_b64 s[20:21], exec, s[20:21]
; %bb.37:                               ;   in Loop: Header=BB6_35 Depth=2
	v_add_u32_e32 v7, 1, v7
	v_and_b32_e32 v7, 0xff, v7
	s_mov_b64 s[12:13], -1
                                        ; implicit-def: $vgpr9
; %bb.38:                               ;   in Loop: Header=BB6_35 Depth=2
	s_andn2_saveexec_b64 s[20:21], s[20:21]
	s_cbranch_execz .LBB6_42
; %bb.39:                               ;   in Loop: Header=BB6_35 Depth=2
	v_mov_b32_e32 v10, s33
	ds_cmpst_rtn_b32 v10, v9, v10, v3
	s_mov_b64 s[22:23], -1
	s_waitcnt lgkmcnt(0)
	v_cmp_eq_u32_e32 vcc, s33, v10
	s_and_saveexec_b64 s[24:25], vcc
	s_cbranch_execz .LBB6_41
; %bb.40:                               ;   in Loop: Header=BB6_35 Depth=2
	ds_add_f32 v9, v6 offset:1024
	s_xor_b64 s[22:23], exec, -1
.LBB6_41:                               ;   in Loop: Header=BB6_35 Depth=2
	s_or_b64 exec, exec, s[24:25]
	s_andn2_b64 s[12:13], s[12:13], exec
	s_and_b64 s[22:23], s[22:23], exec
	s_or_b64 s[12:13], s[12:13], s[22:23]
.LBB6_42:                               ;   in Loop: Header=BB6_35 Depth=2
	s_or_b64 exec, exec, s[20:21]
	s_and_b64 s[12:13], s[12:13], exec
                                        ; implicit-def: $vgpr9
.LBB6_43:                               ;   in Loop: Header=BB6_35 Depth=2
	s_andn2_saveexec_b64 s[8:9], s[8:9]
	s_cbranch_execz .LBB6_34
; %bb.44:                               ;   in Loop: Header=BB6_35 Depth=2
	ds_add_f32 v9, v6 offset:1024
	s_andn2_b64 s[12:13], s[12:13], exec
	s_branch .LBB6_34
.LBB6_45:
	s_or_b64 exec, exec, s[2:3]
.LBB6_46:
	s_waitcnt lgkmcnt(0)
	s_barrier
	s_and_saveexec_b64 s[8:9], s[0:1]
	s_cbranch_execz .LBB6_59
; %bb.47:
	v_mbcnt_lo_u32_b32 v2, -1, 0
	v_mbcnt_hi_u32_b32 v2, -1, v2
	v_lshrrev_b32_e32 v4, 3, v0
	v_sub_u32_e32 v2, 63, v2
	v_and_b32_e32 v4, 12, v4
	s_movk_i32 s0, 0x7f
	s_movk_i32 s6, 0x5f
	v_mov_b32_e32 v6, 0
	v_lshrrev_b64 v[2:3], v2, -1
	v_add_u32_e32 v7, 0, v4
	v_cmp_eq_u32_e64 s[0:1], s0, v0
	v_cmp_lt_u32_e64 s[2:3], 31, v0
	v_cmp_lt_u32_e64 s[4:5], 63, v0
	;; [unrolled: 1-line block ×3, first 2 shown]
	v_or_b32_e32 v8, 0xffffff80, v0
	s_mov_b64 s[12:13], 0
	v_mov_b32_e32 v9, 0
	s_branch .LBB6_49
.LBB6_48:                               ;   in Loop: Header=BB6_49 Depth=1
	s_or_b64 exec, exec, s[14:15]
	s_waitcnt lgkmcnt(0)
	s_barrier
	ds_read_b32 v4, v6 offset:2060
	v_add_co_u32_e32 v8, vcc, 0x80, v8
	s_xor_b64 s[14:15], vcc, -1
	s_and_b64 s[14:15], exec, s[14:15]
	s_waitcnt lgkmcnt(0)
	v_add_u32_e32 v9, v4, v9
	s_or_b64 s[12:13], s[14:15], s[12:13]
	v_add_u32_e32 v1, 0x200, v1
	s_andn2_b64 exec, exec, s[12:13]
	s_cbranch_execz .LBB6_59
.LBB6_49:                               ; =>This Inner Loop Header: Depth=1
	ds_read2st64_b32 v[4:5], v1 offset1:4
	s_waitcnt lgkmcnt(0)
	s_barrier
	v_cmp_gt_i32_e32 vcc, s33, v4
	v_and_b32_e32 v11, vcc_lo, v2
	s_bcnt1_i32_b64 s11, vcc
	v_and_b32_e32 v10, vcc_hi, v3
	v_bcnt_u32_b32 v11, v11, 0
	v_bcnt_u32_b32 v10, v10, v11
	v_mov_b32_e32 v11, s11
	ds_write_b32 v7, v11 offset:2048
	s_waitcnt lgkmcnt(0)
	s_barrier
	s_and_saveexec_b64 s[14:15], s[2:3]
	s_cbranch_execnz .LBB6_54
; %bb.50:                               ;   in Loop: Header=BB6_49 Depth=1
	s_or_b64 exec, exec, s[14:15]
	s_and_saveexec_b64 s[14:15], s[4:5]
	s_cbranch_execnz .LBB6_55
.LBB6_51:                               ;   in Loop: Header=BB6_49 Depth=1
	s_or_b64 exec, exec, s[14:15]
	s_and_saveexec_b64 s[14:15], s[6:7]
	s_cbranch_execnz .LBB6_56
.LBB6_52:                               ;   in Loop: Header=BB6_49 Depth=1
	s_or_b64 exec, exec, s[14:15]
	s_and_saveexec_b64 s[14:15], vcc
	s_cbranch_execnz .LBB6_57
.LBB6_53:                               ;   in Loop: Header=BB6_49 Depth=1
	s_or_b64 exec, exec, s[14:15]
	s_and_saveexec_b64 s[14:15], s[0:1]
	s_cbranch_execz .LBB6_48
	s_branch .LBB6_58
.LBB6_54:                               ;   in Loop: Header=BB6_49 Depth=1
	ds_read_b32 v11, v6 offset:2048
	s_waitcnt lgkmcnt(0)
	v_add_u32_e32 v10, v11, v10
	s_or_b64 exec, exec, s[14:15]
	s_and_saveexec_b64 s[14:15], s[4:5]
	s_cbranch_execz .LBB6_51
.LBB6_55:                               ;   in Loop: Header=BB6_49 Depth=1
	ds_read_b32 v11, v6 offset:2052
	s_waitcnt lgkmcnt(0)
	v_add_u32_e32 v10, v11, v10
	s_or_b64 exec, exec, s[14:15]
	s_and_saveexec_b64 s[14:15], s[6:7]
	s_cbranch_execz .LBB6_52
.LBB6_56:                               ;   in Loop: Header=BB6_49 Depth=1
	ds_read_b32 v11, v6 offset:2056
	s_waitcnt lgkmcnt(0)
	v_add_u32_e32 v10, v11, v10
	s_or_b64 exec, exec, s[14:15]
	s_and_saveexec_b64 s[14:15], vcc
	s_cbranch_execz .LBB6_53
.LBB6_57:                               ;   in Loop: Header=BB6_49 Depth=1
	v_add3_u32 v11, v9, -1, v10
	v_lshl_add_u32 v11, v11, 2, 0
	ds_write2st64_b32 v11, v4, v5 offset1:4
	s_or_b64 exec, exec, s[14:15]
	s_and_saveexec_b64 s[14:15], s[0:1]
	s_cbranch_execz .LBB6_48
.LBB6_58:                               ;   in Loop: Header=BB6_49 Depth=1
	ds_write_b32 v6, v10 offset:2060
	s_branch .LBB6_48
.LBB6_59:
	s_or_b64 exec, exec, s[8:9]
	s_ashr_i32 s11, s10, 31
	s_lshl_b64 s[0:1], s[10:11], 2
	s_add_u32 s0, s18, s0
	s_addc_u32 s1, s19, s1
	s_load_dwordx2 s[0:1], s[0:1], 0x0
	s_waitcnt lgkmcnt(0)
	s_sub_i32 s14, s1, s0
	v_cmp_gt_i32_e32 vcc, s14, v0
	s_and_saveexec_b64 s[2:3], vcc
	s_cbranch_execz .LBB6_74
; %bb.60:
	s_sub_i32 s6, s0, s30
	s_add_i32 s0, s14, -2
	s_lshr_b32 s1, s0, 1
	s_add_i32 s2, s1, 1
	s_cmp_gt_u32 s14, 1
	s_cselect_b64 s[8:9], -1, 0
	s_and_b32 s15, s14, -2
	s_and_b32 s4, s2, 7
	s_cmp_gt_u32 s0, 13
	s_cselect_b64 s[0:1], -1, 0
	s_and_b32 s16, s2, -8
	s_cmp_lg_u32 s4, 0
	s_cselect_b64 s[2:3], -1, 0
	v_cndmask_b32_e64 v1, 0, 1, s[0:1]
	s_cmp_lg_u32 s14, s15
	v_cmp_ne_u32_e64 s[0:1], 1, v1
	v_cndmask_b32_e64 v1, 0, 1, s[2:3]
	s_mov_b32 s7, 0
	s_cselect_b64 s[10:11], -1, 0
	s_lshl_b32 s17, s4, 3
	s_mov_b64 s[12:13], 0
	v_cmp_ne_u32_e64 s[2:3], 1, v1
	v_mov_b32_e32 v1, s37
	v_mov_b32_e32 v6, s39
	s_branch .LBB6_62
.LBB6_61:                               ;   in Loop: Header=BB6_62 Depth=1
	v_ashrrev_i32_e32 v5, 31, v4
	v_lshlrev_b64 v[4:5], 2, v[4:5]
	v_add_co_u32_e32 v8, vcc, s36, v4
	v_addc_co_u32_e32 v9, vcc, v1, v5, vcc
	v_add_co_u32_e32 v4, vcc, s38, v4
	v_addc_co_u32_e32 v5, vcc, v6, v5, vcc
	v_add_u32_e32 v0, 0x80, v0
	v_cmp_le_i32_e32 vcc, s14, v0
	s_waitcnt lgkmcnt(0)
	v_add_u32_e32 v2, s30, v2
	s_or_b64 s[12:13], vcc, s[12:13]
	global_store_dword v[8:9], v2, off
	global_store_dword v[4:5], v3, off
	s_andn2_b64 exec, exec, s[12:13]
	s_cbranch_execz .LBB6_74
.LBB6_62:                               ; =>This Loop Header: Depth=1
                                        ;     Child Loop BB6_65 Depth 2
                                        ;     Child Loop BB6_70 Depth 2
                                        ;     Child Loop BB6_73 Depth 2
	v_lshl_add_u32 v2, v0, 2, 0
	ds_read2st64_b32 v[2:3], v2 offset1:4
	s_and_b64 vcc, exec, s[8:9]
	s_cbranch_vccz .LBB6_67
; %bb.63:                               ;   in Loop: Header=BB6_62 Depth=1
	s_and_b64 vcc, exec, s[0:1]
	s_cbranch_vccnz .LBB6_68
; %bb.64:                               ;   in Loop: Header=BB6_62 Depth=1
	s_mov_b32 s19, 0
	v_mov_b32_e32 v4, s6
	v_mov_b32_e32 v5, 0
	s_mov_b32 s20, s16
	s_mov_b32 s18, 0
.LBB6_65:                               ;   Parent Loop BB6_62 Depth=1
                                        ; =>  This Inner Loop Header: Depth=2
	v_mov_b32_e32 v7, s19
	ds_read2_b32 v[8:9], v7 offset1:1
	ds_read2_b32 v[10:11], v7 offset0:2 offset1:3
	ds_read2_b32 v[12:13], v7 offset0:4 offset1:5
	;; [unrolled: 1-line block ×7, first 2 shown]
	s_waitcnt lgkmcnt(7)
	v_cmp_gt_i32_e32 vcc, v2, v9
	s_waitcnt lgkmcnt(5)
	v_cmp_gt_i32_e64 s[4:5], v2, v12
	v_cndmask_b32_e64 v7, 0, 1, vcc
	v_cmp_gt_i32_e32 vcc, v2, v8
	v_cndmask_b32_e64 v9, 0, 1, s[4:5]
	v_cmp_gt_i32_e64 s[4:5], v2, v13
	v_cndmask_b32_e64 v8, 0, 1, vcc
	v_cmp_gt_i32_e32 vcc, v2, v11
	v_cndmask_b32_e64 v11, 0, 1, s[4:5]
	s_waitcnt lgkmcnt(3)
	v_cmp_gt_i32_e64 s[4:5], v2, v17
	v_cndmask_b32_e64 v12, 0, 1, s[4:5]
	v_cmp_gt_i32_e64 s[4:5], v2, v16
	v_cndmask_b32_e64 v13, 0, 1, s[4:5]
	s_waitcnt lgkmcnt(1)
	v_cmp_gt_i32_e64 s[4:5], v2, v20
	v_cndmask_b32_e64 v16, 0, 1, s[4:5]
	v_cmp_gt_i32_e64 s[4:5], v2, v21
	v_cndmask_b32_e64 v17, 0, 1, s[4:5]
	v_cmp_gt_i32_e64 s[4:5], v2, v10
	v_addc_co_u32_e64 v4, s[4:5], v4, v8, s[4:5]
	v_addc_co_u32_e32 v5, vcc, v5, v7, vcc
	v_cmp_gt_i32_e32 vcc, v2, v14
	v_cmp_gt_i32_e64 s[4:5], v2, v15
	v_addc_co_u32_e64 v5, s[4:5], v5, v11, s[4:5]
	v_addc_co_u32_e32 v4, vcc, v4, v9, vcc
	v_cmp_gt_i32_e32 vcc, v2, v19
	v_cmp_gt_i32_e64 s[4:5], v2, v18
	v_addc_co_u32_e64 v4, s[4:5], v4, v13, s[4:5]
	v_addc_co_u32_e32 v5, vcc, v5, v12, vcc
	s_add_i32 s18, s18, 16
	s_add_i32 s19, s19, 64
	s_add_i32 s20, s20, -8
	s_waitcnt lgkmcnt(0)
	v_cmp_gt_i32_e32 vcc, v2, v22
	v_cmp_gt_i32_e64 s[4:5], v2, v23
	s_cmp_lg_u32 s20, 0
	v_addc_co_u32_e64 v5, s[4:5], v5, v17, s[4:5]
	v_addc_co_u32_e32 v4, vcc, v4, v16, vcc
	s_cbranch_scc1 .LBB6_65
; %bb.66:                               ;   in Loop: Header=BB6_62 Depth=1
	s_and_b64 vcc, exec, s[2:3]
	s_cbranch_vccz .LBB6_69
	s_branch .LBB6_71
.LBB6_67:                               ;   in Loop: Header=BB6_62 Depth=1
	v_mov_b32_e32 v4, s6
	s_mov_b32 s18, 0
	s_cbranch_execz .LBB6_61
	s_branch .LBB6_72
.LBB6_68:                               ;   in Loop: Header=BB6_62 Depth=1
	v_pk_mov_b32 v[4:5], s[6:7], s[6:7] op_sel:[0,1]
	s_mov_b32 s18, 0
	s_and_b64 vcc, exec, s[2:3]
	s_cbranch_vccnz .LBB6_71
.LBB6_69:                               ;   in Loop: Header=BB6_62 Depth=1
	s_lshl_b32 s4, s18, 2
	s_add_i32 s4, s4, 0
	s_mov_b32 s5, s17
.LBB6_70:                               ;   Parent Loop BB6_62 Depth=1
                                        ; =>  This Inner Loop Header: Depth=2
	v_mov_b32_e32 v7, s4
	ds_read2_b32 v[8:9], v7 offset1:1
	s_add_i32 s4, s4, 8
	s_add_i32 s5, s5, -8
	s_cmp_lg_u32 s5, 0
	s_waitcnt lgkmcnt(0)
	v_cmp_gt_i32_e32 vcc, v2, v9
	v_addc_co_u32_e32 v5, vcc, 0, v5, vcc
	v_cmp_gt_i32_e32 vcc, v2, v8
	v_addc_co_u32_e32 v4, vcc, 0, v4, vcc
	s_cbranch_scc1 .LBB6_70
.LBB6_71:                               ;   in Loop: Header=BB6_62 Depth=1
	v_add_u32_e32 v4, v4, v5
	s_mov_b32 s18, s15
	s_mov_b64 s[4:5], s[10:11]
	s_and_b64 vcc, exec, s[4:5]
	s_cbranch_vccz .LBB6_61
.LBB6_72:                               ;   in Loop: Header=BB6_62 Depth=1
	s_lshl_b32 s4, s18, 2
	s_add_i32 s4, s4, 0
.LBB6_73:                               ;   Parent Loop BB6_62 Depth=1
                                        ; =>  This Inner Loop Header: Depth=2
	v_mov_b32_e32 v5, s4
	ds_read_b32 v5, v5
	s_add_i32 s18, s18, 1
	s_add_i32 s4, s4, 4
	s_cmp_ge_i32 s18, s14
	s_waitcnt lgkmcnt(0)
	v_cmp_gt_i32_e32 vcc, v2, v5
	v_addc_co_u32_e32 v4, vcc, 0, v4, vcc
	s_cbranch_scc0 .LBB6_73
	s_branch .LBB6_61
.LBB6_74:
	s_endpgm
	.section	.rodata,"a",@progbits
	.p2align	6, 0x0
	.amdhsa_kernel _ZN9rocsparseL26csrgemm_fill_block_per_rowILj128ELj16ELj256ELj137ELj32EiifEEvT5_PKS1_S3_NS_24const_host_device_scalarIT6_EEPKT4_S3_PKS5_S9_S3_SB_S6_S9_S3_SB_S9_PS1_PS5_21rocsparse_index_base_SE_SE_SE_bbb
		.amdhsa_group_segment_fixed_size 0
		.amdhsa_private_segment_fixed_size 0
		.amdhsa_kernarg_size 156
		.amdhsa_user_sgpr_count 6
		.amdhsa_user_sgpr_private_segment_buffer 1
		.amdhsa_user_sgpr_dispatch_ptr 0
		.amdhsa_user_sgpr_queue_ptr 0
		.amdhsa_user_sgpr_kernarg_segment_ptr 1
		.amdhsa_user_sgpr_dispatch_id 0
		.amdhsa_user_sgpr_flat_scratch_init 0
		.amdhsa_user_sgpr_kernarg_preload_length 0
		.amdhsa_user_sgpr_kernarg_preload_offset 0
		.amdhsa_user_sgpr_private_segment_size 0
		.amdhsa_uses_dynamic_stack 0
		.amdhsa_system_sgpr_private_segment_wavefront_offset 0
		.amdhsa_system_sgpr_workgroup_id_x 1
		.amdhsa_system_sgpr_workgroup_id_y 0
		.amdhsa_system_sgpr_workgroup_id_z 0
		.amdhsa_system_sgpr_workgroup_info 0
		.amdhsa_system_vgpr_workitem_id 0
		.amdhsa_next_free_vgpr 24
		.amdhsa_next_free_sgpr 54
		.amdhsa_accum_offset 24
		.amdhsa_reserve_vcc 1
		.amdhsa_reserve_flat_scratch 0
		.amdhsa_float_round_mode_32 0
		.amdhsa_float_round_mode_16_64 0
		.amdhsa_float_denorm_mode_32 3
		.amdhsa_float_denorm_mode_16_64 3
		.amdhsa_dx10_clamp 1
		.amdhsa_ieee_mode 1
		.amdhsa_fp16_overflow 0
		.amdhsa_tg_split 0
		.amdhsa_exception_fp_ieee_invalid_op 0
		.amdhsa_exception_fp_denorm_src 0
		.amdhsa_exception_fp_ieee_div_zero 0
		.amdhsa_exception_fp_ieee_overflow 0
		.amdhsa_exception_fp_ieee_underflow 0
		.amdhsa_exception_fp_ieee_inexact 0
		.amdhsa_exception_int_div_zero 0
	.end_amdhsa_kernel
	.section	.text._ZN9rocsparseL26csrgemm_fill_block_per_rowILj128ELj16ELj256ELj137ELj32EiifEEvT5_PKS1_S3_NS_24const_host_device_scalarIT6_EEPKT4_S3_PKS5_S9_S3_SB_S6_S9_S3_SB_S9_PS1_PS5_21rocsparse_index_base_SE_SE_SE_bbb,"axG",@progbits,_ZN9rocsparseL26csrgemm_fill_block_per_rowILj128ELj16ELj256ELj137ELj32EiifEEvT5_PKS1_S3_NS_24const_host_device_scalarIT6_EEPKT4_S3_PKS5_S9_S3_SB_S6_S9_S3_SB_S9_PS1_PS5_21rocsparse_index_base_SE_SE_SE_bbb,comdat
.Lfunc_end6:
	.size	_ZN9rocsparseL26csrgemm_fill_block_per_rowILj128ELj16ELj256ELj137ELj32EiifEEvT5_PKS1_S3_NS_24const_host_device_scalarIT6_EEPKT4_S3_PKS5_S9_S3_SB_S6_S9_S3_SB_S9_PS1_PS5_21rocsparse_index_base_SE_SE_SE_bbb, .Lfunc_end6-_ZN9rocsparseL26csrgemm_fill_block_per_rowILj128ELj16ELj256ELj137ELj32EiifEEvT5_PKS1_S3_NS_24const_host_device_scalarIT6_EEPKT4_S3_PKS5_S9_S3_SB_S6_S9_S3_SB_S9_PS1_PS5_21rocsparse_index_base_SE_SE_SE_bbb
                                        ; -- End function
	.section	.AMDGPU.csdata,"",@progbits
; Kernel info:
; codeLenInByte = 2544
; NumSgprs: 58
; NumVgprs: 24
; NumAgprs: 0
; TotalNumVgprs: 24
; ScratchSize: 0
; MemoryBound: 0
; FloatMode: 240
; IeeeMode: 1
; LDSByteSize: 0 bytes/workgroup (compile time only)
; SGPRBlocks: 7
; VGPRBlocks: 2
; NumSGPRsForWavesPerEU: 58
; NumVGPRsForWavesPerEU: 24
; AccumOffset: 24
; Occupancy: 8
; WaveLimiterHint : 1
; COMPUTE_PGM_RSRC2:SCRATCH_EN: 0
; COMPUTE_PGM_RSRC2:USER_SGPR: 6
; COMPUTE_PGM_RSRC2:TRAP_HANDLER: 0
; COMPUTE_PGM_RSRC2:TGID_X_EN: 1
; COMPUTE_PGM_RSRC2:TGID_Y_EN: 0
; COMPUTE_PGM_RSRC2:TGID_Z_EN: 0
; COMPUTE_PGM_RSRC2:TIDIG_COMP_CNT: 0
; COMPUTE_PGM_RSRC3_GFX90A:ACCUM_OFFSET: 5
; COMPUTE_PGM_RSRC3_GFX90A:TG_SPLIT: 0
	.section	.text._ZN9rocsparseL26csrgemm_fill_block_per_rowILj128ELj16ELj256ELj137ELj64EiifEEvT5_PKS1_S3_NS_24const_host_device_scalarIT6_EEPKT4_S3_PKS5_S9_S3_SB_S6_S9_S3_SB_S9_PS1_PS5_21rocsparse_index_base_SE_SE_SE_bbb,"axG",@progbits,_ZN9rocsparseL26csrgemm_fill_block_per_rowILj128ELj16ELj256ELj137ELj64EiifEEvT5_PKS1_S3_NS_24const_host_device_scalarIT6_EEPKT4_S3_PKS5_S9_S3_SB_S6_S9_S3_SB_S9_PS1_PS5_21rocsparse_index_base_SE_SE_SE_bbb,comdat
	.globl	_ZN9rocsparseL26csrgemm_fill_block_per_rowILj128ELj16ELj256ELj137ELj64EiifEEvT5_PKS1_S3_NS_24const_host_device_scalarIT6_EEPKT4_S3_PKS5_S9_S3_SB_S6_S9_S3_SB_S9_PS1_PS5_21rocsparse_index_base_SE_SE_SE_bbb ; -- Begin function _ZN9rocsparseL26csrgemm_fill_block_per_rowILj128ELj16ELj256ELj137ELj64EiifEEvT5_PKS1_S3_NS_24const_host_device_scalarIT6_EEPKT4_S3_PKS5_S9_S3_SB_S6_S9_S3_SB_S9_PS1_PS5_21rocsparse_index_base_SE_SE_SE_bbb
	.p2align	8
	.type	_ZN9rocsparseL26csrgemm_fill_block_per_rowILj128ELj16ELj256ELj137ELj64EiifEEvT5_PKS1_S3_NS_24const_host_device_scalarIT6_EEPKT4_S3_PKS5_S9_S3_SB_S6_S9_S3_SB_S9_PS1_PS5_21rocsparse_index_base_SE_SE_SE_bbb,@function
_ZN9rocsparseL26csrgemm_fill_block_per_rowILj128ELj16ELj256ELj137ELj64EiifEEvT5_PKS1_S3_NS_24const_host_device_scalarIT6_EEPKT4_S3_PKS5_S9_S3_SB_S6_S9_S3_SB_S9_PS1_PS5_21rocsparse_index_base_SE_SE_SE_bbb: ; @_ZN9rocsparseL26csrgemm_fill_block_per_rowILj128ELj16ELj256ELj137ELj64EiifEEvT5_PKS1_S3_NS_24const_host_device_scalarIT6_EEPKT4_S3_PKS5_S9_S3_SB_S6_S9_S3_SB_S9_PS1_PS5_21rocsparse_index_base_SE_SE_SE_bbb
; %bb.0:
	s_load_dword s7, s[4:5], 0x98
	s_load_dwordx2 s[2:3], s[4:5], 0x18
	s_load_dwordx2 s[0:1], s[4:5], 0x50
	s_waitcnt lgkmcnt(0)
	s_bitcmp1_b32 s7, 0
	s_cselect_b64 s[8:9], -1, 0
	s_bitcmp1_b32 s7, 16
	s_cselect_b64 s[10:11], -1, 0
	s_xor_b64 s[12:13], s[8:9], -1
	s_or_b64 s[12:13], s[12:13], s[10:11]
	s_and_b64 vcc, exec, s[12:13]
	s_cbranch_vccnz .LBB7_2
; %bb.1:
	s_load_dword s2, s[2:3], 0x0
	s_waitcnt lgkmcnt(0)
	v_mov_b32_e32 v10, s2
	s_branch .LBB7_3
.LBB7_2:
	v_mov_b32_e32 v1, s2
	v_cndmask_b32_e64 v10, 0, v1, s[8:9]
.LBB7_3:
	s_load_dwordx4 s[28:31], s[4:5], 0x88
	s_bitcmp1_b32 s7, 8
	s_cselect_b64 s[2:3], -1, 0
	s_xor_b64 s[12:13], s[2:3], -1
	s_or_b64 s[10:11], s[12:13], s[10:11]
	s_and_b64 vcc, exec, s[10:11]
	s_cbranch_vccnz .LBB7_5
; %bb.4:
	s_load_dword s0, s[0:1], 0x0
	s_waitcnt lgkmcnt(0)
	v_mov_b32_e32 v8, s0
	s_branch .LBB7_6
.LBB7_5:
	v_mov_b32_e32 v1, s0
	v_cndmask_b32_e64 v8, 0, v1, s[2:3]
.LBB7_6:
	s_load_dwordx4 s[36:39], s[4:5], 0x78
	s_load_dwordx8 s[12:19], s[4:5], 0x58
	s_load_dwordx4 s[40:43], s[4:5], 0x40
	s_load_dwordx8 s[20:27], s[4:5], 0x20
	s_load_dwordx4 s[44:47], s[4:5], 0x8
	s_load_dword s33, s[4:5], 0x0
	s_movk_i32 s0, 0x100
	v_cmp_gt_u32_e64 s[0:1], s0, v0
	v_lshl_add_u32 v1, v0, 2, 0
	s_and_saveexec_b64 s[4:5], s[0:1]
	s_cbranch_execz .LBB7_9
; %bb.7:
	v_or_b32_e32 v2, 0xffffff80, v0
	v_lshl_add_u32 v3, v0, 2, 0
	s_mov_b64 s[10:11], 0
	s_waitcnt lgkmcnt(0)
	v_mov_b32_e32 v4, s33
	v_mov_b32_e32 v5, 0
.LBB7_8:                                ; =>This Inner Loop Header: Depth=1
	v_add_co_u32_e32 v2, vcc, 0x80, v2
	s_xor_b64 s[34:35], vcc, -1
	s_and_b64 s[34:35], exec, s[34:35]
	ds_write2st64_b32 v3, v4, v5 offset1:4
	s_or_b64 s[10:11], s[34:35], s[10:11]
	v_add_u32_e32 v3, 0x200, v3
	s_andn2_b64 exec, exec, s[10:11]
	s_cbranch_execnz .LBB7_8
.LBB7_9:
	s_or_b64 exec, exec, s[4:5]
	s_waitcnt lgkmcnt(0)
	s_barrier
	s_load_dword s4, s[44:45], 0x0
	s_mov_b32 s5, 0
	v_lshrrev_b32_e32 v9, 4, v0
	s_waitcnt lgkmcnt(0)
	s_add_i32 s4, s4, s6
	s_lshl_b64 s[4:5], s[4:5], 2
	s_add_u32 s4, s46, s4
	s_addc_u32 s5, s47, s5
	s_load_dword s4, s[4:5], 0x0
	s_and_b64 vcc, exec, s[8:9]
	s_cbranch_vccz .LBB7_29
; %bb.10:
	s_waitcnt lgkmcnt(0)
	s_ashr_i32 s5, s4, 31
	s_lshl_b64 s[6:7], s[4:5], 2
	s_add_u32 s6, s20, s6
	s_addc_u32 s7, s21, s7
	s_load_dwordx2 s[6:7], s[6:7], 0x0
	v_subrev_u32_e32 v2, s28, v9
	s_waitcnt lgkmcnt(0)
	s_sub_i32 s5, s7, s28
	v_add_u32_e32 v2, s6, v2
	v_cmp_gt_i32_e32 vcc, s5, v2
	s_and_saveexec_b64 s[6:7], vcc
	s_cbranch_execz .LBB7_28
; %bb.11:
	v_and_b32_e32 v3, 15, v0
	v_subrev_u32_e32 v11, s29, v3
	s_mov_b64 s[8:9], 0
	v_mov_b32_e32 v12, s23
	v_mov_b32_e32 v13, s27
	s_movk_i32 s23, 0x89
	s_branch .LBB7_13
.LBB7_12:                               ;   in Loop: Header=BB7_13 Depth=1
	s_or_b64 exec, exec, s[10:11]
	v_add_u32_e32 v2, 8, v2
	v_cmp_le_i32_e32 vcc, s5, v2
	s_or_b64 s[8:9], vcc, s[8:9]
	s_andn2_b64 exec, exec, s[8:9]
	s_cbranch_execz .LBB7_28
.LBB7_13:                               ; =>This Loop Header: Depth=1
                                        ;     Child Loop BB7_16 Depth 2
                                        ;       Child Loop BB7_18 Depth 3
	v_ashrrev_i32_e32 v3, 31, v2
	v_lshlrev_b64 v[6:7], 2, v[2:3]
	v_add_co_u32_e32 v4, vcc, s22, v6
	v_addc_co_u32_e32 v5, vcc, v12, v7, vcc
	global_load_dword v3, v[4:5], off
	s_waitcnt vmcnt(0)
	v_subrev_u32_e32 v4, s28, v3
	v_ashrrev_i32_e32 v5, 31, v4
	v_lshlrev_b64 v[4:5], 2, v[4:5]
	v_add_co_u32_e32 v4, vcc, s26, v4
	v_addc_co_u32_e32 v5, vcc, v13, v5, vcc
	global_load_dwordx2 v[4:5], v[4:5], off
	s_waitcnt vmcnt(0)
	v_subrev_u32_e32 v3, s29, v5
	v_add_u32_e32 v4, v4, v11
	v_cmp_lt_i32_e32 vcc, v4, v3
	s_and_saveexec_b64 s[10:11], vcc
	s_cbranch_execz .LBB7_12
; %bb.14:                               ;   in Loop: Header=BB7_13 Depth=1
	v_mov_b32_e32 v5, s25
	v_add_co_u32_e32 v6, vcc, s24, v6
	v_addc_co_u32_e32 v7, vcc, v5, v7, vcc
	global_load_dword v5, v[6:7], off
	s_mov_b64 s[20:21], 0
	s_waitcnt vmcnt(0)
	v_mul_f32_e32 v6, v10, v5
	s_branch .LBB7_16
.LBB7_15:                               ;   in Loop: Header=BB7_16 Depth=2
	s_or_b64 exec, exec, s[34:35]
	v_add_u32_e32 v4, 16, v4
	v_cmp_ge_i32_e32 vcc, v4, v3
	s_or_b64 s[20:21], vcc, s[20:21]
	s_andn2_b64 exec, exec, s[20:21]
	s_cbranch_execz .LBB7_12
.LBB7_16:                               ;   Parent Loop BB7_13 Depth=1
                                        ; =>  This Loop Header: Depth=2
                                        ;       Child Loop BB7_18 Depth 3
	v_ashrrev_i32_e32 v5, 31, v4
	v_lshlrev_b64 v[14:15], 2, v[4:5]
	v_mov_b32_e32 v5, s41
	v_add_co_u32_e32 v16, vcc, s40, v14
	v_addc_co_u32_e32 v17, vcc, v5, v15, vcc
	global_load_dword v5, v[16:17], off
	v_mov_b32_e32 v7, s43
	v_add_co_u32_e32 v14, vcc, s42, v14
	v_addc_co_u32_e32 v15, vcc, v7, v15, vcc
	global_load_dword v7, v[14:15], off
	s_mov_b64 s[34:35], 0
	s_waitcnt vmcnt(1)
	v_subrev_u32_e32 v5, s29, v5
	v_mul_lo_u32 v14, v5, s23
	v_and_b32_e32 v14, 0xff, v14
	s_waitcnt vmcnt(0)
	v_mul_f32_e32 v7, v6, v7
	s_branch .LBB7_18
.LBB7_17:                               ;   in Loop: Header=BB7_18 Depth=3
	s_or_b64 exec, exec, s[44:45]
	s_xor_b64 s[44:45], s[46:47], -1
	s_and_b64 s[44:45], exec, s[44:45]
	s_or_b64 s[34:35], s[44:45], s[34:35]
	s_andn2_b64 exec, exec, s[34:35]
	s_cbranch_execz .LBB7_15
.LBB7_18:                               ;   Parent Loop BB7_13 Depth=1
                                        ;     Parent Loop BB7_16 Depth=2
                                        ; =>    This Inner Loop Header: Depth=3
	v_lshl_add_u32 v15, v14, 2, 0
	ds_read_b32 v16, v15
                                        ; implicit-def: $sgpr46_sgpr47
	s_waitcnt lgkmcnt(0)
	v_cmp_ne_u32_e32 vcc, v16, v5
	s_and_saveexec_b64 s[44:45], vcc
	s_xor_b64 s[44:45], exec, s[44:45]
	s_cbranch_execz .LBB7_26
; %bb.19:                               ;   in Loop: Header=BB7_18 Depth=3
	v_cmp_ne_u32_e32 vcc, s33, v16
                                        ; implicit-def: $sgpr46_sgpr47
	s_and_saveexec_b64 s[48:49], vcc
	s_xor_b64 s[48:49], exec, s[48:49]
; %bb.20:                               ;   in Loop: Header=BB7_18 Depth=3
	v_add_u32_e32 v14, 1, v14
	v_and_b32_e32 v14, 0xff, v14
	s_mov_b64 s[46:47], -1
                                        ; implicit-def: $vgpr15
; %bb.21:                               ;   in Loop: Header=BB7_18 Depth=3
	s_andn2_saveexec_b64 s[48:49], s[48:49]
	s_cbranch_execz .LBB7_25
; %bb.22:                               ;   in Loop: Header=BB7_18 Depth=3
	v_mov_b32_e32 v16, s33
	ds_cmpst_rtn_b32 v16, v15, v16, v5
	s_mov_b64 s[50:51], -1
	s_waitcnt lgkmcnt(0)
	v_cmp_eq_u32_e32 vcc, s33, v16
	s_and_saveexec_b64 s[52:53], vcc
	s_cbranch_execz .LBB7_24
; %bb.23:                               ;   in Loop: Header=BB7_18 Depth=3
	ds_add_f32 v15, v7 offset:1024
	s_xor_b64 s[50:51], exec, -1
.LBB7_24:                               ;   in Loop: Header=BB7_18 Depth=3
	s_or_b64 exec, exec, s[52:53]
	s_andn2_b64 s[46:47], s[46:47], exec
	s_and_b64 s[50:51], s[50:51], exec
	s_or_b64 s[46:47], s[46:47], s[50:51]
.LBB7_25:                               ;   in Loop: Header=BB7_18 Depth=3
	s_or_b64 exec, exec, s[48:49]
	s_and_b64 s[46:47], s[46:47], exec
                                        ; implicit-def: $vgpr15
.LBB7_26:                               ;   in Loop: Header=BB7_18 Depth=3
	s_andn2_saveexec_b64 s[44:45], s[44:45]
	s_cbranch_execz .LBB7_17
; %bb.27:                               ;   in Loop: Header=BB7_18 Depth=3
	ds_add_f32 v15, v7 offset:1024
	s_andn2_b64 s[46:47], s[46:47], exec
	s_branch .LBB7_17
.LBB7_28:
	s_or_b64 exec, exec, s[6:7]
.LBB7_29:
	s_andn2_b64 vcc, exec, s[2:3]
	s_cbranch_vccnz .LBB7_46
; %bb.30:
	s_waitcnt lgkmcnt(0)
	s_ashr_i32 s5, s4, 31
	s_lshl_b64 s[2:3], s[4:5], 2
	s_add_u32 s2, s12, s2
	s_addc_u32 s3, s13, s3
	s_load_dwordx2 s[2:3], s[2:3], 0x0
	v_subrev_u32_e32 v2, s31, v0
	s_waitcnt lgkmcnt(0)
	s_sub_i32 s5, s3, s31
	v_add_u32_e32 v2, s2, v2
	v_cmp_gt_i32_e32 vcc, s5, v2
	s_and_saveexec_b64 s[2:3], vcc
	s_cbranch_execz .LBB7_45
; %bb.31:
	s_mov_b64 s[6:7], 0
	v_mov_b32_e32 v4, s15
	v_mov_b32_e32 v5, s17
	s_movk_i32 s15, 0x89
	s_branch .LBB7_33
.LBB7_32:                               ;   in Loop: Header=BB7_33 Depth=1
	s_or_b64 exec, exec, s[8:9]
	v_add_u32_e32 v2, 0x80, v2
	v_cmp_le_i32_e32 vcc, s5, v2
	s_or_b64 s[6:7], vcc, s[6:7]
	s_andn2_b64 exec, exec, s[6:7]
	s_cbranch_execz .LBB7_45
.LBB7_33:                               ; =>This Loop Header: Depth=1
                                        ;     Child Loop BB7_35 Depth 2
	v_ashrrev_i32_e32 v3, 31, v2
	v_lshlrev_b64 v[6:7], 2, v[2:3]
	v_add_co_u32_e32 v10, vcc, s14, v6
	v_addc_co_u32_e32 v11, vcc, v4, v7, vcc
	global_load_dword v3, v[10:11], off
	v_add_co_u32_e32 v6, vcc, s16, v6
	v_addc_co_u32_e32 v7, vcc, v5, v7, vcc
	global_load_dword v6, v[6:7], off
	s_mov_b64 s[8:9], 0
	s_waitcnt vmcnt(1)
	v_subrev_u32_e32 v3, s31, v3
	v_mul_lo_u32 v7, v3, s15
	v_and_b32_e32 v7, 0xff, v7
	s_waitcnt vmcnt(0)
	v_mul_f32_e32 v6, v8, v6
	s_branch .LBB7_35
.LBB7_34:                               ;   in Loop: Header=BB7_35 Depth=2
	s_or_b64 exec, exec, s[10:11]
	s_xor_b64 s[10:11], s[12:13], -1
	s_and_b64 s[10:11], exec, s[10:11]
	s_or_b64 s[8:9], s[10:11], s[8:9]
	s_andn2_b64 exec, exec, s[8:9]
	s_cbranch_execz .LBB7_32
.LBB7_35:                               ;   Parent Loop BB7_33 Depth=1
                                        ; =>  This Inner Loop Header: Depth=2
	v_lshl_add_u32 v10, v7, 2, 0
	ds_read_b32 v11, v10
                                        ; implicit-def: $sgpr12_sgpr13
	s_waitcnt lgkmcnt(0)
	v_cmp_ne_u32_e32 vcc, v11, v3
	s_and_saveexec_b64 s[10:11], vcc
	s_xor_b64 s[10:11], exec, s[10:11]
	s_cbranch_execz .LBB7_43
; %bb.36:                               ;   in Loop: Header=BB7_35 Depth=2
	v_cmp_ne_u32_e32 vcc, s33, v11
                                        ; implicit-def: $sgpr12_sgpr13
	s_and_saveexec_b64 s[20:21], vcc
	s_xor_b64 s[20:21], exec, s[20:21]
; %bb.37:                               ;   in Loop: Header=BB7_35 Depth=2
	v_add_u32_e32 v7, 1, v7
	v_and_b32_e32 v7, 0xff, v7
	s_mov_b64 s[12:13], -1
                                        ; implicit-def: $vgpr10
; %bb.38:                               ;   in Loop: Header=BB7_35 Depth=2
	s_andn2_saveexec_b64 s[20:21], s[20:21]
	s_cbranch_execz .LBB7_42
; %bb.39:                               ;   in Loop: Header=BB7_35 Depth=2
	v_mov_b32_e32 v11, s33
	ds_cmpst_rtn_b32 v11, v10, v11, v3
	s_mov_b64 s[22:23], -1
	s_waitcnt lgkmcnt(0)
	v_cmp_eq_u32_e32 vcc, s33, v11
	s_and_saveexec_b64 s[24:25], vcc
	s_cbranch_execz .LBB7_41
; %bb.40:                               ;   in Loop: Header=BB7_35 Depth=2
	ds_add_f32 v10, v6 offset:1024
	s_xor_b64 s[22:23], exec, -1
.LBB7_41:                               ;   in Loop: Header=BB7_35 Depth=2
	s_or_b64 exec, exec, s[24:25]
	s_andn2_b64 s[12:13], s[12:13], exec
	s_and_b64 s[22:23], s[22:23], exec
	s_or_b64 s[12:13], s[12:13], s[22:23]
.LBB7_42:                               ;   in Loop: Header=BB7_35 Depth=2
	s_or_b64 exec, exec, s[20:21]
	s_and_b64 s[12:13], s[12:13], exec
                                        ; implicit-def: $vgpr10
.LBB7_43:                               ;   in Loop: Header=BB7_35 Depth=2
	s_andn2_saveexec_b64 s[10:11], s[10:11]
	s_cbranch_execz .LBB7_34
; %bb.44:                               ;   in Loop: Header=BB7_35 Depth=2
	ds_add_f32 v10, v6 offset:1024
	s_andn2_b64 s[12:13], s[12:13], exec
	s_branch .LBB7_34
.LBB7_45:
	s_or_b64 exec, exec, s[2:3]
.LBB7_46:
	s_waitcnt lgkmcnt(0)
	s_barrier
	s_and_saveexec_b64 s[6:7], s[0:1]
	s_cbranch_execz .LBB7_55
; %bb.47:
	v_mbcnt_lo_u32_b32 v2, -1, 0
	v_mbcnt_hi_u32_b32 v2, -1, v2
	v_sub_u32_e32 v2, 63, v2
	v_and_b32_e32 v4, 4, v9
	s_movk_i32 s2, 0x7f
	v_mov_b32_e32 v6, 0
	v_lshrrev_b64 v[2:3], v2, -1
	v_add_u32_e32 v7, 0, v4
	v_cmp_lt_u32_e64 s[0:1], 63, v0
	v_cmp_eq_u32_e64 s[2:3], s2, v0
	v_or_b32_e32 v8, 0xffffff80, v0
	s_mov_b64 s[8:9], 0
	v_mov_b32_e32 v9, 0
	s_branch .LBB7_49
.LBB7_48:                               ;   in Loop: Header=BB7_49 Depth=1
	s_or_b64 exec, exec, s[10:11]
	s_waitcnt lgkmcnt(0)
	s_barrier
	ds_read_b32 v4, v6 offset:2052
	v_add_co_u32_e32 v8, vcc, 0x80, v8
	s_xor_b64 s[10:11], vcc, -1
	s_and_b64 s[10:11], exec, s[10:11]
	s_waitcnt lgkmcnt(0)
	v_add_u32_e32 v9, v4, v9
	s_or_b64 s[8:9], s[10:11], s[8:9]
	v_add_u32_e32 v1, 0x200, v1
	s_andn2_b64 exec, exec, s[8:9]
	s_cbranch_execz .LBB7_55
.LBB7_49:                               ; =>This Inner Loop Header: Depth=1
	ds_read2st64_b32 v[4:5], v1 offset1:4
	s_waitcnt lgkmcnt(0)
	s_barrier
	v_cmp_gt_i32_e32 vcc, s33, v4
	v_and_b32_e32 v11, vcc_lo, v2
	s_bcnt1_i32_b64 s5, vcc
	v_and_b32_e32 v10, vcc_hi, v3
	v_bcnt_u32_b32 v11, v11, 0
	v_bcnt_u32_b32 v10, v10, v11
	v_mov_b32_e32 v11, s5
	ds_write_b32 v7, v11 offset:2048
	s_waitcnt lgkmcnt(0)
	s_barrier
	s_and_saveexec_b64 s[10:11], s[0:1]
	s_cbranch_execnz .LBB7_52
; %bb.50:                               ;   in Loop: Header=BB7_49 Depth=1
	s_or_b64 exec, exec, s[10:11]
	s_and_saveexec_b64 s[10:11], vcc
	s_cbranch_execnz .LBB7_53
.LBB7_51:                               ;   in Loop: Header=BB7_49 Depth=1
	s_or_b64 exec, exec, s[10:11]
	s_and_saveexec_b64 s[10:11], s[2:3]
	s_cbranch_execz .LBB7_48
	s_branch .LBB7_54
.LBB7_52:                               ;   in Loop: Header=BB7_49 Depth=1
	ds_read_b32 v11, v6 offset:2048
	s_waitcnt lgkmcnt(0)
	v_add_u32_e32 v10, v11, v10
	s_or_b64 exec, exec, s[10:11]
	s_and_saveexec_b64 s[10:11], vcc
	s_cbranch_execz .LBB7_51
.LBB7_53:                               ;   in Loop: Header=BB7_49 Depth=1
	v_add3_u32 v11, v9, -1, v10
	v_lshl_add_u32 v11, v11, 2, 0
	ds_write2st64_b32 v11, v4, v5 offset1:4
	s_or_b64 exec, exec, s[10:11]
	s_and_saveexec_b64 s[10:11], s[2:3]
	s_cbranch_execz .LBB7_48
.LBB7_54:                               ;   in Loop: Header=BB7_49 Depth=1
	ds_write_b32 v6, v10 offset:2052
	s_branch .LBB7_48
.LBB7_55:
	s_or_b64 exec, exec, s[6:7]
	s_ashr_i32 s5, s4, 31
	s_lshl_b64 s[0:1], s[4:5], 2
	s_add_u32 s0, s18, s0
	s_addc_u32 s1, s19, s1
	s_load_dwordx2 s[0:1], s[0:1], 0x0
	s_waitcnt lgkmcnt(0)
	s_sub_i32 s14, s1, s0
	v_cmp_gt_i32_e32 vcc, s14, v0
	s_and_saveexec_b64 s[2:3], vcc
	s_cbranch_execz .LBB7_70
; %bb.56:
	s_sub_i32 s6, s0, s30
	s_add_i32 s0, s14, -2
	s_lshr_b32 s1, s0, 1
	s_add_i32 s2, s1, 1
	s_cmp_gt_u32 s14, 1
	s_cselect_b64 s[8:9], -1, 0
	s_and_b32 s15, s14, -2
	s_and_b32 s4, s2, 7
	s_cmp_gt_u32 s0, 13
	s_cselect_b64 s[0:1], -1, 0
	s_and_b32 s16, s2, -8
	s_cmp_lg_u32 s4, 0
	s_cselect_b64 s[2:3], -1, 0
	v_cndmask_b32_e64 v1, 0, 1, s[0:1]
	s_cmp_lg_u32 s14, s15
	v_cmp_ne_u32_e64 s[0:1], 1, v1
	v_cndmask_b32_e64 v1, 0, 1, s[2:3]
	s_mov_b32 s7, 0
	s_cselect_b64 s[10:11], -1, 0
	s_lshl_b32 s17, s4, 3
	s_mov_b64 s[12:13], 0
	v_cmp_ne_u32_e64 s[2:3], 1, v1
	v_mov_b32_e32 v1, s37
	v_mov_b32_e32 v6, s39
	s_branch .LBB7_58
.LBB7_57:                               ;   in Loop: Header=BB7_58 Depth=1
	v_ashrrev_i32_e32 v5, 31, v4
	v_lshlrev_b64 v[4:5], 2, v[4:5]
	v_add_co_u32_e32 v8, vcc, s36, v4
	v_addc_co_u32_e32 v9, vcc, v1, v5, vcc
	v_add_co_u32_e32 v4, vcc, s38, v4
	v_addc_co_u32_e32 v5, vcc, v6, v5, vcc
	v_add_u32_e32 v0, 0x80, v0
	v_cmp_le_i32_e32 vcc, s14, v0
	s_waitcnt lgkmcnt(0)
	v_add_u32_e32 v2, s30, v2
	s_or_b64 s[12:13], vcc, s[12:13]
	global_store_dword v[8:9], v2, off
	global_store_dword v[4:5], v3, off
	s_andn2_b64 exec, exec, s[12:13]
	s_cbranch_execz .LBB7_70
.LBB7_58:                               ; =>This Loop Header: Depth=1
                                        ;     Child Loop BB7_61 Depth 2
                                        ;     Child Loop BB7_66 Depth 2
	;; [unrolled: 1-line block ×3, first 2 shown]
	v_lshl_add_u32 v2, v0, 2, 0
	ds_read2st64_b32 v[2:3], v2 offset1:4
	s_and_b64 vcc, exec, s[8:9]
	s_cbranch_vccz .LBB7_63
; %bb.59:                               ;   in Loop: Header=BB7_58 Depth=1
	s_and_b64 vcc, exec, s[0:1]
	s_cbranch_vccnz .LBB7_64
; %bb.60:                               ;   in Loop: Header=BB7_58 Depth=1
	s_mov_b32 s19, 0
	v_mov_b32_e32 v4, s6
	v_mov_b32_e32 v5, 0
	s_mov_b32 s20, s16
	s_mov_b32 s18, 0
.LBB7_61:                               ;   Parent Loop BB7_58 Depth=1
                                        ; =>  This Inner Loop Header: Depth=2
	v_mov_b32_e32 v7, s19
	ds_read2_b32 v[8:9], v7 offset1:1
	ds_read2_b32 v[10:11], v7 offset0:2 offset1:3
	ds_read2_b32 v[12:13], v7 offset0:4 offset1:5
	;; [unrolled: 1-line block ×7, first 2 shown]
	s_waitcnt lgkmcnt(7)
	v_cmp_gt_i32_e32 vcc, v2, v9
	s_waitcnt lgkmcnt(5)
	v_cmp_gt_i32_e64 s[4:5], v2, v12
	v_cndmask_b32_e64 v7, 0, 1, vcc
	v_cmp_gt_i32_e32 vcc, v2, v8
	v_cndmask_b32_e64 v9, 0, 1, s[4:5]
	v_cmp_gt_i32_e64 s[4:5], v2, v13
	v_cndmask_b32_e64 v8, 0, 1, vcc
	v_cmp_gt_i32_e32 vcc, v2, v11
	v_cndmask_b32_e64 v11, 0, 1, s[4:5]
	s_waitcnt lgkmcnt(3)
	v_cmp_gt_i32_e64 s[4:5], v2, v17
	v_cndmask_b32_e64 v12, 0, 1, s[4:5]
	v_cmp_gt_i32_e64 s[4:5], v2, v16
	v_cndmask_b32_e64 v13, 0, 1, s[4:5]
	s_waitcnt lgkmcnt(1)
	v_cmp_gt_i32_e64 s[4:5], v2, v20
	v_cndmask_b32_e64 v16, 0, 1, s[4:5]
	v_cmp_gt_i32_e64 s[4:5], v2, v21
	v_cndmask_b32_e64 v17, 0, 1, s[4:5]
	v_cmp_gt_i32_e64 s[4:5], v2, v10
	v_addc_co_u32_e64 v4, s[4:5], v4, v8, s[4:5]
	v_addc_co_u32_e32 v5, vcc, v5, v7, vcc
	v_cmp_gt_i32_e32 vcc, v2, v14
	v_cmp_gt_i32_e64 s[4:5], v2, v15
	v_addc_co_u32_e64 v5, s[4:5], v5, v11, s[4:5]
	v_addc_co_u32_e32 v4, vcc, v4, v9, vcc
	v_cmp_gt_i32_e32 vcc, v2, v19
	v_cmp_gt_i32_e64 s[4:5], v2, v18
	v_addc_co_u32_e64 v4, s[4:5], v4, v13, s[4:5]
	v_addc_co_u32_e32 v5, vcc, v5, v12, vcc
	s_add_i32 s18, s18, 16
	s_add_i32 s19, s19, 64
	s_add_i32 s20, s20, -8
	s_waitcnt lgkmcnt(0)
	v_cmp_gt_i32_e32 vcc, v2, v22
	v_cmp_gt_i32_e64 s[4:5], v2, v23
	s_cmp_lg_u32 s20, 0
	v_addc_co_u32_e64 v5, s[4:5], v5, v17, s[4:5]
	v_addc_co_u32_e32 v4, vcc, v4, v16, vcc
	s_cbranch_scc1 .LBB7_61
; %bb.62:                               ;   in Loop: Header=BB7_58 Depth=1
	s_and_b64 vcc, exec, s[2:3]
	s_cbranch_vccz .LBB7_65
	s_branch .LBB7_67
.LBB7_63:                               ;   in Loop: Header=BB7_58 Depth=1
	v_mov_b32_e32 v4, s6
	s_mov_b32 s18, 0
	s_cbranch_execz .LBB7_57
	s_branch .LBB7_68
.LBB7_64:                               ;   in Loop: Header=BB7_58 Depth=1
	v_pk_mov_b32 v[4:5], s[6:7], s[6:7] op_sel:[0,1]
	s_mov_b32 s18, 0
	s_and_b64 vcc, exec, s[2:3]
	s_cbranch_vccnz .LBB7_67
.LBB7_65:                               ;   in Loop: Header=BB7_58 Depth=1
	s_lshl_b32 s4, s18, 2
	s_add_i32 s4, s4, 0
	s_mov_b32 s5, s17
.LBB7_66:                               ;   Parent Loop BB7_58 Depth=1
                                        ; =>  This Inner Loop Header: Depth=2
	v_mov_b32_e32 v7, s4
	ds_read2_b32 v[8:9], v7 offset1:1
	s_add_i32 s4, s4, 8
	s_add_i32 s5, s5, -8
	s_cmp_lg_u32 s5, 0
	s_waitcnt lgkmcnt(0)
	v_cmp_gt_i32_e32 vcc, v2, v9
	v_addc_co_u32_e32 v5, vcc, 0, v5, vcc
	v_cmp_gt_i32_e32 vcc, v2, v8
	v_addc_co_u32_e32 v4, vcc, 0, v4, vcc
	s_cbranch_scc1 .LBB7_66
.LBB7_67:                               ;   in Loop: Header=BB7_58 Depth=1
	v_add_u32_e32 v4, v4, v5
	s_mov_b32 s18, s15
	s_mov_b64 s[4:5], s[10:11]
	s_and_b64 vcc, exec, s[4:5]
	s_cbranch_vccz .LBB7_57
.LBB7_68:                               ;   in Loop: Header=BB7_58 Depth=1
	s_lshl_b32 s4, s18, 2
	s_add_i32 s4, s4, 0
.LBB7_69:                               ;   Parent Loop BB7_58 Depth=1
                                        ; =>  This Inner Loop Header: Depth=2
	v_mov_b32_e32 v5, s4
	ds_read_b32 v5, v5
	s_add_i32 s18, s18, 1
	s_add_i32 s4, s4, 4
	s_cmp_ge_i32 s18, s14
	s_waitcnt lgkmcnt(0)
	v_cmp_gt_i32_e32 vcc, v2, v5
	v_addc_co_u32_e32 v4, vcc, 0, v4, vcc
	s_cbranch_scc0 .LBB7_69
	s_branch .LBB7_57
.LBB7_70:
	s_endpgm
	.section	.rodata,"a",@progbits
	.p2align	6, 0x0
	.amdhsa_kernel _ZN9rocsparseL26csrgemm_fill_block_per_rowILj128ELj16ELj256ELj137ELj64EiifEEvT5_PKS1_S3_NS_24const_host_device_scalarIT6_EEPKT4_S3_PKS5_S9_S3_SB_S6_S9_S3_SB_S9_PS1_PS5_21rocsparse_index_base_SE_SE_SE_bbb
		.amdhsa_group_segment_fixed_size 0
		.amdhsa_private_segment_fixed_size 0
		.amdhsa_kernarg_size 156
		.amdhsa_user_sgpr_count 6
		.amdhsa_user_sgpr_private_segment_buffer 1
		.amdhsa_user_sgpr_dispatch_ptr 0
		.amdhsa_user_sgpr_queue_ptr 0
		.amdhsa_user_sgpr_kernarg_segment_ptr 1
		.amdhsa_user_sgpr_dispatch_id 0
		.amdhsa_user_sgpr_flat_scratch_init 0
		.amdhsa_user_sgpr_kernarg_preload_length 0
		.amdhsa_user_sgpr_kernarg_preload_offset 0
		.amdhsa_user_sgpr_private_segment_size 0
		.amdhsa_uses_dynamic_stack 0
		.amdhsa_system_sgpr_private_segment_wavefront_offset 0
		.amdhsa_system_sgpr_workgroup_id_x 1
		.amdhsa_system_sgpr_workgroup_id_y 0
		.amdhsa_system_sgpr_workgroup_id_z 0
		.amdhsa_system_sgpr_workgroup_info 0
		.amdhsa_system_vgpr_workitem_id 0
		.amdhsa_next_free_vgpr 24
		.amdhsa_next_free_sgpr 54
		.amdhsa_accum_offset 24
		.amdhsa_reserve_vcc 1
		.amdhsa_reserve_flat_scratch 0
		.amdhsa_float_round_mode_32 0
		.amdhsa_float_round_mode_16_64 0
		.amdhsa_float_denorm_mode_32 3
		.amdhsa_float_denorm_mode_16_64 3
		.amdhsa_dx10_clamp 1
		.amdhsa_ieee_mode 1
		.amdhsa_fp16_overflow 0
		.amdhsa_tg_split 0
		.amdhsa_exception_fp_ieee_invalid_op 0
		.amdhsa_exception_fp_denorm_src 0
		.amdhsa_exception_fp_ieee_div_zero 0
		.amdhsa_exception_fp_ieee_overflow 0
		.amdhsa_exception_fp_ieee_underflow 0
		.amdhsa_exception_fp_ieee_inexact 0
		.amdhsa_exception_int_div_zero 0
	.end_amdhsa_kernel
	.section	.text._ZN9rocsparseL26csrgemm_fill_block_per_rowILj128ELj16ELj256ELj137ELj64EiifEEvT5_PKS1_S3_NS_24const_host_device_scalarIT6_EEPKT4_S3_PKS5_S9_S3_SB_S6_S9_S3_SB_S9_PS1_PS5_21rocsparse_index_base_SE_SE_SE_bbb,"axG",@progbits,_ZN9rocsparseL26csrgemm_fill_block_per_rowILj128ELj16ELj256ELj137ELj64EiifEEvT5_PKS1_S3_NS_24const_host_device_scalarIT6_EEPKT4_S3_PKS5_S9_S3_SB_S6_S9_S3_SB_S9_PS1_PS5_21rocsparse_index_base_SE_SE_SE_bbb,comdat
.Lfunc_end7:
	.size	_ZN9rocsparseL26csrgemm_fill_block_per_rowILj128ELj16ELj256ELj137ELj64EiifEEvT5_PKS1_S3_NS_24const_host_device_scalarIT6_EEPKT4_S3_PKS5_S9_S3_SB_S6_S9_S3_SB_S9_PS1_PS5_21rocsparse_index_base_SE_SE_SE_bbb, .Lfunc_end7-_ZN9rocsparseL26csrgemm_fill_block_per_rowILj128ELj16ELj256ELj137ELj64EiifEEvT5_PKS1_S3_NS_24const_host_device_scalarIT6_EEPKT4_S3_PKS5_S9_S3_SB_S6_S9_S3_SB_S9_PS1_PS5_21rocsparse_index_base_SE_SE_SE_bbb
                                        ; -- End function
	.section	.AMDGPU.csdata,"",@progbits
; Kernel info:
; codeLenInByte = 2440
; NumSgprs: 58
; NumVgprs: 24
; NumAgprs: 0
; TotalNumVgprs: 24
; ScratchSize: 0
; MemoryBound: 0
; FloatMode: 240
; IeeeMode: 1
; LDSByteSize: 0 bytes/workgroup (compile time only)
; SGPRBlocks: 7
; VGPRBlocks: 2
; NumSGPRsForWavesPerEU: 58
; NumVGPRsForWavesPerEU: 24
; AccumOffset: 24
; Occupancy: 8
; WaveLimiterHint : 1
; COMPUTE_PGM_RSRC2:SCRATCH_EN: 0
; COMPUTE_PGM_RSRC2:USER_SGPR: 6
; COMPUTE_PGM_RSRC2:TRAP_HANDLER: 0
; COMPUTE_PGM_RSRC2:TGID_X_EN: 1
; COMPUTE_PGM_RSRC2:TGID_Y_EN: 0
; COMPUTE_PGM_RSRC2:TGID_Z_EN: 0
; COMPUTE_PGM_RSRC2:TIDIG_COMP_CNT: 0
; COMPUTE_PGM_RSRC3_GFX90A:ACCUM_OFFSET: 5
; COMPUTE_PGM_RSRC3_GFX90A:TG_SPLIT: 0
	.section	.text._ZN9rocsparseL26csrgemm_fill_block_per_rowILj256ELj32ELj512ELj137ELj32EiifEEvT5_PKS1_S3_NS_24const_host_device_scalarIT6_EEPKT4_S3_PKS5_S9_S3_SB_S6_S9_S3_SB_S9_PS1_PS5_21rocsparse_index_base_SE_SE_SE_bbb,"axG",@progbits,_ZN9rocsparseL26csrgemm_fill_block_per_rowILj256ELj32ELj512ELj137ELj32EiifEEvT5_PKS1_S3_NS_24const_host_device_scalarIT6_EEPKT4_S3_PKS5_S9_S3_SB_S6_S9_S3_SB_S9_PS1_PS5_21rocsparse_index_base_SE_SE_SE_bbb,comdat
	.globl	_ZN9rocsparseL26csrgemm_fill_block_per_rowILj256ELj32ELj512ELj137ELj32EiifEEvT5_PKS1_S3_NS_24const_host_device_scalarIT6_EEPKT4_S3_PKS5_S9_S3_SB_S6_S9_S3_SB_S9_PS1_PS5_21rocsparse_index_base_SE_SE_SE_bbb ; -- Begin function _ZN9rocsparseL26csrgemm_fill_block_per_rowILj256ELj32ELj512ELj137ELj32EiifEEvT5_PKS1_S3_NS_24const_host_device_scalarIT6_EEPKT4_S3_PKS5_S9_S3_SB_S6_S9_S3_SB_S9_PS1_PS5_21rocsparse_index_base_SE_SE_SE_bbb
	.p2align	8
	.type	_ZN9rocsparseL26csrgemm_fill_block_per_rowILj256ELj32ELj512ELj137ELj32EiifEEvT5_PKS1_S3_NS_24const_host_device_scalarIT6_EEPKT4_S3_PKS5_S9_S3_SB_S6_S9_S3_SB_S9_PS1_PS5_21rocsparse_index_base_SE_SE_SE_bbb,@function
_ZN9rocsparseL26csrgemm_fill_block_per_rowILj256ELj32ELj512ELj137ELj32EiifEEvT5_PKS1_S3_NS_24const_host_device_scalarIT6_EEPKT4_S3_PKS5_S9_S3_SB_S6_S9_S3_SB_S9_PS1_PS5_21rocsparse_index_base_SE_SE_SE_bbb: ; @_ZN9rocsparseL26csrgemm_fill_block_per_rowILj256ELj32ELj512ELj137ELj32EiifEEvT5_PKS1_S3_NS_24const_host_device_scalarIT6_EEPKT4_S3_PKS5_S9_S3_SB_S6_S9_S3_SB_S9_PS1_PS5_21rocsparse_index_base_SE_SE_SE_bbb
; %bb.0:
	s_load_dword s7, s[4:5], 0x98
	s_load_dwordx2 s[2:3], s[4:5], 0x18
	s_load_dwordx2 s[0:1], s[4:5], 0x50
	s_waitcnt lgkmcnt(0)
	s_bitcmp1_b32 s7, 0
	s_cselect_b64 s[8:9], -1, 0
	s_bitcmp1_b32 s7, 16
	s_cselect_b64 s[10:11], -1, 0
	s_xor_b64 s[12:13], s[8:9], -1
	s_or_b64 s[12:13], s[12:13], s[10:11]
	s_and_b64 vcc, exec, s[12:13]
	s_cbranch_vccnz .LBB8_2
; %bb.1:
	s_load_dword s2, s[2:3], 0x0
	s_waitcnt lgkmcnt(0)
	v_mov_b32_e32 v10, s2
	s_branch .LBB8_3
.LBB8_2:
	v_mov_b32_e32 v1, s2
	v_cndmask_b32_e64 v10, 0, v1, s[8:9]
.LBB8_3:
	s_load_dwordx4 s[28:31], s[4:5], 0x88
	s_bitcmp1_b32 s7, 8
	s_cselect_b64 s[2:3], -1, 0
	s_xor_b64 s[12:13], s[2:3], -1
	s_or_b64 s[10:11], s[12:13], s[10:11]
	s_and_b64 vcc, exec, s[10:11]
	s_cbranch_vccnz .LBB8_5
; %bb.4:
	s_load_dword s0, s[0:1], 0x0
	s_waitcnt lgkmcnt(0)
	v_mov_b32_e32 v8, s0
	s_branch .LBB8_6
.LBB8_5:
	v_mov_b32_e32 v1, s0
	v_cndmask_b32_e64 v8, 0, v1, s[2:3]
.LBB8_6:
	s_load_dwordx4 s[36:39], s[4:5], 0x78
	s_load_dwordx8 s[12:19], s[4:5], 0x58
	s_load_dwordx4 s[40:43], s[4:5], 0x40
	s_load_dwordx8 s[20:27], s[4:5], 0x20
	s_load_dwordx4 s[44:47], s[4:5], 0x8
	s_load_dword s33, s[4:5], 0x0
	s_movk_i32 s0, 0x200
	v_cmp_gt_u32_e64 s[0:1], s0, v0
	v_lshl_add_u32 v1, v0, 2, 0
	s_and_saveexec_b64 s[4:5], s[0:1]
	s_cbranch_execz .LBB8_9
; %bb.7:
	v_or_b32_e32 v2, 0xffffff00, v0
	v_lshl_add_u32 v3, v0, 2, 0
	s_mov_b64 s[10:11], 0
	s_waitcnt lgkmcnt(0)
	v_mov_b32_e32 v4, s33
	v_mov_b32_e32 v5, 0
.LBB8_8:                                ; =>This Inner Loop Header: Depth=1
	v_add_co_u32_e32 v2, vcc, 0x100, v2
	s_xor_b64 s[34:35], vcc, -1
	s_and_b64 s[34:35], exec, s[34:35]
	ds_write2st64_b32 v3, v4, v5 offset1:8
	s_or_b64 s[10:11], s[34:35], s[10:11]
	v_add_u32_e32 v3, 0x400, v3
	s_andn2_b64 exec, exec, s[10:11]
	s_cbranch_execnz .LBB8_8
.LBB8_9:
	s_or_b64 exec, exec, s[4:5]
	s_waitcnt lgkmcnt(0)
	s_barrier
	s_load_dword s4, s[44:45], 0x0
	s_mov_b32 s5, 0
	v_lshrrev_b32_e32 v9, 5, v0
	s_waitcnt lgkmcnt(0)
	s_add_i32 s4, s4, s6
	s_lshl_b64 s[4:5], s[4:5], 2
	s_add_u32 s4, s46, s4
	s_addc_u32 s5, s47, s5
	s_load_dword s34, s[4:5], 0x0
	s_and_b64 vcc, exec, s[8:9]
	s_cbranch_vccz .LBB8_29
; %bb.10:
	s_waitcnt lgkmcnt(0)
	s_ashr_i32 s35, s34, 31
	s_lshl_b64 s[4:5], s[34:35], 2
	s_add_u32 s4, s20, s4
	s_addc_u32 s5, s21, s5
	s_load_dwordx2 s[4:5], s[4:5], 0x0
	v_subrev_u32_e32 v2, s28, v9
	s_waitcnt lgkmcnt(0)
	s_sub_i32 s35, s5, s28
	v_add_u32_e32 v2, s4, v2
	v_cmp_gt_i32_e32 vcc, s35, v2
	s_and_saveexec_b64 s[4:5], vcc
	s_cbranch_execz .LBB8_28
; %bb.11:
	v_and_b32_e32 v3, 31, v0
	v_subrev_u32_e32 v11, s29, v3
	s_mov_b64 s[6:7], 0
	v_mov_b32_e32 v12, s23
	v_mov_b32_e32 v13, s27
	s_movk_i32 s23, 0x89
	s_branch .LBB8_13
.LBB8_12:                               ;   in Loop: Header=BB8_13 Depth=1
	s_or_b64 exec, exec, s[8:9]
	v_add_u32_e32 v2, 8, v2
	v_cmp_le_i32_e32 vcc, s35, v2
	s_or_b64 s[6:7], vcc, s[6:7]
	s_andn2_b64 exec, exec, s[6:7]
	s_cbranch_execz .LBB8_28
.LBB8_13:                               ; =>This Loop Header: Depth=1
                                        ;     Child Loop BB8_16 Depth 2
                                        ;       Child Loop BB8_18 Depth 3
	v_ashrrev_i32_e32 v3, 31, v2
	v_lshlrev_b64 v[6:7], 2, v[2:3]
	v_add_co_u32_e32 v4, vcc, s22, v6
	v_addc_co_u32_e32 v5, vcc, v12, v7, vcc
	global_load_dword v3, v[4:5], off
	s_waitcnt vmcnt(0)
	v_subrev_u32_e32 v4, s28, v3
	v_ashrrev_i32_e32 v5, 31, v4
	v_lshlrev_b64 v[4:5], 2, v[4:5]
	v_add_co_u32_e32 v4, vcc, s26, v4
	v_addc_co_u32_e32 v5, vcc, v13, v5, vcc
	global_load_dwordx2 v[4:5], v[4:5], off
	s_waitcnt vmcnt(0)
	v_subrev_u32_e32 v3, s29, v5
	v_add_u32_e32 v4, v4, v11
	v_cmp_lt_i32_e32 vcc, v4, v3
	s_and_saveexec_b64 s[8:9], vcc
	s_cbranch_execz .LBB8_12
; %bb.14:                               ;   in Loop: Header=BB8_13 Depth=1
	v_mov_b32_e32 v5, s25
	v_add_co_u32_e32 v6, vcc, s24, v6
	v_addc_co_u32_e32 v7, vcc, v5, v7, vcc
	global_load_dword v5, v[6:7], off
	s_mov_b64 s[10:11], 0
	s_waitcnt vmcnt(0)
	v_mul_f32_e32 v6, v10, v5
	s_branch .LBB8_16
.LBB8_15:                               ;   in Loop: Header=BB8_16 Depth=2
	s_or_b64 exec, exec, s[20:21]
	v_add_u32_e32 v4, 32, v4
	v_cmp_ge_i32_e32 vcc, v4, v3
	s_or_b64 s[10:11], vcc, s[10:11]
	s_andn2_b64 exec, exec, s[10:11]
	s_cbranch_execz .LBB8_12
.LBB8_16:                               ;   Parent Loop BB8_13 Depth=1
                                        ; =>  This Loop Header: Depth=2
                                        ;       Child Loop BB8_18 Depth 3
	v_ashrrev_i32_e32 v5, 31, v4
	v_lshlrev_b64 v[14:15], 2, v[4:5]
	v_mov_b32_e32 v5, s41
	v_add_co_u32_e32 v16, vcc, s40, v14
	v_addc_co_u32_e32 v17, vcc, v5, v15, vcc
	global_load_dword v5, v[16:17], off
	v_mov_b32_e32 v7, s43
	v_add_co_u32_e32 v14, vcc, s42, v14
	v_addc_co_u32_e32 v15, vcc, v7, v15, vcc
	global_load_dword v7, v[14:15], off
	s_mov_b64 s[20:21], 0
	s_waitcnt vmcnt(1)
	v_subrev_u32_e32 v5, s29, v5
	v_mul_lo_u32 v14, v5, s23
	v_and_b32_e32 v14, 0x1ff, v14
	s_waitcnt vmcnt(0)
	v_mul_f32_e32 v7, v6, v7
	s_branch .LBB8_18
.LBB8_17:                               ;   in Loop: Header=BB8_18 Depth=3
	s_or_b64 exec, exec, s[44:45]
	s_xor_b64 s[44:45], s[46:47], -1
	s_and_b64 s[44:45], exec, s[44:45]
	s_or_b64 s[20:21], s[44:45], s[20:21]
	s_andn2_b64 exec, exec, s[20:21]
	s_cbranch_execz .LBB8_15
.LBB8_18:                               ;   Parent Loop BB8_13 Depth=1
                                        ;     Parent Loop BB8_16 Depth=2
                                        ; =>    This Inner Loop Header: Depth=3
	v_lshl_add_u32 v15, v14, 2, 0
	ds_read_b32 v16, v15
                                        ; implicit-def: $sgpr46_sgpr47
	s_waitcnt lgkmcnt(0)
	v_cmp_ne_u32_e32 vcc, v16, v5
	s_and_saveexec_b64 s[44:45], vcc
	s_xor_b64 s[44:45], exec, s[44:45]
	s_cbranch_execz .LBB8_26
; %bb.19:                               ;   in Loop: Header=BB8_18 Depth=3
	v_cmp_ne_u32_e32 vcc, s33, v16
                                        ; implicit-def: $sgpr46_sgpr47
	s_and_saveexec_b64 s[48:49], vcc
	s_xor_b64 s[48:49], exec, s[48:49]
; %bb.20:                               ;   in Loop: Header=BB8_18 Depth=3
	v_add_u32_e32 v14, 1, v14
	v_and_b32_e32 v14, 0x1ff, v14
	s_mov_b64 s[46:47], -1
                                        ; implicit-def: $vgpr15
; %bb.21:                               ;   in Loop: Header=BB8_18 Depth=3
	s_andn2_saveexec_b64 s[48:49], s[48:49]
	s_cbranch_execz .LBB8_25
; %bb.22:                               ;   in Loop: Header=BB8_18 Depth=3
	v_mov_b32_e32 v16, s33
	ds_cmpst_rtn_b32 v16, v15, v16, v5
	s_mov_b64 s[50:51], -1
	s_waitcnt lgkmcnt(0)
	v_cmp_eq_u32_e32 vcc, s33, v16
	s_and_saveexec_b64 s[52:53], vcc
	s_cbranch_execz .LBB8_24
; %bb.23:                               ;   in Loop: Header=BB8_18 Depth=3
	ds_add_f32 v15, v7 offset:2048
	s_xor_b64 s[50:51], exec, -1
.LBB8_24:                               ;   in Loop: Header=BB8_18 Depth=3
	s_or_b64 exec, exec, s[52:53]
	s_andn2_b64 s[46:47], s[46:47], exec
	s_and_b64 s[50:51], s[50:51], exec
	s_or_b64 s[46:47], s[46:47], s[50:51]
.LBB8_25:                               ;   in Loop: Header=BB8_18 Depth=3
	s_or_b64 exec, exec, s[48:49]
	s_and_b64 s[46:47], s[46:47], exec
                                        ; implicit-def: $vgpr15
.LBB8_26:                               ;   in Loop: Header=BB8_18 Depth=3
	s_andn2_saveexec_b64 s[44:45], s[44:45]
	s_cbranch_execz .LBB8_17
; %bb.27:                               ;   in Loop: Header=BB8_18 Depth=3
	ds_add_f32 v15, v7 offset:2048
	s_andn2_b64 s[46:47], s[46:47], exec
	s_branch .LBB8_17
.LBB8_28:
	s_or_b64 exec, exec, s[4:5]
.LBB8_29:
	s_andn2_b64 vcc, exec, s[2:3]
	s_cbranch_vccnz .LBB8_46
; %bb.30:
	s_waitcnt lgkmcnt(0)
	s_ashr_i32 s35, s34, 31
	s_lshl_b64 s[2:3], s[34:35], 2
	s_add_u32 s2, s12, s2
	s_addc_u32 s3, s13, s3
	s_load_dwordx2 s[2:3], s[2:3], 0x0
	v_subrev_u32_e32 v2, s31, v0
	s_waitcnt lgkmcnt(0)
	s_sub_i32 s24, s3, s31
	v_add_u32_e32 v2, s2, v2
	v_cmp_gt_i32_e32 vcc, s24, v2
	s_and_saveexec_b64 s[2:3], vcc
	s_cbranch_execz .LBB8_45
; %bb.31:
	s_mov_b64 s[4:5], 0
	v_mov_b32_e32 v4, s15
	v_mov_b32_e32 v5, s17
	s_movk_i32 s15, 0x89
	s_branch .LBB8_33
.LBB8_32:                               ;   in Loop: Header=BB8_33 Depth=1
	s_or_b64 exec, exec, s[6:7]
	v_add_u32_e32 v2, 0x100, v2
	v_cmp_le_i32_e32 vcc, s24, v2
	s_or_b64 s[4:5], vcc, s[4:5]
	s_andn2_b64 exec, exec, s[4:5]
	s_cbranch_execz .LBB8_45
.LBB8_33:                               ; =>This Loop Header: Depth=1
                                        ;     Child Loop BB8_35 Depth 2
	v_ashrrev_i32_e32 v3, 31, v2
	v_lshlrev_b64 v[6:7], 2, v[2:3]
	v_add_co_u32_e32 v10, vcc, s14, v6
	v_addc_co_u32_e32 v11, vcc, v4, v7, vcc
	global_load_dword v3, v[10:11], off
	v_add_co_u32_e32 v6, vcc, s16, v6
	v_addc_co_u32_e32 v7, vcc, v5, v7, vcc
	global_load_dword v6, v[6:7], off
	s_mov_b64 s[6:7], 0
	s_waitcnt vmcnt(1)
	v_subrev_u32_e32 v3, s31, v3
	v_mul_lo_u32 v7, v3, s15
	v_and_b32_e32 v7, 0x1ff, v7
	s_waitcnt vmcnt(0)
	v_mul_f32_e32 v6, v8, v6
	s_branch .LBB8_35
.LBB8_34:                               ;   in Loop: Header=BB8_35 Depth=2
	s_or_b64 exec, exec, s[8:9]
	s_xor_b64 s[8:9], s[10:11], -1
	s_and_b64 s[8:9], exec, s[8:9]
	s_or_b64 s[6:7], s[8:9], s[6:7]
	s_andn2_b64 exec, exec, s[6:7]
	s_cbranch_execz .LBB8_32
.LBB8_35:                               ;   Parent Loop BB8_33 Depth=1
                                        ; =>  This Inner Loop Header: Depth=2
	v_lshl_add_u32 v10, v7, 2, 0
	ds_read_b32 v11, v10
                                        ; implicit-def: $sgpr10_sgpr11
	s_waitcnt lgkmcnt(0)
	v_cmp_ne_u32_e32 vcc, v11, v3
	s_and_saveexec_b64 s[8:9], vcc
	s_xor_b64 s[8:9], exec, s[8:9]
	s_cbranch_execz .LBB8_43
; %bb.36:                               ;   in Loop: Header=BB8_35 Depth=2
	v_cmp_ne_u32_e32 vcc, s33, v11
                                        ; implicit-def: $sgpr10_sgpr11
	s_and_saveexec_b64 s[12:13], vcc
	s_xor_b64 s[12:13], exec, s[12:13]
; %bb.37:                               ;   in Loop: Header=BB8_35 Depth=2
	v_add_u32_e32 v7, 1, v7
	v_and_b32_e32 v7, 0x1ff, v7
	s_mov_b64 s[10:11], -1
                                        ; implicit-def: $vgpr10
; %bb.38:                               ;   in Loop: Header=BB8_35 Depth=2
	s_andn2_saveexec_b64 s[12:13], s[12:13]
	s_cbranch_execz .LBB8_42
; %bb.39:                               ;   in Loop: Header=BB8_35 Depth=2
	v_mov_b32_e32 v11, s33
	ds_cmpst_rtn_b32 v11, v10, v11, v3
	s_mov_b64 s[20:21], -1
	s_waitcnt lgkmcnt(0)
	v_cmp_eq_u32_e32 vcc, s33, v11
	s_and_saveexec_b64 s[22:23], vcc
	s_cbranch_execz .LBB8_41
; %bb.40:                               ;   in Loop: Header=BB8_35 Depth=2
	ds_add_f32 v10, v6 offset:2048
	s_xor_b64 s[20:21], exec, -1
.LBB8_41:                               ;   in Loop: Header=BB8_35 Depth=2
	s_or_b64 exec, exec, s[22:23]
	s_andn2_b64 s[10:11], s[10:11], exec
	s_and_b64 s[20:21], s[20:21], exec
	s_or_b64 s[10:11], s[10:11], s[20:21]
.LBB8_42:                               ;   in Loop: Header=BB8_35 Depth=2
	s_or_b64 exec, exec, s[12:13]
	s_and_b64 s[10:11], s[10:11], exec
                                        ; implicit-def: $vgpr10
.LBB8_43:                               ;   in Loop: Header=BB8_35 Depth=2
	s_andn2_saveexec_b64 s[8:9], s[8:9]
	s_cbranch_execz .LBB8_34
; %bb.44:                               ;   in Loop: Header=BB8_35 Depth=2
	ds_add_f32 v10, v6 offset:2048
	s_andn2_b64 s[10:11], s[10:11], exec
	s_branch .LBB8_34
.LBB8_45:
	s_or_b64 exec, exec, s[2:3]
.LBB8_46:
	s_waitcnt lgkmcnt(0)
	s_barrier
	s_and_saveexec_b64 s[16:17], s[0:1]
	s_cbranch_execz .LBB8_67
; %bb.47:
	v_mbcnt_lo_u32_b32 v2, -1, 0
	v_mbcnt_hi_u32_b32 v2, -1, v2
	v_sub_u32_e32 v2, 63, v2
	s_movk_i32 s0, 0xff
	s_movk_i32 s6, 0x5f
	;; [unrolled: 1-line block ×6, first 2 shown]
	v_mov_b32_e32 v6, 0
	v_lshrrev_b64 v[2:3], v2, -1
	v_lshl_add_u32 v7, v9, 2, 0
	v_cmp_eq_u32_e64 s[0:1], s0, v0
	v_cmp_lt_u32_e64 s[2:3], 31, v0
	v_cmp_lt_u32_e64 s[4:5], 63, v0
	;; [unrolled: 1-line block ×7, first 2 shown]
	v_or_b32_e32 v8, 0xffffff00, v0
	s_mov_b64 s[20:21], 0
	v_mov_b32_e32 v9, 0
	s_branch .LBB8_49
.LBB8_48:                               ;   in Loop: Header=BB8_49 Depth=1
	s_or_b64 exec, exec, s[22:23]
	s_waitcnt lgkmcnt(0)
	s_barrier
	ds_read_b32 v4, v6 offset:4124
	v_add_co_u32_e32 v8, vcc, 0x100, v8
	s_xor_b64 s[22:23], vcc, -1
	s_and_b64 s[22:23], exec, s[22:23]
	s_waitcnt lgkmcnt(0)
	v_add_u32_e32 v9, v4, v9
	s_or_b64 s[20:21], s[22:23], s[20:21]
	v_add_u32_e32 v1, 0x400, v1
	s_andn2_b64 exec, exec, s[20:21]
	s_cbranch_execz .LBB8_67
.LBB8_49:                               ; =>This Inner Loop Header: Depth=1
	ds_read2st64_b32 v[4:5], v1 offset1:8
	s_waitcnt lgkmcnt(0)
	s_barrier
	v_cmp_gt_i32_e32 vcc, s33, v4
	v_and_b32_e32 v11, vcc_lo, v2
	s_bcnt1_i32_b64 s22, vcc
	v_and_b32_e32 v10, vcc_hi, v3
	v_bcnt_u32_b32 v11, v11, 0
	v_bcnt_u32_b32 v10, v10, v11
	v_mov_b32_e32 v11, s22
	ds_write_b32 v7, v11 offset:4096
	s_waitcnt lgkmcnt(0)
	s_barrier
	s_and_saveexec_b64 s[22:23], s[2:3]
	s_cbranch_execnz .LBB8_58
; %bb.50:                               ;   in Loop: Header=BB8_49 Depth=1
	s_or_b64 exec, exec, s[22:23]
	s_and_saveexec_b64 s[22:23], s[4:5]
	s_cbranch_execnz .LBB8_59
.LBB8_51:                               ;   in Loop: Header=BB8_49 Depth=1
	s_or_b64 exec, exec, s[22:23]
	s_and_saveexec_b64 s[22:23], s[6:7]
	s_cbranch_execnz .LBB8_60
.LBB8_52:                               ;   in Loop: Header=BB8_49 Depth=1
	s_or_b64 exec, exec, s[22:23]
	s_and_saveexec_b64 s[22:23], s[8:9]
	s_cbranch_execnz .LBB8_61
.LBB8_53:                               ;   in Loop: Header=BB8_49 Depth=1
	s_or_b64 exec, exec, s[22:23]
	s_and_saveexec_b64 s[22:23], s[10:11]
	s_cbranch_execnz .LBB8_62
.LBB8_54:                               ;   in Loop: Header=BB8_49 Depth=1
	s_or_b64 exec, exec, s[22:23]
	s_and_saveexec_b64 s[22:23], s[12:13]
	s_cbranch_execnz .LBB8_63
.LBB8_55:                               ;   in Loop: Header=BB8_49 Depth=1
	s_or_b64 exec, exec, s[22:23]
	s_and_saveexec_b64 s[22:23], s[14:15]
	s_cbranch_execnz .LBB8_64
.LBB8_56:                               ;   in Loop: Header=BB8_49 Depth=1
	s_or_b64 exec, exec, s[22:23]
	s_and_saveexec_b64 s[22:23], vcc
	s_cbranch_execnz .LBB8_65
.LBB8_57:                               ;   in Loop: Header=BB8_49 Depth=1
	s_or_b64 exec, exec, s[22:23]
	s_and_saveexec_b64 s[22:23], s[0:1]
	s_cbranch_execz .LBB8_48
	s_branch .LBB8_66
.LBB8_58:                               ;   in Loop: Header=BB8_49 Depth=1
	ds_read_b32 v11, v6 offset:4096
	s_waitcnt lgkmcnt(0)
	v_add_u32_e32 v10, v11, v10
	s_or_b64 exec, exec, s[22:23]
	s_and_saveexec_b64 s[22:23], s[4:5]
	s_cbranch_execz .LBB8_51
.LBB8_59:                               ;   in Loop: Header=BB8_49 Depth=1
	ds_read_b32 v11, v6 offset:4100
	s_waitcnt lgkmcnt(0)
	v_add_u32_e32 v10, v11, v10
	s_or_b64 exec, exec, s[22:23]
	s_and_saveexec_b64 s[22:23], s[6:7]
	s_cbranch_execz .LBB8_52
.LBB8_60:                               ;   in Loop: Header=BB8_49 Depth=1
	ds_read_b32 v11, v6 offset:4104
	s_waitcnt lgkmcnt(0)
	v_add_u32_e32 v10, v11, v10
	s_or_b64 exec, exec, s[22:23]
	s_and_saveexec_b64 s[22:23], s[8:9]
	s_cbranch_execz .LBB8_53
.LBB8_61:                               ;   in Loop: Header=BB8_49 Depth=1
	ds_read_b32 v11, v6 offset:4108
	s_waitcnt lgkmcnt(0)
	v_add_u32_e32 v10, v11, v10
	s_or_b64 exec, exec, s[22:23]
	s_and_saveexec_b64 s[22:23], s[10:11]
	s_cbranch_execz .LBB8_54
.LBB8_62:                               ;   in Loop: Header=BB8_49 Depth=1
	ds_read_b32 v11, v6 offset:4112
	s_waitcnt lgkmcnt(0)
	v_add_u32_e32 v10, v11, v10
	s_or_b64 exec, exec, s[22:23]
	s_and_saveexec_b64 s[22:23], s[12:13]
	s_cbranch_execz .LBB8_55
.LBB8_63:                               ;   in Loop: Header=BB8_49 Depth=1
	ds_read_b32 v11, v6 offset:4116
	s_waitcnt lgkmcnt(0)
	v_add_u32_e32 v10, v11, v10
	s_or_b64 exec, exec, s[22:23]
	s_and_saveexec_b64 s[22:23], s[14:15]
	s_cbranch_execz .LBB8_56
.LBB8_64:                               ;   in Loop: Header=BB8_49 Depth=1
	ds_read_b32 v11, v6 offset:4120
	s_waitcnt lgkmcnt(0)
	v_add_u32_e32 v10, v11, v10
	s_or_b64 exec, exec, s[22:23]
	s_and_saveexec_b64 s[22:23], vcc
	s_cbranch_execz .LBB8_57
.LBB8_65:                               ;   in Loop: Header=BB8_49 Depth=1
	v_add3_u32 v11, v9, -1, v10
	v_lshl_add_u32 v11, v11, 2, 0
	ds_write2st64_b32 v11, v4, v5 offset1:8
	s_or_b64 exec, exec, s[22:23]
	s_and_saveexec_b64 s[22:23], s[0:1]
	s_cbranch_execz .LBB8_48
.LBB8_66:                               ;   in Loop: Header=BB8_49 Depth=1
	ds_write_b32 v6, v10 offset:4124
	s_branch .LBB8_48
.LBB8_67:
	s_or_b64 exec, exec, s[16:17]
	s_ashr_i32 s35, s34, 31
	s_lshl_b64 s[0:1], s[34:35], 2
	s_add_u32 s0, s18, s0
	s_addc_u32 s1, s19, s1
	s_load_dwordx2 s[0:1], s[0:1], 0x0
	s_waitcnt lgkmcnt(0)
	s_sub_i32 s14, s1, s0
	v_cmp_gt_i32_e32 vcc, s14, v0
	s_and_saveexec_b64 s[2:3], vcc
	s_cbranch_execz .LBB8_82
; %bb.68:
	s_sub_i32 s6, s0, s30
	s_add_i32 s0, s14, -2
	s_lshr_b32 s1, s0, 1
	s_add_i32 s2, s1, 1
	s_cmp_gt_u32 s14, 1
	s_cselect_b64 s[8:9], -1, 0
	s_and_b32 s15, s14, -2
	s_and_b32 s4, s2, 7
	s_cmp_gt_u32 s0, 13
	s_cselect_b64 s[0:1], -1, 0
	s_and_b32 s16, s2, -8
	s_cmp_lg_u32 s4, 0
	s_cselect_b64 s[2:3], -1, 0
	v_cndmask_b32_e64 v1, 0, 1, s[0:1]
	s_cmp_lg_u32 s14, s15
	v_cmp_ne_u32_e64 s[0:1], 1, v1
	v_cndmask_b32_e64 v1, 0, 1, s[2:3]
	s_mov_b32 s7, 0
	s_cselect_b64 s[10:11], -1, 0
	s_lshl_b32 s17, s4, 3
	s_mov_b64 s[12:13], 0
	v_cmp_ne_u32_e64 s[2:3], 1, v1
	v_mov_b32_e32 v1, s37
	v_mov_b32_e32 v6, s39
	s_branch .LBB8_70
.LBB8_69:                               ;   in Loop: Header=BB8_70 Depth=1
	v_ashrrev_i32_e32 v5, 31, v4
	v_lshlrev_b64 v[4:5], 2, v[4:5]
	v_add_co_u32_e32 v8, vcc, s36, v4
	v_addc_co_u32_e32 v9, vcc, v1, v5, vcc
	v_add_co_u32_e32 v4, vcc, s38, v4
	v_addc_co_u32_e32 v5, vcc, v6, v5, vcc
	v_add_u32_e32 v0, 0x100, v0
	v_cmp_le_i32_e32 vcc, s14, v0
	s_waitcnt lgkmcnt(0)
	v_add_u32_e32 v2, s30, v2
	s_or_b64 s[12:13], vcc, s[12:13]
	global_store_dword v[8:9], v2, off
	global_store_dword v[4:5], v3, off
	s_andn2_b64 exec, exec, s[12:13]
	s_cbranch_execz .LBB8_82
.LBB8_70:                               ; =>This Loop Header: Depth=1
                                        ;     Child Loop BB8_73 Depth 2
                                        ;     Child Loop BB8_78 Depth 2
	;; [unrolled: 1-line block ×3, first 2 shown]
	v_lshl_add_u32 v2, v0, 2, 0
	ds_read2st64_b32 v[2:3], v2 offset1:8
	s_and_b64 vcc, exec, s[8:9]
	s_cbranch_vccz .LBB8_75
; %bb.71:                               ;   in Loop: Header=BB8_70 Depth=1
	s_and_b64 vcc, exec, s[0:1]
	s_cbranch_vccnz .LBB8_76
; %bb.72:                               ;   in Loop: Header=BB8_70 Depth=1
	s_mov_b32 s19, 0
	v_mov_b32_e32 v4, s6
	v_mov_b32_e32 v5, 0
	s_mov_b32 s20, s16
	s_mov_b32 s18, 0
.LBB8_73:                               ;   Parent Loop BB8_70 Depth=1
                                        ; =>  This Inner Loop Header: Depth=2
	v_mov_b32_e32 v7, s19
	ds_read2_b32 v[8:9], v7 offset1:1
	ds_read2_b32 v[10:11], v7 offset0:2 offset1:3
	ds_read2_b32 v[12:13], v7 offset0:4 offset1:5
	;; [unrolled: 1-line block ×7, first 2 shown]
	s_waitcnt lgkmcnt(7)
	v_cmp_gt_i32_e32 vcc, v2, v9
	s_waitcnt lgkmcnt(5)
	v_cmp_gt_i32_e64 s[4:5], v2, v12
	v_cndmask_b32_e64 v7, 0, 1, vcc
	v_cmp_gt_i32_e32 vcc, v2, v8
	v_cndmask_b32_e64 v9, 0, 1, s[4:5]
	v_cmp_gt_i32_e64 s[4:5], v2, v13
	v_cndmask_b32_e64 v8, 0, 1, vcc
	v_cmp_gt_i32_e32 vcc, v2, v11
	v_cndmask_b32_e64 v11, 0, 1, s[4:5]
	s_waitcnt lgkmcnt(3)
	v_cmp_gt_i32_e64 s[4:5], v2, v17
	v_cndmask_b32_e64 v12, 0, 1, s[4:5]
	v_cmp_gt_i32_e64 s[4:5], v2, v16
	v_cndmask_b32_e64 v13, 0, 1, s[4:5]
	s_waitcnt lgkmcnt(1)
	v_cmp_gt_i32_e64 s[4:5], v2, v20
	v_cndmask_b32_e64 v16, 0, 1, s[4:5]
	v_cmp_gt_i32_e64 s[4:5], v2, v21
	v_cndmask_b32_e64 v17, 0, 1, s[4:5]
	v_cmp_gt_i32_e64 s[4:5], v2, v10
	v_addc_co_u32_e64 v4, s[4:5], v4, v8, s[4:5]
	v_addc_co_u32_e32 v5, vcc, v5, v7, vcc
	v_cmp_gt_i32_e32 vcc, v2, v14
	v_cmp_gt_i32_e64 s[4:5], v2, v15
	v_addc_co_u32_e64 v5, s[4:5], v5, v11, s[4:5]
	v_addc_co_u32_e32 v4, vcc, v4, v9, vcc
	v_cmp_gt_i32_e32 vcc, v2, v19
	v_cmp_gt_i32_e64 s[4:5], v2, v18
	v_addc_co_u32_e64 v4, s[4:5], v4, v13, s[4:5]
	v_addc_co_u32_e32 v5, vcc, v5, v12, vcc
	s_add_i32 s18, s18, 16
	s_add_i32 s19, s19, 64
	s_add_i32 s20, s20, -8
	s_waitcnt lgkmcnt(0)
	v_cmp_gt_i32_e32 vcc, v2, v22
	v_cmp_gt_i32_e64 s[4:5], v2, v23
	s_cmp_lg_u32 s20, 0
	v_addc_co_u32_e64 v5, s[4:5], v5, v17, s[4:5]
	v_addc_co_u32_e32 v4, vcc, v4, v16, vcc
	s_cbranch_scc1 .LBB8_73
; %bb.74:                               ;   in Loop: Header=BB8_70 Depth=1
	s_and_b64 vcc, exec, s[2:3]
	s_cbranch_vccz .LBB8_77
	s_branch .LBB8_79
.LBB8_75:                               ;   in Loop: Header=BB8_70 Depth=1
	v_mov_b32_e32 v4, s6
	s_mov_b32 s18, 0
	s_cbranch_execz .LBB8_69
	s_branch .LBB8_80
.LBB8_76:                               ;   in Loop: Header=BB8_70 Depth=1
	v_pk_mov_b32 v[4:5], s[6:7], s[6:7] op_sel:[0,1]
	s_mov_b32 s18, 0
	s_and_b64 vcc, exec, s[2:3]
	s_cbranch_vccnz .LBB8_79
.LBB8_77:                               ;   in Loop: Header=BB8_70 Depth=1
	s_lshl_b32 s4, s18, 2
	s_add_i32 s4, s4, 0
	s_mov_b32 s5, s17
.LBB8_78:                               ;   Parent Loop BB8_70 Depth=1
                                        ; =>  This Inner Loop Header: Depth=2
	v_mov_b32_e32 v7, s4
	ds_read2_b32 v[8:9], v7 offset1:1
	s_add_i32 s4, s4, 8
	s_add_i32 s5, s5, -8
	s_cmp_lg_u32 s5, 0
	s_waitcnt lgkmcnt(0)
	v_cmp_gt_i32_e32 vcc, v2, v9
	v_addc_co_u32_e32 v5, vcc, 0, v5, vcc
	v_cmp_gt_i32_e32 vcc, v2, v8
	v_addc_co_u32_e32 v4, vcc, 0, v4, vcc
	s_cbranch_scc1 .LBB8_78
.LBB8_79:                               ;   in Loop: Header=BB8_70 Depth=1
	v_add_u32_e32 v4, v4, v5
	s_mov_b32 s18, s15
	s_mov_b64 s[4:5], s[10:11]
	s_and_b64 vcc, exec, s[4:5]
	s_cbranch_vccz .LBB8_69
.LBB8_80:                               ;   in Loop: Header=BB8_70 Depth=1
	s_lshl_b32 s4, s18, 2
	s_add_i32 s4, s4, 0
.LBB8_81:                               ;   Parent Loop BB8_70 Depth=1
                                        ; =>  This Inner Loop Header: Depth=2
	v_mov_b32_e32 v5, s4
	ds_read_b32 v5, v5
	s_add_i32 s18, s18, 1
	s_add_i32 s4, s4, 4
	s_cmp_ge_i32 s18, s14
	s_waitcnt lgkmcnt(0)
	v_cmp_gt_i32_e32 vcc, v2, v5
	v_addc_co_u32_e32 v4, vcc, 0, v4, vcc
	s_cbranch_scc0 .LBB8_81
	s_branch .LBB8_69
.LBB8_82:
	s_endpgm
	.section	.rodata,"a",@progbits
	.p2align	6, 0x0
	.amdhsa_kernel _ZN9rocsparseL26csrgemm_fill_block_per_rowILj256ELj32ELj512ELj137ELj32EiifEEvT5_PKS1_S3_NS_24const_host_device_scalarIT6_EEPKT4_S3_PKS5_S9_S3_SB_S6_S9_S3_SB_S9_PS1_PS5_21rocsparse_index_base_SE_SE_SE_bbb
		.amdhsa_group_segment_fixed_size 0
		.amdhsa_private_segment_fixed_size 0
		.amdhsa_kernarg_size 156
		.amdhsa_user_sgpr_count 6
		.amdhsa_user_sgpr_private_segment_buffer 1
		.amdhsa_user_sgpr_dispatch_ptr 0
		.amdhsa_user_sgpr_queue_ptr 0
		.amdhsa_user_sgpr_kernarg_segment_ptr 1
		.amdhsa_user_sgpr_dispatch_id 0
		.amdhsa_user_sgpr_flat_scratch_init 0
		.amdhsa_user_sgpr_kernarg_preload_length 0
		.amdhsa_user_sgpr_kernarg_preload_offset 0
		.amdhsa_user_sgpr_private_segment_size 0
		.amdhsa_uses_dynamic_stack 0
		.amdhsa_system_sgpr_private_segment_wavefront_offset 0
		.amdhsa_system_sgpr_workgroup_id_x 1
		.amdhsa_system_sgpr_workgroup_id_y 0
		.amdhsa_system_sgpr_workgroup_id_z 0
		.amdhsa_system_sgpr_workgroup_info 0
		.amdhsa_system_vgpr_workitem_id 0
		.amdhsa_next_free_vgpr 24
		.amdhsa_next_free_sgpr 54
		.amdhsa_accum_offset 24
		.amdhsa_reserve_vcc 1
		.amdhsa_reserve_flat_scratch 0
		.amdhsa_float_round_mode_32 0
		.amdhsa_float_round_mode_16_64 0
		.amdhsa_float_denorm_mode_32 3
		.amdhsa_float_denorm_mode_16_64 3
		.amdhsa_dx10_clamp 1
		.amdhsa_ieee_mode 1
		.amdhsa_fp16_overflow 0
		.amdhsa_tg_split 0
		.amdhsa_exception_fp_ieee_invalid_op 0
		.amdhsa_exception_fp_denorm_src 0
		.amdhsa_exception_fp_ieee_div_zero 0
		.amdhsa_exception_fp_ieee_overflow 0
		.amdhsa_exception_fp_ieee_underflow 0
		.amdhsa_exception_fp_ieee_inexact 0
		.amdhsa_exception_int_div_zero 0
	.end_amdhsa_kernel
	.section	.text._ZN9rocsparseL26csrgemm_fill_block_per_rowILj256ELj32ELj512ELj137ELj32EiifEEvT5_PKS1_S3_NS_24const_host_device_scalarIT6_EEPKT4_S3_PKS5_S9_S3_SB_S6_S9_S3_SB_S9_PS1_PS5_21rocsparse_index_base_SE_SE_SE_bbb,"axG",@progbits,_ZN9rocsparseL26csrgemm_fill_block_per_rowILj256ELj32ELj512ELj137ELj32EiifEEvT5_PKS1_S3_NS_24const_host_device_scalarIT6_EEPKT4_S3_PKS5_S9_S3_SB_S6_S9_S3_SB_S9_PS1_PS5_21rocsparse_index_base_SE_SE_SE_bbb,comdat
.Lfunc_end8:
	.size	_ZN9rocsparseL26csrgemm_fill_block_per_rowILj256ELj32ELj512ELj137ELj32EiifEEvT5_PKS1_S3_NS_24const_host_device_scalarIT6_EEPKT4_S3_PKS5_S9_S3_SB_S6_S9_S3_SB_S9_PS1_PS5_21rocsparse_index_base_SE_SE_SE_bbb, .Lfunc_end8-_ZN9rocsparseL26csrgemm_fill_block_per_rowILj256ELj32ELj512ELj137ELj32EiifEEvT5_PKS1_S3_NS_24const_host_device_scalarIT6_EEPKT4_S3_PKS5_S9_S3_SB_S6_S9_S3_SB_S9_PS1_PS5_21rocsparse_index_base_SE_SE_SE_bbb
                                        ; -- End function
	.section	.AMDGPU.csdata,"",@progbits
; Kernel info:
; codeLenInByte = 2748
; NumSgprs: 58
; NumVgprs: 24
; NumAgprs: 0
; TotalNumVgprs: 24
; ScratchSize: 0
; MemoryBound: 0
; FloatMode: 240
; IeeeMode: 1
; LDSByteSize: 0 bytes/workgroup (compile time only)
; SGPRBlocks: 7
; VGPRBlocks: 2
; NumSGPRsForWavesPerEU: 58
; NumVGPRsForWavesPerEU: 24
; AccumOffset: 24
; Occupancy: 8
; WaveLimiterHint : 1
; COMPUTE_PGM_RSRC2:SCRATCH_EN: 0
; COMPUTE_PGM_RSRC2:USER_SGPR: 6
; COMPUTE_PGM_RSRC2:TRAP_HANDLER: 0
; COMPUTE_PGM_RSRC2:TGID_X_EN: 1
; COMPUTE_PGM_RSRC2:TGID_Y_EN: 0
; COMPUTE_PGM_RSRC2:TGID_Z_EN: 0
; COMPUTE_PGM_RSRC2:TIDIG_COMP_CNT: 0
; COMPUTE_PGM_RSRC3_GFX90A:ACCUM_OFFSET: 5
; COMPUTE_PGM_RSRC3_GFX90A:TG_SPLIT: 0
	.section	.text._ZN9rocsparseL26csrgemm_fill_block_per_rowILj256ELj32ELj512ELj137ELj64EiifEEvT5_PKS1_S3_NS_24const_host_device_scalarIT6_EEPKT4_S3_PKS5_S9_S3_SB_S6_S9_S3_SB_S9_PS1_PS5_21rocsparse_index_base_SE_SE_SE_bbb,"axG",@progbits,_ZN9rocsparseL26csrgemm_fill_block_per_rowILj256ELj32ELj512ELj137ELj64EiifEEvT5_PKS1_S3_NS_24const_host_device_scalarIT6_EEPKT4_S3_PKS5_S9_S3_SB_S6_S9_S3_SB_S9_PS1_PS5_21rocsparse_index_base_SE_SE_SE_bbb,comdat
	.globl	_ZN9rocsparseL26csrgemm_fill_block_per_rowILj256ELj32ELj512ELj137ELj64EiifEEvT5_PKS1_S3_NS_24const_host_device_scalarIT6_EEPKT4_S3_PKS5_S9_S3_SB_S6_S9_S3_SB_S9_PS1_PS5_21rocsparse_index_base_SE_SE_SE_bbb ; -- Begin function _ZN9rocsparseL26csrgemm_fill_block_per_rowILj256ELj32ELj512ELj137ELj64EiifEEvT5_PKS1_S3_NS_24const_host_device_scalarIT6_EEPKT4_S3_PKS5_S9_S3_SB_S6_S9_S3_SB_S9_PS1_PS5_21rocsparse_index_base_SE_SE_SE_bbb
	.p2align	8
	.type	_ZN9rocsparseL26csrgemm_fill_block_per_rowILj256ELj32ELj512ELj137ELj64EiifEEvT5_PKS1_S3_NS_24const_host_device_scalarIT6_EEPKT4_S3_PKS5_S9_S3_SB_S6_S9_S3_SB_S9_PS1_PS5_21rocsparse_index_base_SE_SE_SE_bbb,@function
_ZN9rocsparseL26csrgemm_fill_block_per_rowILj256ELj32ELj512ELj137ELj64EiifEEvT5_PKS1_S3_NS_24const_host_device_scalarIT6_EEPKT4_S3_PKS5_S9_S3_SB_S6_S9_S3_SB_S9_PS1_PS5_21rocsparse_index_base_SE_SE_SE_bbb: ; @_ZN9rocsparseL26csrgemm_fill_block_per_rowILj256ELj32ELj512ELj137ELj64EiifEEvT5_PKS1_S3_NS_24const_host_device_scalarIT6_EEPKT4_S3_PKS5_S9_S3_SB_S6_S9_S3_SB_S9_PS1_PS5_21rocsparse_index_base_SE_SE_SE_bbb
; %bb.0:
	s_load_dword s7, s[4:5], 0x98
	s_load_dwordx2 s[2:3], s[4:5], 0x18
	s_load_dwordx2 s[0:1], s[4:5], 0x50
	s_waitcnt lgkmcnt(0)
	s_bitcmp1_b32 s7, 0
	s_cselect_b64 s[8:9], -1, 0
	s_bitcmp1_b32 s7, 16
	s_cselect_b64 s[10:11], -1, 0
	s_xor_b64 s[12:13], s[8:9], -1
	s_or_b64 s[12:13], s[12:13], s[10:11]
	s_and_b64 vcc, exec, s[12:13]
	s_cbranch_vccnz .LBB9_2
; %bb.1:
	s_load_dword s2, s[2:3], 0x0
	s_waitcnt lgkmcnt(0)
	v_mov_b32_e32 v9, s2
	s_branch .LBB9_3
.LBB9_2:
	v_mov_b32_e32 v1, s2
	v_cndmask_b32_e64 v9, 0, v1, s[8:9]
.LBB9_3:
	s_load_dwordx4 s[28:31], s[4:5], 0x88
	s_bitcmp1_b32 s7, 8
	s_cselect_b64 s[2:3], -1, 0
	s_xor_b64 s[12:13], s[2:3], -1
	s_or_b64 s[10:11], s[12:13], s[10:11]
	s_and_b64 vcc, exec, s[10:11]
	s_cbranch_vccnz .LBB9_5
; %bb.4:
	s_load_dword s0, s[0:1], 0x0
	s_waitcnt lgkmcnt(0)
	v_mov_b32_e32 v8, s0
	s_branch .LBB9_6
.LBB9_5:
	v_mov_b32_e32 v1, s0
	v_cndmask_b32_e64 v8, 0, v1, s[2:3]
.LBB9_6:
	s_load_dwordx4 s[36:39], s[4:5], 0x78
	s_load_dwordx8 s[12:19], s[4:5], 0x58
	s_load_dwordx4 s[40:43], s[4:5], 0x40
	s_load_dwordx8 s[20:27], s[4:5], 0x20
	s_load_dwordx4 s[44:47], s[4:5], 0x8
	s_load_dword s33, s[4:5], 0x0
	s_movk_i32 s0, 0x200
	v_cmp_gt_u32_e64 s[0:1], s0, v0
	v_lshl_add_u32 v1, v0, 2, 0
	s_and_saveexec_b64 s[4:5], s[0:1]
	s_cbranch_execz .LBB9_9
; %bb.7:
	v_or_b32_e32 v2, 0xffffff00, v0
	v_lshl_add_u32 v3, v0, 2, 0
	s_mov_b64 s[10:11], 0
	s_waitcnt lgkmcnt(0)
	v_mov_b32_e32 v4, s33
	v_mov_b32_e32 v5, 0
.LBB9_8:                                ; =>This Inner Loop Header: Depth=1
	v_add_co_u32_e32 v2, vcc, 0x100, v2
	s_xor_b64 s[34:35], vcc, -1
	s_and_b64 s[34:35], exec, s[34:35]
	ds_write2st64_b32 v3, v4, v5 offset1:8
	s_or_b64 s[10:11], s[34:35], s[10:11]
	v_add_u32_e32 v3, 0x400, v3
	s_andn2_b64 exec, exec, s[10:11]
	s_cbranch_execnz .LBB9_8
.LBB9_9:
	s_or_b64 exec, exec, s[4:5]
	s_waitcnt lgkmcnt(0)
	s_barrier
	s_load_dword s4, s[44:45], 0x0
	s_mov_b32 s5, 0
	s_waitcnt lgkmcnt(0)
	s_add_i32 s4, s4, s6
	s_lshl_b64 s[4:5], s[4:5], 2
	s_add_u32 s4, s46, s4
	s_addc_u32 s5, s47, s5
	s_load_dword s10, s[4:5], 0x0
	s_and_b64 vcc, exec, s[8:9]
	s_cbranch_vccz .LBB9_29
; %bb.10:
	s_waitcnt lgkmcnt(0)
	s_ashr_i32 s11, s10, 31
	s_lshl_b64 s[4:5], s[10:11], 2
	s_add_u32 s4, s20, s4
	s_addc_u32 s5, s21, s5
	s_load_dwordx2 s[4:5], s[4:5], 0x0
	v_lshrrev_b32_e32 v2, 5, v0
	v_subrev_u32_e32 v2, s28, v2
	s_waitcnt lgkmcnt(0)
	s_sub_i32 s11, s5, s28
	v_add_u32_e32 v2, s4, v2
	v_cmp_gt_i32_e32 vcc, s11, v2
	s_and_saveexec_b64 s[4:5], vcc
	s_cbranch_execz .LBB9_28
; %bb.11:
	v_and_b32_e32 v3, 31, v0
	v_subrev_u32_e32 v10, s29, v3
	s_mov_b64 s[6:7], 0
	v_mov_b32_e32 v11, s23
	v_mov_b32_e32 v12, s27
	s_movk_i32 s23, 0x89
	s_branch .LBB9_13
.LBB9_12:                               ;   in Loop: Header=BB9_13 Depth=1
	s_or_b64 exec, exec, s[8:9]
	v_add_u32_e32 v2, 8, v2
	v_cmp_le_i32_e32 vcc, s11, v2
	s_or_b64 s[6:7], vcc, s[6:7]
	s_andn2_b64 exec, exec, s[6:7]
	s_cbranch_execz .LBB9_28
.LBB9_13:                               ; =>This Loop Header: Depth=1
                                        ;     Child Loop BB9_16 Depth 2
                                        ;       Child Loop BB9_18 Depth 3
	v_ashrrev_i32_e32 v3, 31, v2
	v_lshlrev_b64 v[6:7], 2, v[2:3]
	v_add_co_u32_e32 v4, vcc, s22, v6
	v_addc_co_u32_e32 v5, vcc, v11, v7, vcc
	global_load_dword v3, v[4:5], off
	s_waitcnt vmcnt(0)
	v_subrev_u32_e32 v4, s28, v3
	v_ashrrev_i32_e32 v5, 31, v4
	v_lshlrev_b64 v[4:5], 2, v[4:5]
	v_add_co_u32_e32 v4, vcc, s26, v4
	v_addc_co_u32_e32 v5, vcc, v12, v5, vcc
	global_load_dwordx2 v[4:5], v[4:5], off
	s_waitcnt vmcnt(0)
	v_subrev_u32_e32 v3, s29, v5
	v_add_u32_e32 v4, v4, v10
	v_cmp_lt_i32_e32 vcc, v4, v3
	s_and_saveexec_b64 s[8:9], vcc
	s_cbranch_execz .LBB9_12
; %bb.14:                               ;   in Loop: Header=BB9_13 Depth=1
	v_mov_b32_e32 v5, s25
	v_add_co_u32_e32 v6, vcc, s24, v6
	v_addc_co_u32_e32 v7, vcc, v5, v7, vcc
	global_load_dword v5, v[6:7], off
	s_mov_b64 s[20:21], 0
	s_waitcnt vmcnt(0)
	v_mul_f32_e32 v6, v9, v5
	s_branch .LBB9_16
.LBB9_15:                               ;   in Loop: Header=BB9_16 Depth=2
	s_or_b64 exec, exec, s[34:35]
	v_add_u32_e32 v4, 32, v4
	v_cmp_ge_i32_e32 vcc, v4, v3
	s_or_b64 s[20:21], vcc, s[20:21]
	s_andn2_b64 exec, exec, s[20:21]
	s_cbranch_execz .LBB9_12
.LBB9_16:                               ;   Parent Loop BB9_13 Depth=1
                                        ; =>  This Loop Header: Depth=2
                                        ;       Child Loop BB9_18 Depth 3
	v_ashrrev_i32_e32 v5, 31, v4
	v_lshlrev_b64 v[14:15], 2, v[4:5]
	v_mov_b32_e32 v5, s41
	v_add_co_u32_e32 v16, vcc, s40, v14
	v_addc_co_u32_e32 v17, vcc, v5, v15, vcc
	global_load_dword v5, v[16:17], off
	v_mov_b32_e32 v7, s43
	v_add_co_u32_e32 v14, vcc, s42, v14
	v_addc_co_u32_e32 v15, vcc, v7, v15, vcc
	global_load_dword v7, v[14:15], off
	s_mov_b64 s[34:35], 0
	s_waitcnt vmcnt(1)
	v_subrev_u32_e32 v5, s29, v5
	v_mul_lo_u32 v13, v5, s23
	v_and_b32_e32 v13, 0x1ff, v13
	s_waitcnt vmcnt(0)
	v_mul_f32_e32 v7, v6, v7
	s_branch .LBB9_18
.LBB9_17:                               ;   in Loop: Header=BB9_18 Depth=3
	s_or_b64 exec, exec, s[44:45]
	s_xor_b64 s[44:45], s[46:47], -1
	s_and_b64 s[44:45], exec, s[44:45]
	s_or_b64 s[34:35], s[44:45], s[34:35]
	s_andn2_b64 exec, exec, s[34:35]
	s_cbranch_execz .LBB9_15
.LBB9_18:                               ;   Parent Loop BB9_13 Depth=1
                                        ;     Parent Loop BB9_16 Depth=2
                                        ; =>    This Inner Loop Header: Depth=3
	v_lshl_add_u32 v14, v13, 2, 0
	ds_read_b32 v15, v14
                                        ; implicit-def: $sgpr46_sgpr47
	s_waitcnt lgkmcnt(0)
	v_cmp_ne_u32_e32 vcc, v15, v5
	s_and_saveexec_b64 s[44:45], vcc
	s_xor_b64 s[44:45], exec, s[44:45]
	s_cbranch_execz .LBB9_26
; %bb.19:                               ;   in Loop: Header=BB9_18 Depth=3
	v_cmp_ne_u32_e32 vcc, s33, v15
                                        ; implicit-def: $sgpr46_sgpr47
	s_and_saveexec_b64 s[48:49], vcc
	s_xor_b64 s[48:49], exec, s[48:49]
; %bb.20:                               ;   in Loop: Header=BB9_18 Depth=3
	v_add_u32_e32 v13, 1, v13
	v_and_b32_e32 v13, 0x1ff, v13
	s_mov_b64 s[46:47], -1
                                        ; implicit-def: $vgpr14
; %bb.21:                               ;   in Loop: Header=BB9_18 Depth=3
	s_andn2_saveexec_b64 s[48:49], s[48:49]
	s_cbranch_execz .LBB9_25
; %bb.22:                               ;   in Loop: Header=BB9_18 Depth=3
	v_mov_b32_e32 v15, s33
	ds_cmpst_rtn_b32 v15, v14, v15, v5
	s_mov_b64 s[50:51], -1
	s_waitcnt lgkmcnt(0)
	v_cmp_eq_u32_e32 vcc, s33, v15
	s_and_saveexec_b64 s[52:53], vcc
	s_cbranch_execz .LBB9_24
; %bb.23:                               ;   in Loop: Header=BB9_18 Depth=3
	ds_add_f32 v14, v7 offset:2048
	s_xor_b64 s[50:51], exec, -1
.LBB9_24:                               ;   in Loop: Header=BB9_18 Depth=3
	s_or_b64 exec, exec, s[52:53]
	s_andn2_b64 s[46:47], s[46:47], exec
	s_and_b64 s[50:51], s[50:51], exec
	s_or_b64 s[46:47], s[46:47], s[50:51]
.LBB9_25:                               ;   in Loop: Header=BB9_18 Depth=3
	s_or_b64 exec, exec, s[48:49]
	s_and_b64 s[46:47], s[46:47], exec
                                        ; implicit-def: $vgpr14
.LBB9_26:                               ;   in Loop: Header=BB9_18 Depth=3
	s_andn2_saveexec_b64 s[44:45], s[44:45]
	s_cbranch_execz .LBB9_17
; %bb.27:                               ;   in Loop: Header=BB9_18 Depth=3
	ds_add_f32 v14, v7 offset:2048
	s_andn2_b64 s[46:47], s[46:47], exec
	s_branch .LBB9_17
.LBB9_28:
	s_or_b64 exec, exec, s[4:5]
.LBB9_29:
	s_andn2_b64 vcc, exec, s[2:3]
	s_cbranch_vccnz .LBB9_46
; %bb.30:
	s_waitcnt lgkmcnt(0)
	s_ashr_i32 s11, s10, 31
	s_lshl_b64 s[2:3], s[10:11], 2
	s_add_u32 s2, s12, s2
	s_addc_u32 s3, s13, s3
	s_load_dwordx2 s[2:3], s[2:3], 0x0
	v_subrev_u32_e32 v2, s31, v0
	s_waitcnt lgkmcnt(0)
	s_sub_i32 s11, s3, s31
	v_add_u32_e32 v2, s2, v2
	v_cmp_gt_i32_e32 vcc, s11, v2
	s_and_saveexec_b64 s[2:3], vcc
	s_cbranch_execz .LBB9_45
; %bb.31:
	s_mov_b64 s[4:5], 0
	v_mov_b32_e32 v4, s15
	v_mov_b32_e32 v5, s17
	s_movk_i32 s15, 0x89
	s_branch .LBB9_33
.LBB9_32:                               ;   in Loop: Header=BB9_33 Depth=1
	s_or_b64 exec, exec, s[6:7]
	v_add_u32_e32 v2, 0x100, v2
	v_cmp_le_i32_e32 vcc, s11, v2
	s_or_b64 s[4:5], vcc, s[4:5]
	s_andn2_b64 exec, exec, s[4:5]
	s_cbranch_execz .LBB9_45
.LBB9_33:                               ; =>This Loop Header: Depth=1
                                        ;     Child Loop BB9_35 Depth 2
	v_ashrrev_i32_e32 v3, 31, v2
	v_lshlrev_b64 v[6:7], 2, v[2:3]
	v_add_co_u32_e32 v10, vcc, s14, v6
	v_addc_co_u32_e32 v11, vcc, v4, v7, vcc
	global_load_dword v3, v[10:11], off
	v_add_co_u32_e32 v6, vcc, s16, v6
	v_addc_co_u32_e32 v7, vcc, v5, v7, vcc
	global_load_dword v6, v[6:7], off
	s_mov_b64 s[6:7], 0
	s_waitcnt vmcnt(1)
	v_subrev_u32_e32 v3, s31, v3
	v_mul_lo_u32 v7, v3, s15
	v_and_b32_e32 v7, 0x1ff, v7
	s_waitcnt vmcnt(0)
	v_mul_f32_e32 v6, v8, v6
	s_branch .LBB9_35
.LBB9_34:                               ;   in Loop: Header=BB9_35 Depth=2
	s_or_b64 exec, exec, s[8:9]
	s_xor_b64 s[8:9], s[12:13], -1
	s_and_b64 s[8:9], exec, s[8:9]
	s_or_b64 s[6:7], s[8:9], s[6:7]
	s_andn2_b64 exec, exec, s[6:7]
	s_cbranch_execz .LBB9_32
.LBB9_35:                               ;   Parent Loop BB9_33 Depth=1
                                        ; =>  This Inner Loop Header: Depth=2
	v_lshl_add_u32 v9, v7, 2, 0
	ds_read_b32 v10, v9
                                        ; implicit-def: $sgpr12_sgpr13
	s_waitcnt lgkmcnt(0)
	v_cmp_ne_u32_e32 vcc, v10, v3
	s_and_saveexec_b64 s[8:9], vcc
	s_xor_b64 s[8:9], exec, s[8:9]
	s_cbranch_execz .LBB9_43
; %bb.36:                               ;   in Loop: Header=BB9_35 Depth=2
	v_cmp_ne_u32_e32 vcc, s33, v10
                                        ; implicit-def: $sgpr12_sgpr13
	s_and_saveexec_b64 s[20:21], vcc
	s_xor_b64 s[20:21], exec, s[20:21]
; %bb.37:                               ;   in Loop: Header=BB9_35 Depth=2
	v_add_u32_e32 v7, 1, v7
	v_and_b32_e32 v7, 0x1ff, v7
	s_mov_b64 s[12:13], -1
                                        ; implicit-def: $vgpr9
; %bb.38:                               ;   in Loop: Header=BB9_35 Depth=2
	s_andn2_saveexec_b64 s[20:21], s[20:21]
	s_cbranch_execz .LBB9_42
; %bb.39:                               ;   in Loop: Header=BB9_35 Depth=2
	v_mov_b32_e32 v10, s33
	ds_cmpst_rtn_b32 v10, v9, v10, v3
	s_mov_b64 s[22:23], -1
	s_waitcnt lgkmcnt(0)
	v_cmp_eq_u32_e32 vcc, s33, v10
	s_and_saveexec_b64 s[24:25], vcc
	s_cbranch_execz .LBB9_41
; %bb.40:                               ;   in Loop: Header=BB9_35 Depth=2
	ds_add_f32 v9, v6 offset:2048
	s_xor_b64 s[22:23], exec, -1
.LBB9_41:                               ;   in Loop: Header=BB9_35 Depth=2
	s_or_b64 exec, exec, s[24:25]
	s_andn2_b64 s[12:13], s[12:13], exec
	s_and_b64 s[22:23], s[22:23], exec
	s_or_b64 s[12:13], s[12:13], s[22:23]
.LBB9_42:                               ;   in Loop: Header=BB9_35 Depth=2
	s_or_b64 exec, exec, s[20:21]
	s_and_b64 s[12:13], s[12:13], exec
                                        ; implicit-def: $vgpr9
.LBB9_43:                               ;   in Loop: Header=BB9_35 Depth=2
	s_andn2_saveexec_b64 s[8:9], s[8:9]
	s_cbranch_execz .LBB9_34
; %bb.44:                               ;   in Loop: Header=BB9_35 Depth=2
	ds_add_f32 v9, v6 offset:2048
	s_andn2_b64 s[12:13], s[12:13], exec
	s_branch .LBB9_34
.LBB9_45:
	s_or_b64 exec, exec, s[2:3]
.LBB9_46:
	s_waitcnt lgkmcnt(0)
	s_barrier
	s_and_saveexec_b64 s[8:9], s[0:1]
	s_cbranch_execz .LBB9_59
; %bb.47:
	v_mbcnt_lo_u32_b32 v2, -1, 0
	v_mbcnt_hi_u32_b32 v2, -1, v2
	v_lshrrev_b32_e32 v4, 4, v0
	v_sub_u32_e32 v2, 63, v2
	v_and_b32_e32 v4, 12, v4
	s_movk_i32 s0, 0xff
	s_movk_i32 s4, 0x7f
	;; [unrolled: 1-line block ×3, first 2 shown]
	v_mov_b32_e32 v6, 0
	v_lshrrev_b64 v[2:3], v2, -1
	v_add_u32_e32 v7, 0, v4
	v_cmp_eq_u32_e64 s[0:1], s0, v0
	v_cmp_lt_u32_e64 s[2:3], 63, v0
	v_cmp_lt_u32_e64 s[4:5], s4, v0
	;; [unrolled: 1-line block ×3, first 2 shown]
	v_or_b32_e32 v8, 0xffffff00, v0
	s_mov_b64 s[12:13], 0
	v_mov_b32_e32 v9, 0
	s_branch .LBB9_49
.LBB9_48:                               ;   in Loop: Header=BB9_49 Depth=1
	s_or_b64 exec, exec, s[14:15]
	s_waitcnt lgkmcnt(0)
	s_barrier
	ds_read_b32 v4, v6 offset:4108
	v_add_co_u32_e32 v8, vcc, 0x100, v8
	s_xor_b64 s[14:15], vcc, -1
	s_and_b64 s[14:15], exec, s[14:15]
	s_waitcnt lgkmcnt(0)
	v_add_u32_e32 v9, v4, v9
	s_or_b64 s[12:13], s[14:15], s[12:13]
	v_add_u32_e32 v1, 0x400, v1
	s_andn2_b64 exec, exec, s[12:13]
	s_cbranch_execz .LBB9_59
.LBB9_49:                               ; =>This Inner Loop Header: Depth=1
	ds_read2st64_b32 v[4:5], v1 offset1:8
	s_waitcnt lgkmcnt(0)
	s_barrier
	v_cmp_gt_i32_e32 vcc, s33, v4
	v_and_b32_e32 v11, vcc_lo, v2
	s_bcnt1_i32_b64 s11, vcc
	v_and_b32_e32 v10, vcc_hi, v3
	v_bcnt_u32_b32 v11, v11, 0
	v_bcnt_u32_b32 v10, v10, v11
	v_mov_b32_e32 v11, s11
	ds_write_b32 v7, v11 offset:4096
	s_waitcnt lgkmcnt(0)
	s_barrier
	s_and_saveexec_b64 s[14:15], s[2:3]
	s_cbranch_execnz .LBB9_54
; %bb.50:                               ;   in Loop: Header=BB9_49 Depth=1
	s_or_b64 exec, exec, s[14:15]
	s_and_saveexec_b64 s[14:15], s[4:5]
	s_cbranch_execnz .LBB9_55
.LBB9_51:                               ;   in Loop: Header=BB9_49 Depth=1
	s_or_b64 exec, exec, s[14:15]
	s_and_saveexec_b64 s[14:15], s[6:7]
	s_cbranch_execnz .LBB9_56
.LBB9_52:                               ;   in Loop: Header=BB9_49 Depth=1
	s_or_b64 exec, exec, s[14:15]
	s_and_saveexec_b64 s[14:15], vcc
	s_cbranch_execnz .LBB9_57
.LBB9_53:                               ;   in Loop: Header=BB9_49 Depth=1
	s_or_b64 exec, exec, s[14:15]
	s_and_saveexec_b64 s[14:15], s[0:1]
	s_cbranch_execz .LBB9_48
	s_branch .LBB9_58
.LBB9_54:                               ;   in Loop: Header=BB9_49 Depth=1
	ds_read_b32 v11, v6 offset:4096
	s_waitcnt lgkmcnt(0)
	v_add_u32_e32 v10, v11, v10
	s_or_b64 exec, exec, s[14:15]
	s_and_saveexec_b64 s[14:15], s[4:5]
	s_cbranch_execz .LBB9_51
.LBB9_55:                               ;   in Loop: Header=BB9_49 Depth=1
	ds_read_b32 v11, v6 offset:4100
	s_waitcnt lgkmcnt(0)
	v_add_u32_e32 v10, v11, v10
	s_or_b64 exec, exec, s[14:15]
	s_and_saveexec_b64 s[14:15], s[6:7]
	s_cbranch_execz .LBB9_52
.LBB9_56:                               ;   in Loop: Header=BB9_49 Depth=1
	ds_read_b32 v11, v6 offset:4104
	s_waitcnt lgkmcnt(0)
	v_add_u32_e32 v10, v11, v10
	s_or_b64 exec, exec, s[14:15]
	s_and_saveexec_b64 s[14:15], vcc
	s_cbranch_execz .LBB9_53
.LBB9_57:                               ;   in Loop: Header=BB9_49 Depth=1
	v_add3_u32 v11, v9, -1, v10
	v_lshl_add_u32 v11, v11, 2, 0
	ds_write2st64_b32 v11, v4, v5 offset1:8
	s_or_b64 exec, exec, s[14:15]
	s_and_saveexec_b64 s[14:15], s[0:1]
	s_cbranch_execz .LBB9_48
.LBB9_58:                               ;   in Loop: Header=BB9_49 Depth=1
	ds_write_b32 v6, v10 offset:4108
	s_branch .LBB9_48
.LBB9_59:
	s_or_b64 exec, exec, s[8:9]
	s_ashr_i32 s11, s10, 31
	s_lshl_b64 s[0:1], s[10:11], 2
	s_add_u32 s0, s18, s0
	s_addc_u32 s1, s19, s1
	s_load_dwordx2 s[0:1], s[0:1], 0x0
	s_waitcnt lgkmcnt(0)
	s_sub_i32 s14, s1, s0
	v_cmp_gt_i32_e32 vcc, s14, v0
	s_and_saveexec_b64 s[2:3], vcc
	s_cbranch_execz .LBB9_74
; %bb.60:
	s_sub_i32 s6, s0, s30
	s_add_i32 s0, s14, -2
	s_lshr_b32 s1, s0, 1
	s_add_i32 s2, s1, 1
	s_cmp_gt_u32 s14, 1
	s_cselect_b64 s[8:9], -1, 0
	s_and_b32 s15, s14, -2
	s_and_b32 s4, s2, 7
	s_cmp_gt_u32 s0, 13
	s_cselect_b64 s[0:1], -1, 0
	s_and_b32 s16, s2, -8
	s_cmp_lg_u32 s4, 0
	s_cselect_b64 s[2:3], -1, 0
	v_cndmask_b32_e64 v1, 0, 1, s[0:1]
	s_cmp_lg_u32 s14, s15
	v_cmp_ne_u32_e64 s[0:1], 1, v1
	v_cndmask_b32_e64 v1, 0, 1, s[2:3]
	s_mov_b32 s7, 0
	s_cselect_b64 s[10:11], -1, 0
	s_lshl_b32 s17, s4, 3
	s_mov_b64 s[12:13], 0
	v_cmp_ne_u32_e64 s[2:3], 1, v1
	v_mov_b32_e32 v1, s37
	v_mov_b32_e32 v6, s39
	s_branch .LBB9_62
.LBB9_61:                               ;   in Loop: Header=BB9_62 Depth=1
	v_ashrrev_i32_e32 v5, 31, v4
	v_lshlrev_b64 v[4:5], 2, v[4:5]
	v_add_co_u32_e32 v8, vcc, s36, v4
	v_addc_co_u32_e32 v9, vcc, v1, v5, vcc
	v_add_co_u32_e32 v4, vcc, s38, v4
	v_addc_co_u32_e32 v5, vcc, v6, v5, vcc
	v_add_u32_e32 v0, 0x100, v0
	v_cmp_le_i32_e32 vcc, s14, v0
	s_waitcnt lgkmcnt(0)
	v_add_u32_e32 v2, s30, v2
	s_or_b64 s[12:13], vcc, s[12:13]
	global_store_dword v[8:9], v2, off
	global_store_dword v[4:5], v3, off
	s_andn2_b64 exec, exec, s[12:13]
	s_cbranch_execz .LBB9_74
.LBB9_62:                               ; =>This Loop Header: Depth=1
                                        ;     Child Loop BB9_65 Depth 2
                                        ;     Child Loop BB9_70 Depth 2
	;; [unrolled: 1-line block ×3, first 2 shown]
	v_lshl_add_u32 v2, v0, 2, 0
	ds_read2st64_b32 v[2:3], v2 offset1:8
	s_and_b64 vcc, exec, s[8:9]
	s_cbranch_vccz .LBB9_67
; %bb.63:                               ;   in Loop: Header=BB9_62 Depth=1
	s_and_b64 vcc, exec, s[0:1]
	s_cbranch_vccnz .LBB9_68
; %bb.64:                               ;   in Loop: Header=BB9_62 Depth=1
	s_mov_b32 s19, 0
	v_mov_b32_e32 v4, s6
	v_mov_b32_e32 v5, 0
	s_mov_b32 s20, s16
	s_mov_b32 s18, 0
.LBB9_65:                               ;   Parent Loop BB9_62 Depth=1
                                        ; =>  This Inner Loop Header: Depth=2
	v_mov_b32_e32 v7, s19
	ds_read2_b32 v[8:9], v7 offset1:1
	ds_read2_b32 v[10:11], v7 offset0:2 offset1:3
	ds_read2_b32 v[12:13], v7 offset0:4 offset1:5
	;; [unrolled: 1-line block ×7, first 2 shown]
	s_waitcnt lgkmcnt(7)
	v_cmp_gt_i32_e32 vcc, v2, v9
	s_waitcnt lgkmcnt(5)
	v_cmp_gt_i32_e64 s[4:5], v2, v12
	v_cndmask_b32_e64 v7, 0, 1, vcc
	v_cmp_gt_i32_e32 vcc, v2, v8
	v_cndmask_b32_e64 v9, 0, 1, s[4:5]
	v_cmp_gt_i32_e64 s[4:5], v2, v13
	v_cndmask_b32_e64 v8, 0, 1, vcc
	v_cmp_gt_i32_e32 vcc, v2, v11
	v_cndmask_b32_e64 v11, 0, 1, s[4:5]
	s_waitcnt lgkmcnt(3)
	v_cmp_gt_i32_e64 s[4:5], v2, v17
	v_cndmask_b32_e64 v12, 0, 1, s[4:5]
	v_cmp_gt_i32_e64 s[4:5], v2, v16
	v_cndmask_b32_e64 v13, 0, 1, s[4:5]
	s_waitcnt lgkmcnt(1)
	v_cmp_gt_i32_e64 s[4:5], v2, v20
	v_cndmask_b32_e64 v16, 0, 1, s[4:5]
	v_cmp_gt_i32_e64 s[4:5], v2, v21
	v_cndmask_b32_e64 v17, 0, 1, s[4:5]
	v_cmp_gt_i32_e64 s[4:5], v2, v10
	v_addc_co_u32_e64 v4, s[4:5], v4, v8, s[4:5]
	v_addc_co_u32_e32 v5, vcc, v5, v7, vcc
	v_cmp_gt_i32_e32 vcc, v2, v14
	v_cmp_gt_i32_e64 s[4:5], v2, v15
	v_addc_co_u32_e64 v5, s[4:5], v5, v11, s[4:5]
	v_addc_co_u32_e32 v4, vcc, v4, v9, vcc
	v_cmp_gt_i32_e32 vcc, v2, v19
	v_cmp_gt_i32_e64 s[4:5], v2, v18
	v_addc_co_u32_e64 v4, s[4:5], v4, v13, s[4:5]
	v_addc_co_u32_e32 v5, vcc, v5, v12, vcc
	s_add_i32 s18, s18, 16
	s_add_i32 s19, s19, 64
	s_add_i32 s20, s20, -8
	s_waitcnt lgkmcnt(0)
	v_cmp_gt_i32_e32 vcc, v2, v22
	v_cmp_gt_i32_e64 s[4:5], v2, v23
	s_cmp_lg_u32 s20, 0
	v_addc_co_u32_e64 v5, s[4:5], v5, v17, s[4:5]
	v_addc_co_u32_e32 v4, vcc, v4, v16, vcc
	s_cbranch_scc1 .LBB9_65
; %bb.66:                               ;   in Loop: Header=BB9_62 Depth=1
	s_and_b64 vcc, exec, s[2:3]
	s_cbranch_vccz .LBB9_69
	s_branch .LBB9_71
.LBB9_67:                               ;   in Loop: Header=BB9_62 Depth=1
	v_mov_b32_e32 v4, s6
	s_mov_b32 s18, 0
	s_cbranch_execz .LBB9_61
	s_branch .LBB9_72
.LBB9_68:                               ;   in Loop: Header=BB9_62 Depth=1
	v_pk_mov_b32 v[4:5], s[6:7], s[6:7] op_sel:[0,1]
	s_mov_b32 s18, 0
	s_and_b64 vcc, exec, s[2:3]
	s_cbranch_vccnz .LBB9_71
.LBB9_69:                               ;   in Loop: Header=BB9_62 Depth=1
	s_lshl_b32 s4, s18, 2
	s_add_i32 s4, s4, 0
	s_mov_b32 s5, s17
.LBB9_70:                               ;   Parent Loop BB9_62 Depth=1
                                        ; =>  This Inner Loop Header: Depth=2
	v_mov_b32_e32 v7, s4
	ds_read2_b32 v[8:9], v7 offset1:1
	s_add_i32 s4, s4, 8
	s_add_i32 s5, s5, -8
	s_cmp_lg_u32 s5, 0
	s_waitcnt lgkmcnt(0)
	v_cmp_gt_i32_e32 vcc, v2, v9
	v_addc_co_u32_e32 v5, vcc, 0, v5, vcc
	v_cmp_gt_i32_e32 vcc, v2, v8
	v_addc_co_u32_e32 v4, vcc, 0, v4, vcc
	s_cbranch_scc1 .LBB9_70
.LBB9_71:                               ;   in Loop: Header=BB9_62 Depth=1
	v_add_u32_e32 v4, v4, v5
	s_mov_b32 s18, s15
	s_mov_b64 s[4:5], s[10:11]
	s_and_b64 vcc, exec, s[4:5]
	s_cbranch_vccz .LBB9_61
.LBB9_72:                               ;   in Loop: Header=BB9_62 Depth=1
	s_lshl_b32 s4, s18, 2
	s_add_i32 s4, s4, 0
.LBB9_73:                               ;   Parent Loop BB9_62 Depth=1
                                        ; =>  This Inner Loop Header: Depth=2
	v_mov_b32_e32 v5, s4
	ds_read_b32 v5, v5
	s_add_i32 s18, s18, 1
	s_add_i32 s4, s4, 4
	s_cmp_ge_i32 s18, s14
	s_waitcnt lgkmcnt(0)
	v_cmp_gt_i32_e32 vcc, v2, v5
	v_addc_co_u32_e32 v4, vcc, 0, v4, vcc
	s_cbranch_scc0 .LBB9_73
	s_branch .LBB9_61
.LBB9_74:
	s_endpgm
	.section	.rodata,"a",@progbits
	.p2align	6, 0x0
	.amdhsa_kernel _ZN9rocsparseL26csrgemm_fill_block_per_rowILj256ELj32ELj512ELj137ELj64EiifEEvT5_PKS1_S3_NS_24const_host_device_scalarIT6_EEPKT4_S3_PKS5_S9_S3_SB_S6_S9_S3_SB_S9_PS1_PS5_21rocsparse_index_base_SE_SE_SE_bbb
		.amdhsa_group_segment_fixed_size 0
		.amdhsa_private_segment_fixed_size 0
		.amdhsa_kernarg_size 156
		.amdhsa_user_sgpr_count 6
		.amdhsa_user_sgpr_private_segment_buffer 1
		.amdhsa_user_sgpr_dispatch_ptr 0
		.amdhsa_user_sgpr_queue_ptr 0
		.amdhsa_user_sgpr_kernarg_segment_ptr 1
		.amdhsa_user_sgpr_dispatch_id 0
		.amdhsa_user_sgpr_flat_scratch_init 0
		.amdhsa_user_sgpr_kernarg_preload_length 0
		.amdhsa_user_sgpr_kernarg_preload_offset 0
		.amdhsa_user_sgpr_private_segment_size 0
		.amdhsa_uses_dynamic_stack 0
		.amdhsa_system_sgpr_private_segment_wavefront_offset 0
		.amdhsa_system_sgpr_workgroup_id_x 1
		.amdhsa_system_sgpr_workgroup_id_y 0
		.amdhsa_system_sgpr_workgroup_id_z 0
		.amdhsa_system_sgpr_workgroup_info 0
		.amdhsa_system_vgpr_workitem_id 0
		.amdhsa_next_free_vgpr 24
		.amdhsa_next_free_sgpr 54
		.amdhsa_accum_offset 24
		.amdhsa_reserve_vcc 1
		.amdhsa_reserve_flat_scratch 0
		.amdhsa_float_round_mode_32 0
		.amdhsa_float_round_mode_16_64 0
		.amdhsa_float_denorm_mode_32 3
		.amdhsa_float_denorm_mode_16_64 3
		.amdhsa_dx10_clamp 1
		.amdhsa_ieee_mode 1
		.amdhsa_fp16_overflow 0
		.amdhsa_tg_split 0
		.amdhsa_exception_fp_ieee_invalid_op 0
		.amdhsa_exception_fp_denorm_src 0
		.amdhsa_exception_fp_ieee_div_zero 0
		.amdhsa_exception_fp_ieee_overflow 0
		.amdhsa_exception_fp_ieee_underflow 0
		.amdhsa_exception_fp_ieee_inexact 0
		.amdhsa_exception_int_div_zero 0
	.end_amdhsa_kernel
	.section	.text._ZN9rocsparseL26csrgemm_fill_block_per_rowILj256ELj32ELj512ELj137ELj64EiifEEvT5_PKS1_S3_NS_24const_host_device_scalarIT6_EEPKT4_S3_PKS5_S9_S3_SB_S6_S9_S3_SB_S9_PS1_PS5_21rocsparse_index_base_SE_SE_SE_bbb,"axG",@progbits,_ZN9rocsparseL26csrgemm_fill_block_per_rowILj256ELj32ELj512ELj137ELj64EiifEEvT5_PKS1_S3_NS_24const_host_device_scalarIT6_EEPKT4_S3_PKS5_S9_S3_SB_S6_S9_S3_SB_S9_PS1_PS5_21rocsparse_index_base_SE_SE_SE_bbb,comdat
.Lfunc_end9:
	.size	_ZN9rocsparseL26csrgemm_fill_block_per_rowILj256ELj32ELj512ELj137ELj64EiifEEvT5_PKS1_S3_NS_24const_host_device_scalarIT6_EEPKT4_S3_PKS5_S9_S3_SB_S6_S9_S3_SB_S9_PS1_PS5_21rocsparse_index_base_SE_SE_SE_bbb, .Lfunc_end9-_ZN9rocsparseL26csrgemm_fill_block_per_rowILj256ELj32ELj512ELj137ELj64EiifEEvT5_PKS1_S3_NS_24const_host_device_scalarIT6_EEPKT4_S3_PKS5_S9_S3_SB_S6_S9_S3_SB_S9_PS1_PS5_21rocsparse_index_base_SE_SE_SE_bbb
                                        ; -- End function
	.section	.AMDGPU.csdata,"",@progbits
; Kernel info:
; codeLenInByte = 2548
; NumSgprs: 58
; NumVgprs: 24
; NumAgprs: 0
; TotalNumVgprs: 24
; ScratchSize: 0
; MemoryBound: 0
; FloatMode: 240
; IeeeMode: 1
; LDSByteSize: 0 bytes/workgroup (compile time only)
; SGPRBlocks: 7
; VGPRBlocks: 2
; NumSGPRsForWavesPerEU: 58
; NumVGPRsForWavesPerEU: 24
; AccumOffset: 24
; Occupancy: 8
; WaveLimiterHint : 1
; COMPUTE_PGM_RSRC2:SCRATCH_EN: 0
; COMPUTE_PGM_RSRC2:USER_SGPR: 6
; COMPUTE_PGM_RSRC2:TRAP_HANDLER: 0
; COMPUTE_PGM_RSRC2:TGID_X_EN: 1
; COMPUTE_PGM_RSRC2:TGID_Y_EN: 0
; COMPUTE_PGM_RSRC2:TGID_Z_EN: 0
; COMPUTE_PGM_RSRC2:TIDIG_COMP_CNT: 0
; COMPUTE_PGM_RSRC3_GFX90A:ACCUM_OFFSET: 5
; COMPUTE_PGM_RSRC3_GFX90A:TG_SPLIT: 0
	.section	.text._ZN9rocsparseL26csrgemm_fill_block_per_rowILj512ELj32ELj1024ELj137ELj32EiifEEvT5_PKS1_S3_NS_24const_host_device_scalarIT6_EEPKT4_S3_PKS5_S9_S3_SB_S6_S9_S3_SB_S9_PS1_PS5_21rocsparse_index_base_SE_SE_SE_bbb,"axG",@progbits,_ZN9rocsparseL26csrgemm_fill_block_per_rowILj512ELj32ELj1024ELj137ELj32EiifEEvT5_PKS1_S3_NS_24const_host_device_scalarIT6_EEPKT4_S3_PKS5_S9_S3_SB_S6_S9_S3_SB_S9_PS1_PS5_21rocsparse_index_base_SE_SE_SE_bbb,comdat
	.globl	_ZN9rocsparseL26csrgemm_fill_block_per_rowILj512ELj32ELj1024ELj137ELj32EiifEEvT5_PKS1_S3_NS_24const_host_device_scalarIT6_EEPKT4_S3_PKS5_S9_S3_SB_S6_S9_S3_SB_S9_PS1_PS5_21rocsparse_index_base_SE_SE_SE_bbb ; -- Begin function _ZN9rocsparseL26csrgemm_fill_block_per_rowILj512ELj32ELj1024ELj137ELj32EiifEEvT5_PKS1_S3_NS_24const_host_device_scalarIT6_EEPKT4_S3_PKS5_S9_S3_SB_S6_S9_S3_SB_S9_PS1_PS5_21rocsparse_index_base_SE_SE_SE_bbb
	.p2align	8
	.type	_ZN9rocsparseL26csrgemm_fill_block_per_rowILj512ELj32ELj1024ELj137ELj32EiifEEvT5_PKS1_S3_NS_24const_host_device_scalarIT6_EEPKT4_S3_PKS5_S9_S3_SB_S6_S9_S3_SB_S9_PS1_PS5_21rocsparse_index_base_SE_SE_SE_bbb,@function
_ZN9rocsparseL26csrgemm_fill_block_per_rowILj512ELj32ELj1024ELj137ELj32EiifEEvT5_PKS1_S3_NS_24const_host_device_scalarIT6_EEPKT4_S3_PKS5_S9_S3_SB_S6_S9_S3_SB_S9_PS1_PS5_21rocsparse_index_base_SE_SE_SE_bbb: ; @_ZN9rocsparseL26csrgemm_fill_block_per_rowILj512ELj32ELj1024ELj137ELj32EiifEEvT5_PKS1_S3_NS_24const_host_device_scalarIT6_EEPKT4_S3_PKS5_S9_S3_SB_S6_S9_S3_SB_S9_PS1_PS5_21rocsparse_index_base_SE_SE_SE_bbb
; %bb.0:
	s_load_dword s7, s[4:5], 0x98
	s_load_dwordx4 s[44:47], s[4:5], 0x88
	s_load_dwordx2 s[0:1], s[4:5], 0x18
	s_load_dwordx2 s[24:25], s[4:5], 0x50
	s_waitcnt lgkmcnt(0)
	s_bitcmp1_b32 s7, 0
	s_cselect_b64 s[2:3], -1, 0
	s_bitcmp1_b32 s7, 16
	s_cselect_b64 s[26:27], -1, 0
	s_xor_b64 s[8:9], s[2:3], -1
	s_or_b64 s[8:9], s[8:9], s[26:27]
	s_and_b64 vcc, exec, s[8:9]
	s_cbranch_vccnz .LBB10_2
; %bb.1:
	s_load_dword s0, s[0:1], 0x0
	s_waitcnt lgkmcnt(0)
	v_mov_b32_e32 v11, s0
	s_branch .LBB10_3
.LBB10_2:
	v_mov_b32_e32 v1, s0
	v_cndmask_b32_e64 v11, 0, v1, s[2:3]
.LBB10_3:
	s_load_dwordx4 s[48:51], s[4:5], 0x78
	s_load_dwordx8 s[36:43], s[4:5], 0x58
	s_load_dwordx4 s[16:19], s[4:5], 0x40
	s_load_dwordx4 s[20:23], s[4:5], 0x8
	s_load_dwordx8 s[8:15], s[4:5], 0x20
	s_bitcmp1_b32 s7, 8
	s_cselect_b64 s[0:1], -1, 0
	s_xor_b64 s[28:29], s[0:1], -1
	s_or_b64 s[26:27], s[28:29], s[26:27]
	s_and_b64 vcc, exec, s[26:27]
	s_cbranch_vccnz .LBB10_5
; %bb.4:
	s_load_dword s7, s[24:25], 0x0
	s_waitcnt lgkmcnt(0)
	v_mov_b32_e32 v9, s7
	s_branch .LBB10_6
.LBB10_5:
	v_mov_b32_e32 v1, s24
	v_cndmask_b32_e64 v9, 0, v1, s[0:1]
.LBB10_6:
	s_load_dword s33, s[4:5], 0x0
	v_or_b32_e32 v1, 0xfffffe00, v0
	v_lshl_add_u32 v8, v0, 2, 0
	s_mov_b64 s[4:5], 0
	v_mov_b32_e32 v2, 0
	s_waitcnt lgkmcnt(0)
	v_mov_b32_e32 v3, s33
	v_mov_b32_e32 v4, v8
	;; [unrolled: 1-line block ×3, first 2 shown]
.LBB10_7:                               ; =>This Inner Loop Header: Depth=1
	v_add_co_u32_e32 v5, vcc, 0x200, v5
	s_xor_b64 s[24:25], vcc, -1
	s_and_b64 s[24:25], exec, s[24:25]
	ds_write2st64_b32 v4, v3, v2 offset1:16
	s_or_b64 s[4:5], s[24:25], s[4:5]
	v_add_u32_e32 v4, 0x800, v4
	s_andn2_b64 exec, exec, s[4:5]
	s_cbranch_execnz .LBB10_7
; %bb.8:
	s_or_b64 exec, exec, s[4:5]
	s_waitcnt lgkmcnt(0)
	s_barrier
	s_load_dword s4, s[20:21], 0x0
	s_mov_b32 s5, 0
	v_lshrrev_b32_e32 v10, 5, v0
	s_waitcnt lgkmcnt(0)
	s_add_i32 s4, s4, s6
	s_lshl_b64 s[4:5], s[4:5], 2
	s_add_u32 s4, s22, s4
	s_addc_u32 s5, s23, s5
	s_load_dword s34, s[4:5], 0x0
	s_and_b64 vcc, exec, s[2:3]
	s_cbranch_vccz .LBB10_28
; %bb.9:
	s_waitcnt lgkmcnt(0)
	s_ashr_i32 s35, s34, 31
	s_lshl_b64 s[2:3], s[34:35], 2
	s_add_u32 s2, s8, s2
	s_addc_u32 s3, s9, s3
	s_load_dwordx2 s[2:3], s[2:3], 0x0
	v_subrev_u32_e32 v2, s44, v10
	s_waitcnt lgkmcnt(0)
	s_sub_i32 s35, s3, s44
	v_add_u32_e32 v2, s2, v2
	v_cmp_gt_i32_e32 vcc, s35, v2
	s_and_saveexec_b64 s[2:3], vcc
	s_cbranch_execz .LBB10_27
; %bb.10:
	v_and_b32_e32 v3, 31, v0
	v_subrev_u32_e32 v12, s45, v3
	s_mov_b64 s[4:5], 0
	v_mov_b32_e32 v13, s11
	v_mov_b32_e32 v14, s15
	s_movk_i32 s11, 0x89
	s_branch .LBB10_12
.LBB10_11:                              ;   in Loop: Header=BB10_12 Depth=1
	s_or_b64 exec, exec, s[6:7]
	v_add_u32_e32 v2, 16, v2
	v_cmp_le_i32_e32 vcc, s35, v2
	s_or_b64 s[4:5], vcc, s[4:5]
	s_andn2_b64 exec, exec, s[4:5]
	s_cbranch_execz .LBB10_27
.LBB10_12:                              ; =>This Loop Header: Depth=1
                                        ;     Child Loop BB10_15 Depth 2
                                        ;       Child Loop BB10_17 Depth 3
	v_ashrrev_i32_e32 v3, 31, v2
	v_lshlrev_b64 v[6:7], 2, v[2:3]
	v_add_co_u32_e32 v4, vcc, s10, v6
	v_addc_co_u32_e32 v5, vcc, v13, v7, vcc
	global_load_dword v3, v[4:5], off
	s_waitcnt vmcnt(0)
	v_subrev_u32_e32 v4, s44, v3
	v_ashrrev_i32_e32 v5, 31, v4
	v_lshlrev_b64 v[4:5], 2, v[4:5]
	v_add_co_u32_e32 v4, vcc, s14, v4
	v_addc_co_u32_e32 v5, vcc, v14, v5, vcc
	global_load_dwordx2 v[4:5], v[4:5], off
	s_waitcnt vmcnt(0)
	v_subrev_u32_e32 v3, s45, v5
	v_add_u32_e32 v4, v4, v12
	v_cmp_lt_i32_e32 vcc, v4, v3
	s_and_saveexec_b64 s[6:7], vcc
	s_cbranch_execz .LBB10_11
; %bb.13:                               ;   in Loop: Header=BB10_12 Depth=1
	v_mov_b32_e32 v5, s13
	v_add_co_u32_e32 v6, vcc, s12, v6
	v_addc_co_u32_e32 v7, vcc, v5, v7, vcc
	global_load_dword v5, v[6:7], off
	s_mov_b64 s[8:9], 0
	s_waitcnt vmcnt(0)
	v_mul_f32_e32 v6, v11, v5
	s_branch .LBB10_15
.LBB10_14:                              ;   in Loop: Header=BB10_15 Depth=2
	s_or_b64 exec, exec, s[20:21]
	v_add_u32_e32 v4, 32, v4
	v_cmp_ge_i32_e32 vcc, v4, v3
	s_or_b64 s[8:9], vcc, s[8:9]
	s_andn2_b64 exec, exec, s[8:9]
	s_cbranch_execz .LBB10_11
.LBB10_15:                              ;   Parent Loop BB10_12 Depth=1
                                        ; =>  This Loop Header: Depth=2
                                        ;       Child Loop BB10_17 Depth 3
	v_ashrrev_i32_e32 v5, 31, v4
	v_lshlrev_b64 v[16:17], 2, v[4:5]
	v_mov_b32_e32 v5, s17
	v_add_co_u32_e32 v18, vcc, s16, v16
	v_addc_co_u32_e32 v19, vcc, v5, v17, vcc
	global_load_dword v5, v[18:19], off
	v_mov_b32_e32 v7, s19
	v_add_co_u32_e32 v16, vcc, s18, v16
	v_addc_co_u32_e32 v17, vcc, v7, v17, vcc
	global_load_dword v7, v[16:17], off
	s_mov_b64 s[20:21], 0
	s_waitcnt vmcnt(1)
	v_subrev_u32_e32 v5, s45, v5
	v_mul_lo_u32 v15, v5, s11
	v_and_b32_e32 v15, 0x3ff, v15
	s_waitcnt vmcnt(0)
	v_mul_f32_e32 v7, v6, v7
	s_branch .LBB10_17
.LBB10_16:                              ;   in Loop: Header=BB10_17 Depth=3
	s_or_b64 exec, exec, s[22:23]
	s_xor_b64 s[22:23], s[24:25], -1
	s_and_b64 s[22:23], exec, s[22:23]
	s_or_b64 s[20:21], s[22:23], s[20:21]
	s_andn2_b64 exec, exec, s[20:21]
	s_cbranch_execz .LBB10_14
.LBB10_17:                              ;   Parent Loop BB10_12 Depth=1
                                        ;     Parent Loop BB10_15 Depth=2
                                        ; =>    This Inner Loop Header: Depth=3
	v_lshl_add_u32 v16, v15, 2, 0
	ds_read_b32 v17, v16
                                        ; implicit-def: $sgpr24_sgpr25
	s_waitcnt lgkmcnt(0)
	v_cmp_ne_u32_e32 vcc, v17, v5
	s_and_saveexec_b64 s[22:23], vcc
	s_xor_b64 s[22:23], exec, s[22:23]
	s_cbranch_execz .LBB10_25
; %bb.18:                               ;   in Loop: Header=BB10_17 Depth=3
	v_cmp_ne_u32_e32 vcc, s33, v17
                                        ; implicit-def: $sgpr24_sgpr25
	s_and_saveexec_b64 s[26:27], vcc
	s_xor_b64 s[26:27], exec, s[26:27]
; %bb.19:                               ;   in Loop: Header=BB10_17 Depth=3
	v_add_u32_e32 v15, 1, v15
	v_and_b32_e32 v15, 0x3ff, v15
	s_mov_b64 s[24:25], -1
                                        ; implicit-def: $vgpr16
; %bb.20:                               ;   in Loop: Header=BB10_17 Depth=3
	s_andn2_saveexec_b64 s[26:27], s[26:27]
	s_cbranch_execz .LBB10_24
; %bb.21:                               ;   in Loop: Header=BB10_17 Depth=3
	v_mov_b32_e32 v17, s33
	ds_cmpst_rtn_b32 v17, v16, v17, v5
	s_mov_b64 s[28:29], -1
	s_waitcnt lgkmcnt(0)
	v_cmp_eq_u32_e32 vcc, s33, v17
	s_and_saveexec_b64 s[30:31], vcc
	s_cbranch_execz .LBB10_23
; %bb.22:                               ;   in Loop: Header=BB10_17 Depth=3
	ds_add_f32 v16, v7 offset:4096
	s_xor_b64 s[28:29], exec, -1
.LBB10_23:                              ;   in Loop: Header=BB10_17 Depth=3
	s_or_b64 exec, exec, s[30:31]
	s_andn2_b64 s[24:25], s[24:25], exec
	s_and_b64 s[28:29], s[28:29], exec
	s_or_b64 s[24:25], s[24:25], s[28:29]
.LBB10_24:                              ;   in Loop: Header=BB10_17 Depth=3
	s_or_b64 exec, exec, s[26:27]
	s_and_b64 s[24:25], s[24:25], exec
                                        ; implicit-def: $vgpr16
.LBB10_25:                              ;   in Loop: Header=BB10_17 Depth=3
	s_andn2_saveexec_b64 s[22:23], s[22:23]
	s_cbranch_execz .LBB10_16
; %bb.26:                               ;   in Loop: Header=BB10_17 Depth=3
	ds_add_f32 v16, v7 offset:4096
	s_andn2_b64 s[24:25], s[24:25], exec
	s_branch .LBB10_16
.LBB10_27:
	s_or_b64 exec, exec, s[2:3]
.LBB10_28:
	s_andn2_b64 vcc, exec, s[0:1]
	s_cbranch_vccnz .LBB10_45
; %bb.29:
	s_waitcnt lgkmcnt(0)
	s_ashr_i32 s35, s34, 31
	s_lshl_b64 s[0:1], s[34:35], 2
	s_add_u32 s0, s36, s0
	s_addc_u32 s1, s37, s1
	s_load_dwordx2 s[0:1], s[0:1], 0x0
	v_subrev_u32_e32 v2, s47, v0
	s_waitcnt lgkmcnt(0)
	s_sub_i32 s16, s1, s47
	v_add_u32_e32 v2, s0, v2
	v_cmp_gt_i32_e32 vcc, s16, v2
	s_and_saveexec_b64 s[0:1], vcc
	s_cbranch_execz .LBB10_44
; %bb.30:
	s_mov_b64 s[2:3], 0
	v_mov_b32_e32 v4, s39
	v_mov_b32_e32 v5, s41
	s_movk_i32 s17, 0x89
	s_branch .LBB10_32
.LBB10_31:                              ;   in Loop: Header=BB10_32 Depth=1
	s_or_b64 exec, exec, s[4:5]
	v_add_u32_e32 v2, 0x200, v2
	v_cmp_le_i32_e32 vcc, s16, v2
	s_or_b64 s[2:3], vcc, s[2:3]
	s_andn2_b64 exec, exec, s[2:3]
	s_cbranch_execz .LBB10_44
.LBB10_32:                              ; =>This Loop Header: Depth=1
                                        ;     Child Loop BB10_34 Depth 2
	v_ashrrev_i32_e32 v3, 31, v2
	v_lshlrev_b64 v[6:7], 2, v[2:3]
	v_add_co_u32_e32 v12, vcc, s38, v6
	v_addc_co_u32_e32 v13, vcc, v4, v7, vcc
	global_load_dword v3, v[12:13], off
	v_add_co_u32_e32 v6, vcc, s40, v6
	v_addc_co_u32_e32 v7, vcc, v5, v7, vcc
	global_load_dword v6, v[6:7], off
	s_mov_b64 s[4:5], 0
	s_waitcnt vmcnt(1)
	v_subrev_u32_e32 v3, s47, v3
	v_mul_lo_u32 v7, v3, s17
	v_and_b32_e32 v7, 0x3ff, v7
	s_waitcnt vmcnt(0)
	v_mul_f32_e32 v6, v9, v6
	s_branch .LBB10_34
.LBB10_33:                              ;   in Loop: Header=BB10_34 Depth=2
	s_or_b64 exec, exec, s[6:7]
	s_xor_b64 s[6:7], s[8:9], -1
	s_and_b64 s[6:7], exec, s[6:7]
	s_or_b64 s[4:5], s[6:7], s[4:5]
	s_andn2_b64 exec, exec, s[4:5]
	s_cbranch_execz .LBB10_31
.LBB10_34:                              ;   Parent Loop BB10_32 Depth=1
                                        ; =>  This Inner Loop Header: Depth=2
	v_lshl_add_u32 v11, v7, 2, 0
	ds_read_b32 v12, v11
                                        ; implicit-def: $sgpr8_sgpr9
	s_waitcnt lgkmcnt(0)
	v_cmp_ne_u32_e32 vcc, v12, v3
	s_and_saveexec_b64 s[6:7], vcc
	s_xor_b64 s[6:7], exec, s[6:7]
	s_cbranch_execz .LBB10_42
; %bb.35:                               ;   in Loop: Header=BB10_34 Depth=2
	v_cmp_ne_u32_e32 vcc, s33, v12
                                        ; implicit-def: $sgpr8_sgpr9
	s_and_saveexec_b64 s[10:11], vcc
	s_xor_b64 s[10:11], exec, s[10:11]
; %bb.36:                               ;   in Loop: Header=BB10_34 Depth=2
	v_add_u32_e32 v7, 1, v7
	v_and_b32_e32 v7, 0x3ff, v7
	s_mov_b64 s[8:9], -1
                                        ; implicit-def: $vgpr11
; %bb.37:                               ;   in Loop: Header=BB10_34 Depth=2
	s_andn2_saveexec_b64 s[10:11], s[10:11]
	s_cbranch_execz .LBB10_41
; %bb.38:                               ;   in Loop: Header=BB10_34 Depth=2
	v_mov_b32_e32 v12, s33
	ds_cmpst_rtn_b32 v12, v11, v12, v3
	s_mov_b64 s[12:13], -1
	s_waitcnt lgkmcnt(0)
	v_cmp_eq_u32_e32 vcc, s33, v12
	s_and_saveexec_b64 s[14:15], vcc
	s_cbranch_execz .LBB10_40
; %bb.39:                               ;   in Loop: Header=BB10_34 Depth=2
	ds_add_f32 v11, v6 offset:4096
	s_xor_b64 s[12:13], exec, -1
.LBB10_40:                              ;   in Loop: Header=BB10_34 Depth=2
	s_or_b64 exec, exec, s[14:15]
	s_andn2_b64 s[8:9], s[8:9], exec
	s_and_b64 s[12:13], s[12:13], exec
	s_or_b64 s[8:9], s[8:9], s[12:13]
.LBB10_41:                              ;   in Loop: Header=BB10_34 Depth=2
	s_or_b64 exec, exec, s[10:11]
	s_and_b64 s[8:9], s[8:9], exec
                                        ; implicit-def: $vgpr11
.LBB10_42:                              ;   in Loop: Header=BB10_34 Depth=2
	s_andn2_saveexec_b64 s[6:7], s[6:7]
	s_cbranch_execz .LBB10_33
; %bb.43:                               ;   in Loop: Header=BB10_34 Depth=2
	ds_add_f32 v11, v6 offset:4096
	s_andn2_b64 s[8:9], s[8:9], exec
	s_branch .LBB10_33
.LBB10_44:
	s_or_b64 exec, exec, s[0:1]
.LBB10_45:
	v_mbcnt_lo_u32_b32 v2, -1, 0
	v_mbcnt_hi_u32_b32 v2, -1, v2
	v_sub_u32_e32 v2, 63, v2
	s_movk_i32 s0, 0x1ff
	s_movk_i32 s6, 0x5f
	;; [unrolled: 1-line block ×14, first 2 shown]
	v_mov_b32_e32 v6, 0
	v_lshrrev_b64 v[2:3], v2, -1
	v_lshl_add_u32 v7, v10, 2, 0
	v_cmp_eq_u32_e64 s[0:1], s0, v0
	v_cmp_lt_u32_e64 s[2:3], 31, v0
	v_cmp_lt_u32_e64 s[4:5], 63, v0
	;; [unrolled: 1-line block ×15, first 2 shown]
	s_mov_b64 s[36:37], 0
	v_mov_b32_e32 v9, 0
	s_waitcnt lgkmcnt(0)
	s_barrier
	s_branch .LBB10_47
.LBB10_46:                              ;   in Loop: Header=BB10_47 Depth=1
	s_or_b64 exec, exec, s[38:39]
	s_waitcnt lgkmcnt(0)
	s_barrier
	ds_read_b32 v4, v6 offset:8252
	v_add_co_u32_e32 v1, vcc, 0x200, v1
	s_xor_b64 s[38:39], vcc, -1
	s_and_b64 s[38:39], exec, s[38:39]
	s_waitcnt lgkmcnt(0)
	v_add_u32_e32 v9, v4, v9
	s_or_b64 s[36:37], s[38:39], s[36:37]
	v_add_u32_e32 v8, 0x800, v8
	s_andn2_b64 exec, exec, s[36:37]
	s_cbranch_execz .LBB10_81
.LBB10_47:                              ; =>This Inner Loop Header: Depth=1
	ds_read2st64_b32 v[4:5], v8 offset1:16
	s_waitcnt lgkmcnt(0)
	s_barrier
	v_cmp_gt_i32_e32 vcc, s33, v4
	v_and_b32_e32 v11, vcc_lo, v2
	s_bcnt1_i32_b64 s35, vcc
	v_and_b32_e32 v10, vcc_hi, v3
	v_bcnt_u32_b32 v11, v11, 0
	v_bcnt_u32_b32 v10, v10, v11
	v_mov_b32_e32 v11, s35
	ds_write_b32 v7, v11 offset:8192
	s_waitcnt lgkmcnt(0)
	s_barrier
	s_and_saveexec_b64 s[38:39], s[2:3]
	s_cbranch_execnz .LBB10_64
; %bb.48:                               ;   in Loop: Header=BB10_47 Depth=1
	s_or_b64 exec, exec, s[38:39]
	s_and_saveexec_b64 s[38:39], s[4:5]
	s_cbranch_execnz .LBB10_65
.LBB10_49:                              ;   in Loop: Header=BB10_47 Depth=1
	s_or_b64 exec, exec, s[38:39]
	s_and_saveexec_b64 s[38:39], s[6:7]
	s_cbranch_execnz .LBB10_66
.LBB10_50:                              ;   in Loop: Header=BB10_47 Depth=1
	s_or_b64 exec, exec, s[38:39]
	s_and_saveexec_b64 s[38:39], s[8:9]
	s_cbranch_execnz .LBB10_67
.LBB10_51:                              ;   in Loop: Header=BB10_47 Depth=1
	s_or_b64 exec, exec, s[38:39]
	s_and_saveexec_b64 s[38:39], s[10:11]
	s_cbranch_execnz .LBB10_68
.LBB10_52:                              ;   in Loop: Header=BB10_47 Depth=1
	s_or_b64 exec, exec, s[38:39]
	s_and_saveexec_b64 s[38:39], s[12:13]
	s_cbranch_execnz .LBB10_69
.LBB10_53:                              ;   in Loop: Header=BB10_47 Depth=1
	s_or_b64 exec, exec, s[38:39]
	s_and_saveexec_b64 s[38:39], s[14:15]
	s_cbranch_execnz .LBB10_70
.LBB10_54:                              ;   in Loop: Header=BB10_47 Depth=1
	s_or_b64 exec, exec, s[38:39]
	s_and_saveexec_b64 s[38:39], s[16:17]
	s_cbranch_execnz .LBB10_71
.LBB10_55:                              ;   in Loop: Header=BB10_47 Depth=1
	s_or_b64 exec, exec, s[38:39]
	s_and_saveexec_b64 s[38:39], s[18:19]
	s_cbranch_execnz .LBB10_72
.LBB10_56:                              ;   in Loop: Header=BB10_47 Depth=1
	s_or_b64 exec, exec, s[38:39]
	s_and_saveexec_b64 s[38:39], s[20:21]
	s_cbranch_execnz .LBB10_73
.LBB10_57:                              ;   in Loop: Header=BB10_47 Depth=1
	s_or_b64 exec, exec, s[38:39]
	s_and_saveexec_b64 s[38:39], s[22:23]
	s_cbranch_execnz .LBB10_74
.LBB10_58:                              ;   in Loop: Header=BB10_47 Depth=1
	s_or_b64 exec, exec, s[38:39]
	s_and_saveexec_b64 s[38:39], s[24:25]
	s_cbranch_execnz .LBB10_75
.LBB10_59:                              ;   in Loop: Header=BB10_47 Depth=1
	s_or_b64 exec, exec, s[38:39]
	s_and_saveexec_b64 s[38:39], s[26:27]
	s_cbranch_execnz .LBB10_76
.LBB10_60:                              ;   in Loop: Header=BB10_47 Depth=1
	s_or_b64 exec, exec, s[38:39]
	s_and_saveexec_b64 s[38:39], s[28:29]
	s_cbranch_execnz .LBB10_77
.LBB10_61:                              ;   in Loop: Header=BB10_47 Depth=1
	s_or_b64 exec, exec, s[38:39]
	s_and_saveexec_b64 s[38:39], s[30:31]
	s_cbranch_execnz .LBB10_78
.LBB10_62:                              ;   in Loop: Header=BB10_47 Depth=1
	s_or_b64 exec, exec, s[38:39]
	s_and_saveexec_b64 s[38:39], vcc
	s_cbranch_execnz .LBB10_79
.LBB10_63:                              ;   in Loop: Header=BB10_47 Depth=1
	s_or_b64 exec, exec, s[38:39]
	s_and_saveexec_b64 s[38:39], s[0:1]
	s_cbranch_execz .LBB10_46
	s_branch .LBB10_80
.LBB10_64:                              ;   in Loop: Header=BB10_47 Depth=1
	ds_read_b32 v11, v6 offset:8192
	s_waitcnt lgkmcnt(0)
	v_add_u32_e32 v10, v11, v10
	s_or_b64 exec, exec, s[38:39]
	s_and_saveexec_b64 s[38:39], s[4:5]
	s_cbranch_execz .LBB10_49
.LBB10_65:                              ;   in Loop: Header=BB10_47 Depth=1
	ds_read_b32 v11, v6 offset:8196
	s_waitcnt lgkmcnt(0)
	v_add_u32_e32 v10, v11, v10
	s_or_b64 exec, exec, s[38:39]
	s_and_saveexec_b64 s[38:39], s[6:7]
	s_cbranch_execz .LBB10_50
.LBB10_66:                              ;   in Loop: Header=BB10_47 Depth=1
	ds_read_b32 v11, v6 offset:8200
	s_waitcnt lgkmcnt(0)
	v_add_u32_e32 v10, v11, v10
	s_or_b64 exec, exec, s[38:39]
	s_and_saveexec_b64 s[38:39], s[8:9]
	s_cbranch_execz .LBB10_51
.LBB10_67:                              ;   in Loop: Header=BB10_47 Depth=1
	ds_read_b32 v11, v6 offset:8204
	s_waitcnt lgkmcnt(0)
	v_add_u32_e32 v10, v11, v10
	s_or_b64 exec, exec, s[38:39]
	s_and_saveexec_b64 s[38:39], s[10:11]
	s_cbranch_execz .LBB10_52
.LBB10_68:                              ;   in Loop: Header=BB10_47 Depth=1
	ds_read_b32 v11, v6 offset:8208
	s_waitcnt lgkmcnt(0)
	v_add_u32_e32 v10, v11, v10
	s_or_b64 exec, exec, s[38:39]
	s_and_saveexec_b64 s[38:39], s[12:13]
	s_cbranch_execz .LBB10_53
.LBB10_69:                              ;   in Loop: Header=BB10_47 Depth=1
	ds_read_b32 v11, v6 offset:8212
	s_waitcnt lgkmcnt(0)
	v_add_u32_e32 v10, v11, v10
	s_or_b64 exec, exec, s[38:39]
	s_and_saveexec_b64 s[38:39], s[14:15]
	s_cbranch_execz .LBB10_54
.LBB10_70:                              ;   in Loop: Header=BB10_47 Depth=1
	ds_read_b32 v11, v6 offset:8216
	s_waitcnt lgkmcnt(0)
	v_add_u32_e32 v10, v11, v10
	s_or_b64 exec, exec, s[38:39]
	s_and_saveexec_b64 s[38:39], s[16:17]
	s_cbranch_execz .LBB10_55
.LBB10_71:                              ;   in Loop: Header=BB10_47 Depth=1
	ds_read_b32 v11, v6 offset:8220
	s_waitcnt lgkmcnt(0)
	v_add_u32_e32 v10, v11, v10
	s_or_b64 exec, exec, s[38:39]
	s_and_saveexec_b64 s[38:39], s[18:19]
	s_cbranch_execz .LBB10_56
.LBB10_72:                              ;   in Loop: Header=BB10_47 Depth=1
	ds_read_b32 v11, v6 offset:8224
	s_waitcnt lgkmcnt(0)
	v_add_u32_e32 v10, v11, v10
	s_or_b64 exec, exec, s[38:39]
	s_and_saveexec_b64 s[38:39], s[20:21]
	s_cbranch_execz .LBB10_57
.LBB10_73:                              ;   in Loop: Header=BB10_47 Depth=1
	ds_read_b32 v11, v6 offset:8228
	s_waitcnt lgkmcnt(0)
	v_add_u32_e32 v10, v11, v10
	s_or_b64 exec, exec, s[38:39]
	s_and_saveexec_b64 s[38:39], s[22:23]
	s_cbranch_execz .LBB10_58
.LBB10_74:                              ;   in Loop: Header=BB10_47 Depth=1
	ds_read_b32 v11, v6 offset:8232
	s_waitcnt lgkmcnt(0)
	v_add_u32_e32 v10, v11, v10
	s_or_b64 exec, exec, s[38:39]
	s_and_saveexec_b64 s[38:39], s[24:25]
	s_cbranch_execz .LBB10_59
.LBB10_75:                              ;   in Loop: Header=BB10_47 Depth=1
	ds_read_b32 v11, v6 offset:8236
	s_waitcnt lgkmcnt(0)
	v_add_u32_e32 v10, v11, v10
	s_or_b64 exec, exec, s[38:39]
	s_and_saveexec_b64 s[38:39], s[26:27]
	s_cbranch_execz .LBB10_60
.LBB10_76:                              ;   in Loop: Header=BB10_47 Depth=1
	ds_read_b32 v11, v6 offset:8240
	s_waitcnt lgkmcnt(0)
	v_add_u32_e32 v10, v11, v10
	s_or_b64 exec, exec, s[38:39]
	s_and_saveexec_b64 s[38:39], s[28:29]
	s_cbranch_execz .LBB10_61
.LBB10_77:                              ;   in Loop: Header=BB10_47 Depth=1
	ds_read_b32 v11, v6 offset:8244
	s_waitcnt lgkmcnt(0)
	v_add_u32_e32 v10, v11, v10
	s_or_b64 exec, exec, s[38:39]
	s_and_saveexec_b64 s[38:39], s[30:31]
	s_cbranch_execz .LBB10_62
.LBB10_78:                              ;   in Loop: Header=BB10_47 Depth=1
	ds_read_b32 v11, v6 offset:8248
	s_waitcnt lgkmcnt(0)
	v_add_u32_e32 v10, v11, v10
	s_or_b64 exec, exec, s[38:39]
	s_and_saveexec_b64 s[38:39], vcc
	s_cbranch_execz .LBB10_63
.LBB10_79:                              ;   in Loop: Header=BB10_47 Depth=1
	v_add3_u32 v11, v9, -1, v10
	v_lshl_add_u32 v11, v11, 2, 0
	ds_write2st64_b32 v11, v4, v5 offset1:16
	s_or_b64 exec, exec, s[38:39]
	s_and_saveexec_b64 s[38:39], s[0:1]
	s_cbranch_execz .LBB10_46
.LBB10_80:                              ;   in Loop: Header=BB10_47 Depth=1
	ds_write_b32 v6, v10 offset:8252
	s_branch .LBB10_46
.LBB10_81:
	s_or_b64 exec, exec, s[36:37]
	s_ashr_i32 s35, s34, 31
	s_lshl_b64 s[0:1], s[34:35], 2
	s_add_u32 s0, s42, s0
	s_addc_u32 s1, s43, s1
	s_load_dwordx2 s[0:1], s[0:1], 0x0
	s_waitcnt lgkmcnt(0)
	s_sub_i32 s14, s1, s0
	v_cmp_gt_i32_e32 vcc, s14, v0
	s_and_saveexec_b64 s[2:3], vcc
	s_cbranch_execz .LBB10_96
; %bb.82:
	s_sub_i32 s6, s0, s46
	s_add_i32 s0, s14, -2
	s_lshr_b32 s1, s0, 1
	s_add_i32 s2, s1, 1
	s_cmp_gt_u32 s14, 1
	s_cselect_b64 s[8:9], -1, 0
	s_and_b32 s15, s14, -2
	s_and_b32 s4, s2, 7
	s_cmp_gt_u32 s0, 13
	s_cselect_b64 s[0:1], -1, 0
	s_and_b32 s16, s2, -8
	s_cmp_lg_u32 s4, 0
	s_cselect_b64 s[2:3], -1, 0
	v_cndmask_b32_e64 v1, 0, 1, s[0:1]
	s_cmp_lg_u32 s14, s15
	v_cmp_ne_u32_e64 s[0:1], 1, v1
	v_cndmask_b32_e64 v1, 0, 1, s[2:3]
	s_mov_b32 s7, 0
	s_cselect_b64 s[10:11], -1, 0
	s_lshl_b32 s17, s4, 3
	s_mov_b64 s[12:13], 0
	v_cmp_ne_u32_e64 s[2:3], 1, v1
	v_mov_b32_e32 v1, s49
	v_mov_b32_e32 v6, s51
	s_branch .LBB10_84
.LBB10_83:                              ;   in Loop: Header=BB10_84 Depth=1
	v_ashrrev_i32_e32 v5, 31, v4
	v_lshlrev_b64 v[4:5], 2, v[4:5]
	v_add_co_u32_e32 v8, vcc, s48, v4
	v_addc_co_u32_e32 v9, vcc, v1, v5, vcc
	v_add_co_u32_e32 v4, vcc, s50, v4
	v_addc_co_u32_e32 v5, vcc, v6, v5, vcc
	v_add_u32_e32 v0, 0x200, v0
	v_cmp_le_i32_e32 vcc, s14, v0
	s_waitcnt lgkmcnt(0)
	v_add_u32_e32 v2, s46, v2
	s_or_b64 s[12:13], vcc, s[12:13]
	global_store_dword v[8:9], v2, off
	global_store_dword v[4:5], v3, off
	s_andn2_b64 exec, exec, s[12:13]
	s_cbranch_execz .LBB10_96
.LBB10_84:                              ; =>This Loop Header: Depth=1
                                        ;     Child Loop BB10_87 Depth 2
                                        ;     Child Loop BB10_92 Depth 2
	;; [unrolled: 1-line block ×3, first 2 shown]
	v_lshl_add_u32 v2, v0, 2, 0
	ds_read2st64_b32 v[2:3], v2 offset1:16
	s_and_b64 vcc, exec, s[8:9]
	s_cbranch_vccz .LBB10_89
; %bb.85:                               ;   in Loop: Header=BB10_84 Depth=1
	s_and_b64 vcc, exec, s[0:1]
	s_cbranch_vccnz .LBB10_90
; %bb.86:                               ;   in Loop: Header=BB10_84 Depth=1
	s_mov_b32 s19, 0
	v_mov_b32_e32 v4, s6
	v_mov_b32_e32 v5, 0
	s_mov_b32 s20, s16
	s_mov_b32 s18, 0
.LBB10_87:                              ;   Parent Loop BB10_84 Depth=1
                                        ; =>  This Inner Loop Header: Depth=2
	v_mov_b32_e32 v7, s19
	ds_read2_b32 v[8:9], v7 offset1:1
	ds_read2_b32 v[10:11], v7 offset0:2 offset1:3
	ds_read2_b32 v[12:13], v7 offset0:4 offset1:5
	;; [unrolled: 1-line block ×7, first 2 shown]
	s_waitcnt lgkmcnt(7)
	v_cmp_gt_i32_e32 vcc, v2, v9
	s_waitcnt lgkmcnt(5)
	v_cmp_gt_i32_e64 s[4:5], v2, v12
	v_cndmask_b32_e64 v7, 0, 1, vcc
	v_cmp_gt_i32_e32 vcc, v2, v8
	v_cndmask_b32_e64 v9, 0, 1, s[4:5]
	v_cmp_gt_i32_e64 s[4:5], v2, v13
	v_cndmask_b32_e64 v8, 0, 1, vcc
	v_cmp_gt_i32_e32 vcc, v2, v11
	v_cndmask_b32_e64 v11, 0, 1, s[4:5]
	s_waitcnt lgkmcnt(3)
	v_cmp_gt_i32_e64 s[4:5], v2, v17
	v_cndmask_b32_e64 v12, 0, 1, s[4:5]
	v_cmp_gt_i32_e64 s[4:5], v2, v16
	v_cndmask_b32_e64 v13, 0, 1, s[4:5]
	s_waitcnt lgkmcnt(1)
	v_cmp_gt_i32_e64 s[4:5], v2, v20
	v_cndmask_b32_e64 v16, 0, 1, s[4:5]
	v_cmp_gt_i32_e64 s[4:5], v2, v21
	v_cndmask_b32_e64 v17, 0, 1, s[4:5]
	v_cmp_gt_i32_e64 s[4:5], v2, v10
	v_addc_co_u32_e64 v4, s[4:5], v4, v8, s[4:5]
	v_addc_co_u32_e32 v5, vcc, v5, v7, vcc
	v_cmp_gt_i32_e32 vcc, v2, v14
	v_cmp_gt_i32_e64 s[4:5], v2, v15
	v_addc_co_u32_e64 v5, s[4:5], v5, v11, s[4:5]
	v_addc_co_u32_e32 v4, vcc, v4, v9, vcc
	v_cmp_gt_i32_e32 vcc, v2, v19
	v_cmp_gt_i32_e64 s[4:5], v2, v18
	v_addc_co_u32_e64 v4, s[4:5], v4, v13, s[4:5]
	v_addc_co_u32_e32 v5, vcc, v5, v12, vcc
	s_add_i32 s18, s18, 16
	s_add_i32 s19, s19, 64
	s_add_i32 s20, s20, -8
	s_waitcnt lgkmcnt(0)
	v_cmp_gt_i32_e32 vcc, v2, v22
	v_cmp_gt_i32_e64 s[4:5], v2, v23
	s_cmp_lg_u32 s20, 0
	v_addc_co_u32_e64 v5, s[4:5], v5, v17, s[4:5]
	v_addc_co_u32_e32 v4, vcc, v4, v16, vcc
	s_cbranch_scc1 .LBB10_87
; %bb.88:                               ;   in Loop: Header=BB10_84 Depth=1
	s_and_b64 vcc, exec, s[2:3]
	s_cbranch_vccz .LBB10_91
	s_branch .LBB10_93
.LBB10_89:                              ;   in Loop: Header=BB10_84 Depth=1
	v_mov_b32_e32 v4, s6
	s_mov_b32 s18, 0
	s_cbranch_execz .LBB10_83
	s_branch .LBB10_94
.LBB10_90:                              ;   in Loop: Header=BB10_84 Depth=1
	v_pk_mov_b32 v[4:5], s[6:7], s[6:7] op_sel:[0,1]
	s_mov_b32 s18, 0
	s_and_b64 vcc, exec, s[2:3]
	s_cbranch_vccnz .LBB10_93
.LBB10_91:                              ;   in Loop: Header=BB10_84 Depth=1
	s_lshl_b32 s4, s18, 2
	s_add_i32 s4, s4, 0
	s_mov_b32 s5, s17
.LBB10_92:                              ;   Parent Loop BB10_84 Depth=1
                                        ; =>  This Inner Loop Header: Depth=2
	v_mov_b32_e32 v7, s4
	ds_read2_b32 v[8:9], v7 offset1:1
	s_add_i32 s4, s4, 8
	s_add_i32 s5, s5, -8
	s_cmp_lg_u32 s5, 0
	s_waitcnt lgkmcnt(0)
	v_cmp_gt_i32_e32 vcc, v2, v9
	v_addc_co_u32_e32 v5, vcc, 0, v5, vcc
	v_cmp_gt_i32_e32 vcc, v2, v8
	v_addc_co_u32_e32 v4, vcc, 0, v4, vcc
	s_cbranch_scc1 .LBB10_92
.LBB10_93:                              ;   in Loop: Header=BB10_84 Depth=1
	v_add_u32_e32 v4, v4, v5
	s_mov_b32 s18, s15
	s_mov_b64 s[4:5], s[10:11]
	s_and_b64 vcc, exec, s[4:5]
	s_cbranch_vccz .LBB10_83
.LBB10_94:                              ;   in Loop: Header=BB10_84 Depth=1
	s_lshl_b32 s4, s18, 2
	s_add_i32 s4, s4, 0
.LBB10_95:                              ;   Parent Loop BB10_84 Depth=1
                                        ; =>  This Inner Loop Header: Depth=2
	v_mov_b32_e32 v5, s4
	ds_read_b32 v5, v5
	s_add_i32 s18, s18, 1
	s_add_i32 s4, s4, 4
	s_cmp_ge_i32 s18, s14
	s_waitcnt lgkmcnt(0)
	v_cmp_gt_i32_e32 vcc, v2, v5
	v_addc_co_u32_e32 v4, vcc, 0, v4, vcc
	s_cbranch_scc0 .LBB10_95
	s_branch .LBB10_83
.LBB10_96:
	s_endpgm
	.section	.rodata,"a",@progbits
	.p2align	6, 0x0
	.amdhsa_kernel _ZN9rocsparseL26csrgemm_fill_block_per_rowILj512ELj32ELj1024ELj137ELj32EiifEEvT5_PKS1_S3_NS_24const_host_device_scalarIT6_EEPKT4_S3_PKS5_S9_S3_SB_S6_S9_S3_SB_S9_PS1_PS5_21rocsparse_index_base_SE_SE_SE_bbb
		.amdhsa_group_segment_fixed_size 0
		.amdhsa_private_segment_fixed_size 0
		.amdhsa_kernarg_size 156
		.amdhsa_user_sgpr_count 6
		.amdhsa_user_sgpr_private_segment_buffer 1
		.amdhsa_user_sgpr_dispatch_ptr 0
		.amdhsa_user_sgpr_queue_ptr 0
		.amdhsa_user_sgpr_kernarg_segment_ptr 1
		.amdhsa_user_sgpr_dispatch_id 0
		.amdhsa_user_sgpr_flat_scratch_init 0
		.amdhsa_user_sgpr_kernarg_preload_length 0
		.amdhsa_user_sgpr_kernarg_preload_offset 0
		.amdhsa_user_sgpr_private_segment_size 0
		.amdhsa_uses_dynamic_stack 0
		.amdhsa_system_sgpr_private_segment_wavefront_offset 0
		.amdhsa_system_sgpr_workgroup_id_x 1
		.amdhsa_system_sgpr_workgroup_id_y 0
		.amdhsa_system_sgpr_workgroup_id_z 0
		.amdhsa_system_sgpr_workgroup_info 0
		.amdhsa_system_vgpr_workitem_id 0
		.amdhsa_next_free_vgpr 24
		.amdhsa_next_free_sgpr 52
		.amdhsa_accum_offset 24
		.amdhsa_reserve_vcc 1
		.amdhsa_reserve_flat_scratch 0
		.amdhsa_float_round_mode_32 0
		.amdhsa_float_round_mode_16_64 0
		.amdhsa_float_denorm_mode_32 3
		.amdhsa_float_denorm_mode_16_64 3
		.amdhsa_dx10_clamp 1
		.amdhsa_ieee_mode 1
		.amdhsa_fp16_overflow 0
		.amdhsa_tg_split 0
		.amdhsa_exception_fp_ieee_invalid_op 0
		.amdhsa_exception_fp_denorm_src 0
		.amdhsa_exception_fp_ieee_div_zero 0
		.amdhsa_exception_fp_ieee_overflow 0
		.amdhsa_exception_fp_ieee_underflow 0
		.amdhsa_exception_fp_ieee_inexact 0
		.amdhsa_exception_int_div_zero 0
	.end_amdhsa_kernel
	.section	.text._ZN9rocsparseL26csrgemm_fill_block_per_rowILj512ELj32ELj1024ELj137ELj32EiifEEvT5_PKS1_S3_NS_24const_host_device_scalarIT6_EEPKT4_S3_PKS5_S9_S3_SB_S6_S9_S3_SB_S9_PS1_PS5_21rocsparse_index_base_SE_SE_SE_bbb,"axG",@progbits,_ZN9rocsparseL26csrgemm_fill_block_per_rowILj512ELj32ELj1024ELj137ELj32EiifEEvT5_PKS1_S3_NS_24const_host_device_scalarIT6_EEPKT4_S3_PKS5_S9_S3_SB_S6_S9_S3_SB_S9_PS1_PS5_21rocsparse_index_base_SE_SE_SE_bbb,comdat
.Lfunc_end10:
	.size	_ZN9rocsparseL26csrgemm_fill_block_per_rowILj512ELj32ELj1024ELj137ELj32EiifEEvT5_PKS1_S3_NS_24const_host_device_scalarIT6_EEPKT4_S3_PKS5_S9_S3_SB_S6_S9_S3_SB_S9_PS1_PS5_21rocsparse_index_base_SE_SE_SE_bbb, .Lfunc_end10-_ZN9rocsparseL26csrgemm_fill_block_per_rowILj512ELj32ELj1024ELj137ELj32EiifEEvT5_PKS1_S3_NS_24const_host_device_scalarIT6_EEPKT4_S3_PKS5_S9_S3_SB_S6_S9_S3_SB_S9_PS1_PS5_21rocsparse_index_base_SE_SE_SE_bbb
                                        ; -- End function
	.section	.AMDGPU.csdata,"",@progbits
; Kernel info:
; codeLenInByte = 3128
; NumSgprs: 56
; NumVgprs: 24
; NumAgprs: 0
; TotalNumVgprs: 24
; ScratchSize: 0
; MemoryBound: 0
; FloatMode: 240
; IeeeMode: 1
; LDSByteSize: 0 bytes/workgroup (compile time only)
; SGPRBlocks: 6
; VGPRBlocks: 2
; NumSGPRsForWavesPerEU: 56
; NumVGPRsForWavesPerEU: 24
; AccumOffset: 24
; Occupancy: 8
; WaveLimiterHint : 1
; COMPUTE_PGM_RSRC2:SCRATCH_EN: 0
; COMPUTE_PGM_RSRC2:USER_SGPR: 6
; COMPUTE_PGM_RSRC2:TRAP_HANDLER: 0
; COMPUTE_PGM_RSRC2:TGID_X_EN: 1
; COMPUTE_PGM_RSRC2:TGID_Y_EN: 0
; COMPUTE_PGM_RSRC2:TGID_Z_EN: 0
; COMPUTE_PGM_RSRC2:TIDIG_COMP_CNT: 0
; COMPUTE_PGM_RSRC3_GFX90A:ACCUM_OFFSET: 5
; COMPUTE_PGM_RSRC3_GFX90A:TG_SPLIT: 0
	.section	.text._ZN9rocsparseL26csrgemm_fill_block_per_rowILj512ELj32ELj1024ELj137ELj64EiifEEvT5_PKS1_S3_NS_24const_host_device_scalarIT6_EEPKT4_S3_PKS5_S9_S3_SB_S6_S9_S3_SB_S9_PS1_PS5_21rocsparse_index_base_SE_SE_SE_bbb,"axG",@progbits,_ZN9rocsparseL26csrgemm_fill_block_per_rowILj512ELj32ELj1024ELj137ELj64EiifEEvT5_PKS1_S3_NS_24const_host_device_scalarIT6_EEPKT4_S3_PKS5_S9_S3_SB_S6_S9_S3_SB_S9_PS1_PS5_21rocsparse_index_base_SE_SE_SE_bbb,comdat
	.globl	_ZN9rocsparseL26csrgemm_fill_block_per_rowILj512ELj32ELj1024ELj137ELj64EiifEEvT5_PKS1_S3_NS_24const_host_device_scalarIT6_EEPKT4_S3_PKS5_S9_S3_SB_S6_S9_S3_SB_S9_PS1_PS5_21rocsparse_index_base_SE_SE_SE_bbb ; -- Begin function _ZN9rocsparseL26csrgemm_fill_block_per_rowILj512ELj32ELj1024ELj137ELj64EiifEEvT5_PKS1_S3_NS_24const_host_device_scalarIT6_EEPKT4_S3_PKS5_S9_S3_SB_S6_S9_S3_SB_S9_PS1_PS5_21rocsparse_index_base_SE_SE_SE_bbb
	.p2align	8
	.type	_ZN9rocsparseL26csrgemm_fill_block_per_rowILj512ELj32ELj1024ELj137ELj64EiifEEvT5_PKS1_S3_NS_24const_host_device_scalarIT6_EEPKT4_S3_PKS5_S9_S3_SB_S6_S9_S3_SB_S9_PS1_PS5_21rocsparse_index_base_SE_SE_SE_bbb,@function
_ZN9rocsparseL26csrgemm_fill_block_per_rowILj512ELj32ELj1024ELj137ELj64EiifEEvT5_PKS1_S3_NS_24const_host_device_scalarIT6_EEPKT4_S3_PKS5_S9_S3_SB_S6_S9_S3_SB_S9_PS1_PS5_21rocsparse_index_base_SE_SE_SE_bbb: ; @_ZN9rocsparseL26csrgemm_fill_block_per_rowILj512ELj32ELj1024ELj137ELj64EiifEEvT5_PKS1_S3_NS_24const_host_device_scalarIT6_EEPKT4_S3_PKS5_S9_S3_SB_S6_S9_S3_SB_S9_PS1_PS5_21rocsparse_index_base_SE_SE_SE_bbb
; %bb.0:
	s_load_dword s7, s[4:5], 0x98
	s_load_dwordx4 s[28:31], s[4:5], 0x88
	s_load_dwordx2 s[0:1], s[4:5], 0x18
	s_load_dwordx2 s[34:35], s[4:5], 0x50
	s_waitcnt lgkmcnt(0)
	s_bitcmp1_b32 s7, 0
	s_cselect_b64 s[2:3], -1, 0
	s_bitcmp1_b32 s7, 16
	s_cselect_b64 s[44:45], -1, 0
	s_xor_b64 s[8:9], s[2:3], -1
	s_or_b64 s[8:9], s[8:9], s[44:45]
	s_and_b64 vcc, exec, s[8:9]
	s_cbranch_vccnz .LBB11_2
; %bb.1:
	s_load_dword s0, s[0:1], 0x0
	s_waitcnt lgkmcnt(0)
	v_mov_b32_e32 v10, s0
	s_branch .LBB11_3
.LBB11_2:
	v_mov_b32_e32 v1, s0
	v_cndmask_b32_e64 v10, 0, v1, s[2:3]
.LBB11_3:
	s_load_dwordx4 s[36:39], s[4:5], 0x78
	s_load_dwordx8 s[12:19], s[4:5], 0x58
	s_load_dwordx4 s[8:11], s[4:5], 0x40
	s_load_dwordx4 s[40:43], s[4:5], 0x8
	s_load_dwordx8 s[20:27], s[4:5], 0x20
	s_bitcmp1_b32 s7, 8
	s_cselect_b64 s[0:1], -1, 0
	s_xor_b64 s[46:47], s[0:1], -1
	s_or_b64 s[44:45], s[46:47], s[44:45]
	s_and_b64 vcc, exec, s[44:45]
	s_cbranch_vccnz .LBB11_5
; %bb.4:
	s_load_dword s7, s[34:35], 0x0
	s_waitcnt lgkmcnt(0)
	v_mov_b32_e32 v9, s7
	s_branch .LBB11_6
.LBB11_5:
	v_mov_b32_e32 v1, s34
	v_cndmask_b32_e64 v9, 0, v1, s[0:1]
.LBB11_6:
	s_load_dword s33, s[4:5], 0x0
	v_or_b32_e32 v1, 0xfffffe00, v0
	v_lshl_add_u32 v8, v0, 2, 0
	s_mov_b64 s[4:5], 0
	v_mov_b32_e32 v2, 0
	s_waitcnt lgkmcnt(0)
	v_mov_b32_e32 v3, s33
	v_mov_b32_e32 v4, v8
	v_mov_b32_e32 v5, v1
.LBB11_7:                               ; =>This Inner Loop Header: Depth=1
	v_add_co_u32_e32 v5, vcc, 0x200, v5
	s_xor_b64 s[34:35], vcc, -1
	s_and_b64 s[34:35], exec, s[34:35]
	ds_write2st64_b32 v4, v3, v2 offset1:16
	s_or_b64 s[4:5], s[34:35], s[4:5]
	v_add_u32_e32 v4, 0x800, v4
	s_andn2_b64 exec, exec, s[4:5]
	s_cbranch_execnz .LBB11_7
; %bb.8:
	s_or_b64 exec, exec, s[4:5]
	s_waitcnt lgkmcnt(0)
	s_barrier
	s_load_dword s4, s[40:41], 0x0
	s_mov_b32 s5, 0
	s_waitcnt lgkmcnt(0)
	s_add_i32 s4, s4, s6
	s_lshl_b64 s[4:5], s[4:5], 2
	s_add_u32 s4, s42, s4
	s_addc_u32 s5, s43, s5
	s_load_dword s34, s[4:5], 0x0
	s_and_b64 vcc, exec, s[2:3]
	s_cbranch_vccz .LBB11_28
; %bb.9:
	s_waitcnt lgkmcnt(0)
	s_ashr_i32 s35, s34, 31
	s_lshl_b64 s[2:3], s[34:35], 2
	s_add_u32 s2, s20, s2
	s_addc_u32 s3, s21, s3
	s_load_dwordx2 s[2:3], s[2:3], 0x0
	v_lshrrev_b32_e32 v2, 5, v0
	v_subrev_u32_e32 v2, s28, v2
	s_waitcnt lgkmcnt(0)
	s_sub_i32 s35, s3, s28
	v_add_u32_e32 v2, s2, v2
	v_cmp_gt_i32_e32 vcc, s35, v2
	s_and_saveexec_b64 s[2:3], vcc
	s_cbranch_execz .LBB11_27
; %bb.10:
	v_and_b32_e32 v3, 31, v0
	v_subrev_u32_e32 v11, s29, v3
	s_mov_b64 s[4:5], 0
	v_mov_b32_e32 v12, s23
	v_mov_b32_e32 v13, s27
	s_movk_i32 s23, 0x89
	s_branch .LBB11_12
.LBB11_11:                              ;   in Loop: Header=BB11_12 Depth=1
	s_or_b64 exec, exec, s[6:7]
	v_add_u32_e32 v2, 16, v2
	v_cmp_le_i32_e32 vcc, s35, v2
	s_or_b64 s[4:5], vcc, s[4:5]
	s_andn2_b64 exec, exec, s[4:5]
	s_cbranch_execz .LBB11_27
.LBB11_12:                              ; =>This Loop Header: Depth=1
                                        ;     Child Loop BB11_15 Depth 2
                                        ;       Child Loop BB11_17 Depth 3
	v_ashrrev_i32_e32 v3, 31, v2
	v_lshlrev_b64 v[6:7], 2, v[2:3]
	v_add_co_u32_e32 v4, vcc, s22, v6
	v_addc_co_u32_e32 v5, vcc, v12, v7, vcc
	global_load_dword v3, v[4:5], off
	s_waitcnt vmcnt(0)
	v_subrev_u32_e32 v4, s28, v3
	v_ashrrev_i32_e32 v5, 31, v4
	v_lshlrev_b64 v[4:5], 2, v[4:5]
	v_add_co_u32_e32 v4, vcc, s26, v4
	v_addc_co_u32_e32 v5, vcc, v13, v5, vcc
	global_load_dwordx2 v[4:5], v[4:5], off
	s_waitcnt vmcnt(0)
	v_subrev_u32_e32 v3, s29, v5
	v_add_u32_e32 v4, v4, v11
	v_cmp_lt_i32_e32 vcc, v4, v3
	s_and_saveexec_b64 s[6:7], vcc
	s_cbranch_execz .LBB11_11
; %bb.13:                               ;   in Loop: Header=BB11_12 Depth=1
	v_mov_b32_e32 v5, s25
	v_add_co_u32_e32 v6, vcc, s24, v6
	v_addc_co_u32_e32 v7, vcc, v5, v7, vcc
	global_load_dword v5, v[6:7], off
	s_mov_b64 s[20:21], 0
	s_waitcnt vmcnt(0)
	v_mul_f32_e32 v6, v10, v5
	s_branch .LBB11_15
.LBB11_14:                              ;   in Loop: Header=BB11_15 Depth=2
	s_or_b64 exec, exec, s[40:41]
	v_add_u32_e32 v4, 32, v4
	v_cmp_ge_i32_e32 vcc, v4, v3
	s_or_b64 s[20:21], vcc, s[20:21]
	s_andn2_b64 exec, exec, s[20:21]
	s_cbranch_execz .LBB11_11
.LBB11_15:                              ;   Parent Loop BB11_12 Depth=1
                                        ; =>  This Loop Header: Depth=2
                                        ;       Child Loop BB11_17 Depth 3
	v_ashrrev_i32_e32 v5, 31, v4
	v_lshlrev_b64 v[14:15], 2, v[4:5]
	v_mov_b32_e32 v5, s9
	v_add_co_u32_e32 v16, vcc, s8, v14
	v_addc_co_u32_e32 v17, vcc, v5, v15, vcc
	global_load_dword v5, v[16:17], off
	v_mov_b32_e32 v7, s11
	v_add_co_u32_e32 v14, vcc, s10, v14
	v_addc_co_u32_e32 v15, vcc, v7, v15, vcc
	global_load_dword v7, v[14:15], off
	s_mov_b64 s[40:41], 0
	s_waitcnt vmcnt(1)
	v_subrev_u32_e32 v5, s29, v5
	v_mul_lo_u32 v14, v5, s23
	v_and_b32_e32 v14, 0x3ff, v14
	s_waitcnt vmcnt(0)
	v_mul_f32_e32 v7, v6, v7
	s_branch .LBB11_17
.LBB11_16:                              ;   in Loop: Header=BB11_17 Depth=3
	s_or_b64 exec, exec, s[42:43]
	s_xor_b64 s[42:43], s[44:45], -1
	s_and_b64 s[42:43], exec, s[42:43]
	s_or_b64 s[40:41], s[42:43], s[40:41]
	s_andn2_b64 exec, exec, s[40:41]
	s_cbranch_execz .LBB11_14
.LBB11_17:                              ;   Parent Loop BB11_12 Depth=1
                                        ;     Parent Loop BB11_15 Depth=2
                                        ; =>    This Inner Loop Header: Depth=3
	v_lshl_add_u32 v15, v14, 2, 0
	ds_read_b32 v16, v15
                                        ; implicit-def: $sgpr44_sgpr45
	s_waitcnt lgkmcnt(0)
	v_cmp_ne_u32_e32 vcc, v16, v5
	s_and_saveexec_b64 s[42:43], vcc
	s_xor_b64 s[42:43], exec, s[42:43]
	s_cbranch_execz .LBB11_25
; %bb.18:                               ;   in Loop: Header=BB11_17 Depth=3
	v_cmp_ne_u32_e32 vcc, s33, v16
                                        ; implicit-def: $sgpr44_sgpr45
	s_and_saveexec_b64 s[46:47], vcc
	s_xor_b64 s[46:47], exec, s[46:47]
; %bb.19:                               ;   in Loop: Header=BB11_17 Depth=3
	v_add_u32_e32 v14, 1, v14
	v_and_b32_e32 v14, 0x3ff, v14
	s_mov_b64 s[44:45], -1
                                        ; implicit-def: $vgpr15
; %bb.20:                               ;   in Loop: Header=BB11_17 Depth=3
	s_andn2_saveexec_b64 s[46:47], s[46:47]
	s_cbranch_execz .LBB11_24
; %bb.21:                               ;   in Loop: Header=BB11_17 Depth=3
	v_mov_b32_e32 v16, s33
	ds_cmpst_rtn_b32 v16, v15, v16, v5
	s_mov_b64 s[48:49], -1
	s_waitcnt lgkmcnt(0)
	v_cmp_eq_u32_e32 vcc, s33, v16
	s_and_saveexec_b64 s[50:51], vcc
	s_cbranch_execz .LBB11_23
; %bb.22:                               ;   in Loop: Header=BB11_17 Depth=3
	ds_add_f32 v15, v7 offset:4096
	s_xor_b64 s[48:49], exec, -1
.LBB11_23:                              ;   in Loop: Header=BB11_17 Depth=3
	s_or_b64 exec, exec, s[50:51]
	s_andn2_b64 s[44:45], s[44:45], exec
	s_and_b64 s[48:49], s[48:49], exec
	s_or_b64 s[44:45], s[44:45], s[48:49]
.LBB11_24:                              ;   in Loop: Header=BB11_17 Depth=3
	s_or_b64 exec, exec, s[46:47]
	s_and_b64 s[44:45], s[44:45], exec
                                        ; implicit-def: $vgpr15
.LBB11_25:                              ;   in Loop: Header=BB11_17 Depth=3
	s_andn2_saveexec_b64 s[42:43], s[42:43]
	s_cbranch_execz .LBB11_16
; %bb.26:                               ;   in Loop: Header=BB11_17 Depth=3
	ds_add_f32 v15, v7 offset:4096
	s_andn2_b64 s[44:45], s[44:45], exec
	s_branch .LBB11_16
.LBB11_27:
	s_or_b64 exec, exec, s[2:3]
.LBB11_28:
	s_andn2_b64 vcc, exec, s[0:1]
	s_cbranch_vccnz .LBB11_45
; %bb.29:
	s_waitcnt lgkmcnt(0)
	s_ashr_i32 s35, s34, 31
	s_lshl_b64 s[0:1], s[34:35], 2
	s_add_u32 s0, s12, s0
	s_addc_u32 s1, s13, s1
	s_load_dwordx2 s[0:1], s[0:1], 0x0
	v_subrev_u32_e32 v2, s31, v0
	s_waitcnt lgkmcnt(0)
	s_sub_i32 s22, s1, s31
	v_add_u32_e32 v2, s0, v2
	v_cmp_gt_i32_e32 vcc, s22, v2
	s_and_saveexec_b64 s[0:1], vcc
	s_cbranch_execz .LBB11_44
; %bb.30:
	s_mov_b64 s[2:3], 0
	v_mov_b32_e32 v4, s15
	v_mov_b32_e32 v5, s17
	s_movk_i32 s15, 0x89
	s_branch .LBB11_32
.LBB11_31:                              ;   in Loop: Header=BB11_32 Depth=1
	s_or_b64 exec, exec, s[4:5]
	v_add_u32_e32 v2, 0x200, v2
	v_cmp_le_i32_e32 vcc, s22, v2
	s_or_b64 s[2:3], vcc, s[2:3]
	s_andn2_b64 exec, exec, s[2:3]
	s_cbranch_execz .LBB11_44
.LBB11_32:                              ; =>This Loop Header: Depth=1
                                        ;     Child Loop BB11_34 Depth 2
	v_ashrrev_i32_e32 v3, 31, v2
	v_lshlrev_b64 v[6:7], 2, v[2:3]
	v_add_co_u32_e32 v10, vcc, s14, v6
	v_addc_co_u32_e32 v11, vcc, v4, v7, vcc
	global_load_dword v3, v[10:11], off
	v_add_co_u32_e32 v6, vcc, s16, v6
	v_addc_co_u32_e32 v7, vcc, v5, v7, vcc
	global_load_dword v6, v[6:7], off
	s_mov_b64 s[4:5], 0
	s_waitcnt vmcnt(1)
	v_subrev_u32_e32 v3, s31, v3
	v_mul_lo_u32 v7, v3, s15
	v_and_b32_e32 v7, 0x3ff, v7
	s_waitcnt vmcnt(0)
	v_mul_f32_e32 v6, v9, v6
	s_branch .LBB11_34
.LBB11_33:                              ;   in Loop: Header=BB11_34 Depth=2
	s_or_b64 exec, exec, s[6:7]
	s_xor_b64 s[6:7], s[8:9], -1
	s_and_b64 s[6:7], exec, s[6:7]
	s_or_b64 s[4:5], s[6:7], s[4:5]
	s_andn2_b64 exec, exec, s[4:5]
	s_cbranch_execz .LBB11_31
.LBB11_34:                              ;   Parent Loop BB11_32 Depth=1
                                        ; =>  This Inner Loop Header: Depth=2
	v_lshl_add_u32 v10, v7, 2, 0
	ds_read_b32 v11, v10
                                        ; implicit-def: $sgpr8_sgpr9
	s_waitcnt lgkmcnt(0)
	v_cmp_ne_u32_e32 vcc, v11, v3
	s_and_saveexec_b64 s[6:7], vcc
	s_xor_b64 s[6:7], exec, s[6:7]
	s_cbranch_execz .LBB11_42
; %bb.35:                               ;   in Loop: Header=BB11_34 Depth=2
	v_cmp_ne_u32_e32 vcc, s33, v11
                                        ; implicit-def: $sgpr8_sgpr9
	s_and_saveexec_b64 s[10:11], vcc
	s_xor_b64 s[10:11], exec, s[10:11]
; %bb.36:                               ;   in Loop: Header=BB11_34 Depth=2
	v_add_u32_e32 v7, 1, v7
	v_and_b32_e32 v7, 0x3ff, v7
	s_mov_b64 s[8:9], -1
                                        ; implicit-def: $vgpr10
; %bb.37:                               ;   in Loop: Header=BB11_34 Depth=2
	s_andn2_saveexec_b64 s[10:11], s[10:11]
	s_cbranch_execz .LBB11_41
; %bb.38:                               ;   in Loop: Header=BB11_34 Depth=2
	v_mov_b32_e32 v11, s33
	ds_cmpst_rtn_b32 v11, v10, v11, v3
	s_mov_b64 s[12:13], -1
	s_waitcnt lgkmcnt(0)
	v_cmp_eq_u32_e32 vcc, s33, v11
	s_and_saveexec_b64 s[20:21], vcc
	s_cbranch_execz .LBB11_40
; %bb.39:                               ;   in Loop: Header=BB11_34 Depth=2
	ds_add_f32 v10, v6 offset:4096
	s_xor_b64 s[12:13], exec, -1
.LBB11_40:                              ;   in Loop: Header=BB11_34 Depth=2
	s_or_b64 exec, exec, s[20:21]
	s_andn2_b64 s[8:9], s[8:9], exec
	s_and_b64 s[12:13], s[12:13], exec
	s_or_b64 s[8:9], s[8:9], s[12:13]
.LBB11_41:                              ;   in Loop: Header=BB11_34 Depth=2
	s_or_b64 exec, exec, s[10:11]
	s_and_b64 s[8:9], s[8:9], exec
                                        ; implicit-def: $vgpr10
.LBB11_42:                              ;   in Loop: Header=BB11_34 Depth=2
	s_andn2_saveexec_b64 s[6:7], s[6:7]
	s_cbranch_execz .LBB11_33
; %bb.43:                               ;   in Loop: Header=BB11_34 Depth=2
	ds_add_f32 v10, v6 offset:4096
	s_andn2_b64 s[8:9], s[8:9], exec
	s_branch .LBB11_33
.LBB11_44:
	s_or_b64 exec, exec, s[0:1]
.LBB11_45:
	v_mbcnt_lo_u32_b32 v2, -1, 0
	v_mbcnt_hi_u32_b32 v2, -1, v2
	v_lshrrev_b32_e32 v4, 4, v0
	v_sub_u32_e32 v2, 63, v2
	v_and_b32_e32 v4, 28, v4
	s_movk_i32 s0, 0x1ff
	s_movk_i32 s4, 0x7f
	;; [unrolled: 1-line block ×7, first 2 shown]
	v_mov_b32_e32 v6, 0
	v_lshrrev_b64 v[2:3], v2, -1
	v_add_u32_e32 v7, 0, v4
	v_cmp_eq_u32_e64 s[0:1], s0, v0
	v_cmp_lt_u32_e64 s[2:3], 63, v0
	v_cmp_lt_u32_e64 s[4:5], s4, v0
	;; [unrolled: 1-line block ×7, first 2 shown]
	s_mov_b64 s[16:17], 0
	v_mov_b32_e32 v9, 0
	s_waitcnt lgkmcnt(0)
	s_barrier
	s_branch .LBB11_47
.LBB11_46:                              ;   in Loop: Header=BB11_47 Depth=1
	s_or_b64 exec, exec, s[20:21]
	s_waitcnt lgkmcnt(0)
	s_barrier
	ds_read_b32 v4, v6 offset:8220
	v_add_co_u32_e32 v1, vcc, 0x200, v1
	s_xor_b64 s[20:21], vcc, -1
	s_and_b64 s[20:21], exec, s[20:21]
	s_waitcnt lgkmcnt(0)
	v_add_u32_e32 v9, v4, v9
	s_or_b64 s[16:17], s[20:21], s[16:17]
	v_add_u32_e32 v8, 0x800, v8
	s_andn2_b64 exec, exec, s[16:17]
	s_cbranch_execz .LBB11_65
.LBB11_47:                              ; =>This Inner Loop Header: Depth=1
	ds_read2st64_b32 v[4:5], v8 offset1:16
	s_waitcnt lgkmcnt(0)
	s_barrier
	v_cmp_gt_i32_e32 vcc, s33, v4
	v_and_b32_e32 v11, vcc_lo, v2
	s_bcnt1_i32_b64 s20, vcc
	v_and_b32_e32 v10, vcc_hi, v3
	v_bcnt_u32_b32 v11, v11, 0
	v_bcnt_u32_b32 v10, v10, v11
	v_mov_b32_e32 v11, s20
	ds_write_b32 v7, v11 offset:8192
	s_waitcnt lgkmcnt(0)
	s_barrier
	s_and_saveexec_b64 s[20:21], s[2:3]
	s_cbranch_execnz .LBB11_56
; %bb.48:                               ;   in Loop: Header=BB11_47 Depth=1
	s_or_b64 exec, exec, s[20:21]
	s_and_saveexec_b64 s[20:21], s[4:5]
	s_cbranch_execnz .LBB11_57
.LBB11_49:                              ;   in Loop: Header=BB11_47 Depth=1
	s_or_b64 exec, exec, s[20:21]
	s_and_saveexec_b64 s[20:21], s[6:7]
	s_cbranch_execnz .LBB11_58
.LBB11_50:                              ;   in Loop: Header=BB11_47 Depth=1
	s_or_b64 exec, exec, s[20:21]
	s_and_saveexec_b64 s[20:21], s[8:9]
	s_cbranch_execnz .LBB11_59
.LBB11_51:                              ;   in Loop: Header=BB11_47 Depth=1
	s_or_b64 exec, exec, s[20:21]
	s_and_saveexec_b64 s[20:21], s[10:11]
	s_cbranch_execnz .LBB11_60
.LBB11_52:                              ;   in Loop: Header=BB11_47 Depth=1
	s_or_b64 exec, exec, s[20:21]
	s_and_saveexec_b64 s[20:21], s[12:13]
	s_cbranch_execnz .LBB11_61
.LBB11_53:                              ;   in Loop: Header=BB11_47 Depth=1
	s_or_b64 exec, exec, s[20:21]
	s_and_saveexec_b64 s[20:21], s[14:15]
	s_cbranch_execnz .LBB11_62
.LBB11_54:                              ;   in Loop: Header=BB11_47 Depth=1
	s_or_b64 exec, exec, s[20:21]
	s_and_saveexec_b64 s[20:21], vcc
	s_cbranch_execnz .LBB11_63
.LBB11_55:                              ;   in Loop: Header=BB11_47 Depth=1
	s_or_b64 exec, exec, s[20:21]
	s_and_saveexec_b64 s[20:21], s[0:1]
	s_cbranch_execz .LBB11_46
	s_branch .LBB11_64
.LBB11_56:                              ;   in Loop: Header=BB11_47 Depth=1
	ds_read_b32 v11, v6 offset:8192
	s_waitcnt lgkmcnt(0)
	v_add_u32_e32 v10, v11, v10
	s_or_b64 exec, exec, s[20:21]
	s_and_saveexec_b64 s[20:21], s[4:5]
	s_cbranch_execz .LBB11_49
.LBB11_57:                              ;   in Loop: Header=BB11_47 Depth=1
	ds_read_b32 v11, v6 offset:8196
	s_waitcnt lgkmcnt(0)
	v_add_u32_e32 v10, v11, v10
	s_or_b64 exec, exec, s[20:21]
	s_and_saveexec_b64 s[20:21], s[6:7]
	s_cbranch_execz .LBB11_50
.LBB11_58:                              ;   in Loop: Header=BB11_47 Depth=1
	ds_read_b32 v11, v6 offset:8200
	s_waitcnt lgkmcnt(0)
	v_add_u32_e32 v10, v11, v10
	s_or_b64 exec, exec, s[20:21]
	s_and_saveexec_b64 s[20:21], s[8:9]
	s_cbranch_execz .LBB11_51
.LBB11_59:                              ;   in Loop: Header=BB11_47 Depth=1
	ds_read_b32 v11, v6 offset:8204
	s_waitcnt lgkmcnt(0)
	v_add_u32_e32 v10, v11, v10
	s_or_b64 exec, exec, s[20:21]
	s_and_saveexec_b64 s[20:21], s[10:11]
	s_cbranch_execz .LBB11_52
.LBB11_60:                              ;   in Loop: Header=BB11_47 Depth=1
	ds_read_b32 v11, v6 offset:8208
	s_waitcnt lgkmcnt(0)
	v_add_u32_e32 v10, v11, v10
	s_or_b64 exec, exec, s[20:21]
	s_and_saveexec_b64 s[20:21], s[12:13]
	s_cbranch_execz .LBB11_53
.LBB11_61:                              ;   in Loop: Header=BB11_47 Depth=1
	ds_read_b32 v11, v6 offset:8212
	s_waitcnt lgkmcnt(0)
	v_add_u32_e32 v10, v11, v10
	s_or_b64 exec, exec, s[20:21]
	s_and_saveexec_b64 s[20:21], s[14:15]
	s_cbranch_execz .LBB11_54
.LBB11_62:                              ;   in Loop: Header=BB11_47 Depth=1
	ds_read_b32 v11, v6 offset:8216
	s_waitcnt lgkmcnt(0)
	v_add_u32_e32 v10, v11, v10
	s_or_b64 exec, exec, s[20:21]
	s_and_saveexec_b64 s[20:21], vcc
	s_cbranch_execz .LBB11_55
.LBB11_63:                              ;   in Loop: Header=BB11_47 Depth=1
	v_add3_u32 v11, v9, -1, v10
	v_lshl_add_u32 v11, v11, 2, 0
	ds_write2st64_b32 v11, v4, v5 offset1:16
	s_or_b64 exec, exec, s[20:21]
	s_and_saveexec_b64 s[20:21], s[0:1]
	s_cbranch_execz .LBB11_46
.LBB11_64:                              ;   in Loop: Header=BB11_47 Depth=1
	ds_write_b32 v6, v10 offset:8220
	s_branch .LBB11_46
.LBB11_65:
	s_or_b64 exec, exec, s[16:17]
	s_ashr_i32 s35, s34, 31
	s_lshl_b64 s[0:1], s[34:35], 2
	s_add_u32 s0, s18, s0
	s_addc_u32 s1, s19, s1
	s_load_dwordx2 s[0:1], s[0:1], 0x0
	s_waitcnt lgkmcnt(0)
	s_sub_i32 s14, s1, s0
	v_cmp_gt_i32_e32 vcc, s14, v0
	s_and_saveexec_b64 s[2:3], vcc
	s_cbranch_execz .LBB11_80
; %bb.66:
	s_sub_i32 s6, s0, s30
	s_add_i32 s0, s14, -2
	s_lshr_b32 s1, s0, 1
	s_add_i32 s2, s1, 1
	s_cmp_gt_u32 s14, 1
	s_cselect_b64 s[8:9], -1, 0
	s_and_b32 s15, s14, -2
	s_and_b32 s4, s2, 7
	s_cmp_gt_u32 s0, 13
	s_cselect_b64 s[0:1], -1, 0
	s_and_b32 s16, s2, -8
	s_cmp_lg_u32 s4, 0
	s_cselect_b64 s[2:3], -1, 0
	v_cndmask_b32_e64 v1, 0, 1, s[0:1]
	s_cmp_lg_u32 s14, s15
	v_cmp_ne_u32_e64 s[0:1], 1, v1
	v_cndmask_b32_e64 v1, 0, 1, s[2:3]
	s_mov_b32 s7, 0
	s_cselect_b64 s[10:11], -1, 0
	s_lshl_b32 s17, s4, 3
	s_mov_b64 s[12:13], 0
	v_cmp_ne_u32_e64 s[2:3], 1, v1
	v_mov_b32_e32 v1, s37
	v_mov_b32_e32 v6, s39
	s_branch .LBB11_68
.LBB11_67:                              ;   in Loop: Header=BB11_68 Depth=1
	v_ashrrev_i32_e32 v5, 31, v4
	v_lshlrev_b64 v[4:5], 2, v[4:5]
	v_add_co_u32_e32 v8, vcc, s36, v4
	v_addc_co_u32_e32 v9, vcc, v1, v5, vcc
	v_add_co_u32_e32 v4, vcc, s38, v4
	v_addc_co_u32_e32 v5, vcc, v6, v5, vcc
	v_add_u32_e32 v0, 0x200, v0
	v_cmp_le_i32_e32 vcc, s14, v0
	s_waitcnt lgkmcnt(0)
	v_add_u32_e32 v2, s30, v2
	s_or_b64 s[12:13], vcc, s[12:13]
	global_store_dword v[8:9], v2, off
	global_store_dword v[4:5], v3, off
	s_andn2_b64 exec, exec, s[12:13]
	s_cbranch_execz .LBB11_80
.LBB11_68:                              ; =>This Loop Header: Depth=1
                                        ;     Child Loop BB11_71 Depth 2
                                        ;     Child Loop BB11_76 Depth 2
	;; [unrolled: 1-line block ×3, first 2 shown]
	v_lshl_add_u32 v2, v0, 2, 0
	ds_read2st64_b32 v[2:3], v2 offset1:16
	s_and_b64 vcc, exec, s[8:9]
	s_cbranch_vccz .LBB11_73
; %bb.69:                               ;   in Loop: Header=BB11_68 Depth=1
	s_and_b64 vcc, exec, s[0:1]
	s_cbranch_vccnz .LBB11_74
; %bb.70:                               ;   in Loop: Header=BB11_68 Depth=1
	s_mov_b32 s19, 0
	v_mov_b32_e32 v4, s6
	v_mov_b32_e32 v5, 0
	s_mov_b32 s20, s16
	s_mov_b32 s18, 0
.LBB11_71:                              ;   Parent Loop BB11_68 Depth=1
                                        ; =>  This Inner Loop Header: Depth=2
	v_mov_b32_e32 v7, s19
	ds_read2_b32 v[8:9], v7 offset1:1
	ds_read2_b32 v[10:11], v7 offset0:2 offset1:3
	ds_read2_b32 v[12:13], v7 offset0:4 offset1:5
	;; [unrolled: 1-line block ×7, first 2 shown]
	s_waitcnt lgkmcnt(7)
	v_cmp_gt_i32_e32 vcc, v2, v9
	s_waitcnt lgkmcnt(5)
	v_cmp_gt_i32_e64 s[4:5], v2, v12
	v_cndmask_b32_e64 v7, 0, 1, vcc
	v_cmp_gt_i32_e32 vcc, v2, v8
	v_cndmask_b32_e64 v9, 0, 1, s[4:5]
	v_cmp_gt_i32_e64 s[4:5], v2, v13
	v_cndmask_b32_e64 v8, 0, 1, vcc
	v_cmp_gt_i32_e32 vcc, v2, v11
	v_cndmask_b32_e64 v11, 0, 1, s[4:5]
	s_waitcnt lgkmcnt(3)
	v_cmp_gt_i32_e64 s[4:5], v2, v17
	v_cndmask_b32_e64 v12, 0, 1, s[4:5]
	v_cmp_gt_i32_e64 s[4:5], v2, v16
	v_cndmask_b32_e64 v13, 0, 1, s[4:5]
	s_waitcnt lgkmcnt(1)
	v_cmp_gt_i32_e64 s[4:5], v2, v20
	v_cndmask_b32_e64 v16, 0, 1, s[4:5]
	v_cmp_gt_i32_e64 s[4:5], v2, v21
	v_cndmask_b32_e64 v17, 0, 1, s[4:5]
	v_cmp_gt_i32_e64 s[4:5], v2, v10
	v_addc_co_u32_e64 v4, s[4:5], v4, v8, s[4:5]
	v_addc_co_u32_e32 v5, vcc, v5, v7, vcc
	v_cmp_gt_i32_e32 vcc, v2, v14
	v_cmp_gt_i32_e64 s[4:5], v2, v15
	v_addc_co_u32_e64 v5, s[4:5], v5, v11, s[4:5]
	v_addc_co_u32_e32 v4, vcc, v4, v9, vcc
	v_cmp_gt_i32_e32 vcc, v2, v19
	v_cmp_gt_i32_e64 s[4:5], v2, v18
	v_addc_co_u32_e64 v4, s[4:5], v4, v13, s[4:5]
	v_addc_co_u32_e32 v5, vcc, v5, v12, vcc
	s_add_i32 s18, s18, 16
	s_add_i32 s19, s19, 64
	s_add_i32 s20, s20, -8
	s_waitcnt lgkmcnt(0)
	v_cmp_gt_i32_e32 vcc, v2, v22
	v_cmp_gt_i32_e64 s[4:5], v2, v23
	s_cmp_lg_u32 s20, 0
	v_addc_co_u32_e64 v5, s[4:5], v5, v17, s[4:5]
	v_addc_co_u32_e32 v4, vcc, v4, v16, vcc
	s_cbranch_scc1 .LBB11_71
; %bb.72:                               ;   in Loop: Header=BB11_68 Depth=1
	s_and_b64 vcc, exec, s[2:3]
	s_cbranch_vccz .LBB11_75
	s_branch .LBB11_77
.LBB11_73:                              ;   in Loop: Header=BB11_68 Depth=1
	v_mov_b32_e32 v4, s6
	s_mov_b32 s18, 0
	s_cbranch_execz .LBB11_67
	s_branch .LBB11_78
.LBB11_74:                              ;   in Loop: Header=BB11_68 Depth=1
	v_pk_mov_b32 v[4:5], s[6:7], s[6:7] op_sel:[0,1]
	s_mov_b32 s18, 0
	s_and_b64 vcc, exec, s[2:3]
	s_cbranch_vccnz .LBB11_77
.LBB11_75:                              ;   in Loop: Header=BB11_68 Depth=1
	s_lshl_b32 s4, s18, 2
	s_add_i32 s4, s4, 0
	s_mov_b32 s5, s17
.LBB11_76:                              ;   Parent Loop BB11_68 Depth=1
                                        ; =>  This Inner Loop Header: Depth=2
	v_mov_b32_e32 v7, s4
	ds_read2_b32 v[8:9], v7 offset1:1
	s_add_i32 s4, s4, 8
	s_add_i32 s5, s5, -8
	s_cmp_lg_u32 s5, 0
	s_waitcnt lgkmcnt(0)
	v_cmp_gt_i32_e32 vcc, v2, v9
	v_addc_co_u32_e32 v5, vcc, 0, v5, vcc
	v_cmp_gt_i32_e32 vcc, v2, v8
	v_addc_co_u32_e32 v4, vcc, 0, v4, vcc
	s_cbranch_scc1 .LBB11_76
.LBB11_77:                              ;   in Loop: Header=BB11_68 Depth=1
	v_add_u32_e32 v4, v4, v5
	s_mov_b32 s18, s15
	s_mov_b64 s[4:5], s[10:11]
	s_and_b64 vcc, exec, s[4:5]
	s_cbranch_vccz .LBB11_67
.LBB11_78:                              ;   in Loop: Header=BB11_68 Depth=1
	s_lshl_b32 s4, s18, 2
	s_add_i32 s4, s4, 0
.LBB11_79:                              ;   Parent Loop BB11_68 Depth=1
                                        ; =>  This Inner Loop Header: Depth=2
	v_mov_b32_e32 v5, s4
	ds_read_b32 v5, v5
	s_add_i32 s18, s18, 1
	s_add_i32 s4, s4, 4
	s_cmp_ge_i32 s18, s14
	s_waitcnt lgkmcnt(0)
	v_cmp_gt_i32_e32 vcc, v2, v5
	v_addc_co_u32_e32 v4, vcc, 0, v4, vcc
	s_cbranch_scc0 .LBB11_79
	s_branch .LBB11_67
.LBB11_80:
	s_endpgm
	.section	.rodata,"a",@progbits
	.p2align	6, 0x0
	.amdhsa_kernel _ZN9rocsparseL26csrgemm_fill_block_per_rowILj512ELj32ELj1024ELj137ELj64EiifEEvT5_PKS1_S3_NS_24const_host_device_scalarIT6_EEPKT4_S3_PKS5_S9_S3_SB_S6_S9_S3_SB_S9_PS1_PS5_21rocsparse_index_base_SE_SE_SE_bbb
		.amdhsa_group_segment_fixed_size 0
		.amdhsa_private_segment_fixed_size 0
		.amdhsa_kernarg_size 156
		.amdhsa_user_sgpr_count 6
		.amdhsa_user_sgpr_private_segment_buffer 1
		.amdhsa_user_sgpr_dispatch_ptr 0
		.amdhsa_user_sgpr_queue_ptr 0
		.amdhsa_user_sgpr_kernarg_segment_ptr 1
		.amdhsa_user_sgpr_dispatch_id 0
		.amdhsa_user_sgpr_flat_scratch_init 0
		.amdhsa_user_sgpr_kernarg_preload_length 0
		.amdhsa_user_sgpr_kernarg_preload_offset 0
		.amdhsa_user_sgpr_private_segment_size 0
		.amdhsa_uses_dynamic_stack 0
		.amdhsa_system_sgpr_private_segment_wavefront_offset 0
		.amdhsa_system_sgpr_workgroup_id_x 1
		.amdhsa_system_sgpr_workgroup_id_y 0
		.amdhsa_system_sgpr_workgroup_id_z 0
		.amdhsa_system_sgpr_workgroup_info 0
		.amdhsa_system_vgpr_workitem_id 0
		.amdhsa_next_free_vgpr 24
		.amdhsa_next_free_sgpr 52
		.amdhsa_accum_offset 24
		.amdhsa_reserve_vcc 1
		.amdhsa_reserve_flat_scratch 0
		.amdhsa_float_round_mode_32 0
		.amdhsa_float_round_mode_16_64 0
		.amdhsa_float_denorm_mode_32 3
		.amdhsa_float_denorm_mode_16_64 3
		.amdhsa_dx10_clamp 1
		.amdhsa_ieee_mode 1
		.amdhsa_fp16_overflow 0
		.amdhsa_tg_split 0
		.amdhsa_exception_fp_ieee_invalid_op 0
		.amdhsa_exception_fp_denorm_src 0
		.amdhsa_exception_fp_ieee_div_zero 0
		.amdhsa_exception_fp_ieee_overflow 0
		.amdhsa_exception_fp_ieee_underflow 0
		.amdhsa_exception_fp_ieee_inexact 0
		.amdhsa_exception_int_div_zero 0
	.end_amdhsa_kernel
	.section	.text._ZN9rocsparseL26csrgemm_fill_block_per_rowILj512ELj32ELj1024ELj137ELj64EiifEEvT5_PKS1_S3_NS_24const_host_device_scalarIT6_EEPKT4_S3_PKS5_S9_S3_SB_S6_S9_S3_SB_S9_PS1_PS5_21rocsparse_index_base_SE_SE_SE_bbb,"axG",@progbits,_ZN9rocsparseL26csrgemm_fill_block_per_rowILj512ELj32ELj1024ELj137ELj64EiifEEvT5_PKS1_S3_NS_24const_host_device_scalarIT6_EEPKT4_S3_PKS5_S9_S3_SB_S6_S9_S3_SB_S9_PS1_PS5_21rocsparse_index_base_SE_SE_SE_bbb,comdat
.Lfunc_end11:
	.size	_ZN9rocsparseL26csrgemm_fill_block_per_rowILj512ELj32ELj1024ELj137ELj64EiifEEvT5_PKS1_S3_NS_24const_host_device_scalarIT6_EEPKT4_S3_PKS5_S9_S3_SB_S6_S9_S3_SB_S9_PS1_PS5_21rocsparse_index_base_SE_SE_SE_bbb, .Lfunc_end11-_ZN9rocsparseL26csrgemm_fill_block_per_rowILj512ELj32ELj1024ELj137ELj64EiifEEvT5_PKS1_S3_NS_24const_host_device_scalarIT6_EEPKT4_S3_PKS5_S9_S3_SB_S6_S9_S3_SB_S9_PS1_PS5_21rocsparse_index_base_SE_SE_SE_bbb
                                        ; -- End function
	.section	.AMDGPU.csdata,"",@progbits
; Kernel info:
; codeLenInByte = 2720
; NumSgprs: 56
; NumVgprs: 24
; NumAgprs: 0
; TotalNumVgprs: 24
; ScratchSize: 0
; MemoryBound: 0
; FloatMode: 240
; IeeeMode: 1
; LDSByteSize: 0 bytes/workgroup (compile time only)
; SGPRBlocks: 6
; VGPRBlocks: 2
; NumSGPRsForWavesPerEU: 56
; NumVGPRsForWavesPerEU: 24
; AccumOffset: 24
; Occupancy: 8
; WaveLimiterHint : 1
; COMPUTE_PGM_RSRC2:SCRATCH_EN: 0
; COMPUTE_PGM_RSRC2:USER_SGPR: 6
; COMPUTE_PGM_RSRC2:TRAP_HANDLER: 0
; COMPUTE_PGM_RSRC2:TGID_X_EN: 1
; COMPUTE_PGM_RSRC2:TGID_Y_EN: 0
; COMPUTE_PGM_RSRC2:TGID_Z_EN: 0
; COMPUTE_PGM_RSRC2:TIDIG_COMP_CNT: 0
; COMPUTE_PGM_RSRC3_GFX90A:ACCUM_OFFSET: 5
; COMPUTE_PGM_RSRC3_GFX90A:TG_SPLIT: 0
	.section	.text._ZN9rocsparseL26csrgemm_fill_block_per_rowILj1024ELj32ELj2048ELj137ELj32EiifEEvT5_PKS1_S3_NS_24const_host_device_scalarIT6_EEPKT4_S3_PKS5_S9_S3_SB_S6_S9_S3_SB_S9_PS1_PS5_21rocsparse_index_base_SE_SE_SE_bbb,"axG",@progbits,_ZN9rocsparseL26csrgemm_fill_block_per_rowILj1024ELj32ELj2048ELj137ELj32EiifEEvT5_PKS1_S3_NS_24const_host_device_scalarIT6_EEPKT4_S3_PKS5_S9_S3_SB_S6_S9_S3_SB_S9_PS1_PS5_21rocsparse_index_base_SE_SE_SE_bbb,comdat
	.globl	_ZN9rocsparseL26csrgemm_fill_block_per_rowILj1024ELj32ELj2048ELj137ELj32EiifEEvT5_PKS1_S3_NS_24const_host_device_scalarIT6_EEPKT4_S3_PKS5_S9_S3_SB_S6_S9_S3_SB_S9_PS1_PS5_21rocsparse_index_base_SE_SE_SE_bbb ; -- Begin function _ZN9rocsparseL26csrgemm_fill_block_per_rowILj1024ELj32ELj2048ELj137ELj32EiifEEvT5_PKS1_S3_NS_24const_host_device_scalarIT6_EEPKT4_S3_PKS5_S9_S3_SB_S6_S9_S3_SB_S9_PS1_PS5_21rocsparse_index_base_SE_SE_SE_bbb
	.p2align	8
	.type	_ZN9rocsparseL26csrgemm_fill_block_per_rowILj1024ELj32ELj2048ELj137ELj32EiifEEvT5_PKS1_S3_NS_24const_host_device_scalarIT6_EEPKT4_S3_PKS5_S9_S3_SB_S6_S9_S3_SB_S9_PS1_PS5_21rocsparse_index_base_SE_SE_SE_bbb,@function
_ZN9rocsparseL26csrgemm_fill_block_per_rowILj1024ELj32ELj2048ELj137ELj32EiifEEvT5_PKS1_S3_NS_24const_host_device_scalarIT6_EEPKT4_S3_PKS5_S9_S3_SB_S6_S9_S3_SB_S9_PS1_PS5_21rocsparse_index_base_SE_SE_SE_bbb: ; @_ZN9rocsparseL26csrgemm_fill_block_per_rowILj1024ELj32ELj2048ELj137ELj32EiifEEvT5_PKS1_S3_NS_24const_host_device_scalarIT6_EEPKT4_S3_PKS5_S9_S3_SB_S6_S9_S3_SB_S9_PS1_PS5_21rocsparse_index_base_SE_SE_SE_bbb
; %bb.0:
	s_load_dword s7, s[4:5], 0x98
	s_load_dwordx4 s[68:71], s[4:5], 0x88
	s_load_dwordx2 s[0:1], s[4:5], 0x18
	s_load_dwordx2 s[24:25], s[4:5], 0x50
	s_waitcnt lgkmcnt(0)
	s_bitcmp1_b32 s7, 0
	s_cselect_b64 s[2:3], -1, 0
	s_bitcmp1_b32 s7, 16
	s_cselect_b64 s[26:27], -1, 0
	s_xor_b64 s[8:9], s[2:3], -1
	s_or_b64 s[8:9], s[8:9], s[26:27]
	s_and_b64 vcc, exec, s[8:9]
	s_cbranch_vccnz .LBB12_2
; %bb.1:
	s_load_dword s0, s[0:1], 0x0
	s_waitcnt lgkmcnt(0)
	v_mov_b32_e32 v11, s0
	s_branch .LBB12_3
.LBB12_2:
	v_mov_b32_e32 v1, s0
	v_cndmask_b32_e64 v11, 0, v1, s[2:3]
.LBB12_3:
	s_load_dwordx4 s[72:75], s[4:5], 0x78
	s_load_dwordx8 s[60:67], s[4:5], 0x58
	s_load_dwordx4 s[16:19], s[4:5], 0x40
	s_load_dwordx4 s[20:23], s[4:5], 0x8
	s_load_dwordx8 s[8:15], s[4:5], 0x20
	s_bitcmp1_b32 s7, 8
	s_cselect_b64 s[0:1], -1, 0
	s_xor_b64 s[28:29], s[0:1], -1
	s_or_b64 s[26:27], s[28:29], s[26:27]
	s_and_b64 vcc, exec, s[26:27]
	s_cbranch_vccnz .LBB12_5
; %bb.4:
	s_load_dword s7, s[24:25], 0x0
	s_waitcnt lgkmcnt(0)
	v_mov_b32_e32 v9, s7
	s_branch .LBB12_6
.LBB12_5:
	v_mov_b32_e32 v1, s24
	v_cndmask_b32_e64 v9, 0, v1, s[0:1]
.LBB12_6:
	s_load_dword s33, s[4:5], 0x0
	v_or_b32_e32 v1, 0xfffffc00, v0
	v_lshl_add_u32 v8, v0, 2, 0
	s_mov_b64 s[4:5], 0
	v_mov_b32_e32 v2, 0
	s_waitcnt lgkmcnt(0)
	v_mov_b32_e32 v3, s33
	v_mov_b32_e32 v4, v8
	;; [unrolled: 1-line block ×3, first 2 shown]
.LBB12_7:                               ; =>This Inner Loop Header: Depth=1
	v_add_co_u32_e32 v5, vcc, 0x400, v5
	s_xor_b64 s[24:25], vcc, -1
	s_and_b64 s[24:25], exec, s[24:25]
	ds_write2st64_b32 v4, v3, v2 offset1:32
	s_or_b64 s[4:5], s[24:25], s[4:5]
	v_add_u32_e32 v4, 0x1000, v4
	s_andn2_b64 exec, exec, s[4:5]
	s_cbranch_execnz .LBB12_7
; %bb.8:
	s_or_b64 exec, exec, s[4:5]
	s_waitcnt lgkmcnt(0)
	s_barrier
	s_load_dword s4, s[20:21], 0x0
	s_mov_b32 s5, 0
	v_lshrrev_b32_e32 v10, 5, v0
	s_waitcnt lgkmcnt(0)
	s_add_i32 s4, s4, s6
	s_lshl_b64 s[4:5], s[4:5], 2
	s_add_u32 s4, s22, s4
	s_addc_u32 s5, s23, s5
	s_load_dword s76, s[4:5], 0x0
	s_and_b64 vcc, exec, s[2:3]
	s_cbranch_vccz .LBB12_28
; %bb.9:
	s_waitcnt lgkmcnt(0)
	s_ashr_i32 s77, s76, 31
	s_lshl_b64 s[2:3], s[76:77], 2
	s_add_u32 s2, s8, s2
	s_addc_u32 s3, s9, s3
	s_load_dwordx2 s[2:3], s[2:3], 0x0
	v_subrev_u32_e32 v2, s68, v10
	s_waitcnt lgkmcnt(0)
	s_sub_i32 s34, s3, s68
	v_add_u32_e32 v2, s2, v2
	v_cmp_gt_i32_e32 vcc, s34, v2
	s_and_saveexec_b64 s[2:3], vcc
	s_cbranch_execz .LBB12_27
; %bb.10:
	v_and_b32_e32 v3, 31, v0
	v_subrev_u32_e32 v12, s69, v3
	s_mov_b64 s[4:5], 0
	v_mov_b32_e32 v13, s11
	v_mov_b32_e32 v14, s15
	s_movk_i32 s11, 0x89
	s_branch .LBB12_12
.LBB12_11:                              ;   in Loop: Header=BB12_12 Depth=1
	s_or_b64 exec, exec, s[6:7]
	v_add_u32_e32 v2, 32, v2
	v_cmp_le_i32_e32 vcc, s34, v2
	s_or_b64 s[4:5], vcc, s[4:5]
	s_andn2_b64 exec, exec, s[4:5]
	s_cbranch_execz .LBB12_27
.LBB12_12:                              ; =>This Loop Header: Depth=1
                                        ;     Child Loop BB12_15 Depth 2
                                        ;       Child Loop BB12_17 Depth 3
	v_ashrrev_i32_e32 v3, 31, v2
	v_lshlrev_b64 v[6:7], 2, v[2:3]
	v_add_co_u32_e32 v4, vcc, s10, v6
	v_addc_co_u32_e32 v5, vcc, v13, v7, vcc
	global_load_dword v3, v[4:5], off
	s_waitcnt vmcnt(0)
	v_subrev_u32_e32 v4, s68, v3
	v_ashrrev_i32_e32 v5, 31, v4
	v_lshlrev_b64 v[4:5], 2, v[4:5]
	v_add_co_u32_e32 v4, vcc, s14, v4
	v_addc_co_u32_e32 v5, vcc, v14, v5, vcc
	global_load_dwordx2 v[4:5], v[4:5], off
	s_waitcnt vmcnt(0)
	v_subrev_u32_e32 v3, s69, v5
	v_add_u32_e32 v4, v4, v12
	v_cmp_lt_i32_e32 vcc, v4, v3
	s_and_saveexec_b64 s[6:7], vcc
	s_cbranch_execz .LBB12_11
; %bb.13:                               ;   in Loop: Header=BB12_12 Depth=1
	v_mov_b32_e32 v5, s13
	v_add_co_u32_e32 v6, vcc, s12, v6
	v_addc_co_u32_e32 v7, vcc, v5, v7, vcc
	global_load_dword v5, v[6:7], off
	s_mov_b64 s[8:9], 0
	s_waitcnt vmcnt(0)
	v_mul_f32_e32 v6, v11, v5
	s_branch .LBB12_15
.LBB12_14:                              ;   in Loop: Header=BB12_15 Depth=2
	s_or_b64 exec, exec, s[20:21]
	v_add_u32_e32 v4, 32, v4
	v_cmp_ge_i32_e32 vcc, v4, v3
	s_or_b64 s[8:9], vcc, s[8:9]
	s_andn2_b64 exec, exec, s[8:9]
	s_cbranch_execz .LBB12_11
.LBB12_15:                              ;   Parent Loop BB12_12 Depth=1
                                        ; =>  This Loop Header: Depth=2
                                        ;       Child Loop BB12_17 Depth 3
	v_ashrrev_i32_e32 v5, 31, v4
	v_lshlrev_b64 v[16:17], 2, v[4:5]
	v_mov_b32_e32 v5, s17
	v_add_co_u32_e32 v18, vcc, s16, v16
	v_addc_co_u32_e32 v19, vcc, v5, v17, vcc
	global_load_dword v5, v[18:19], off
	v_mov_b32_e32 v7, s19
	v_add_co_u32_e32 v16, vcc, s18, v16
	v_addc_co_u32_e32 v17, vcc, v7, v17, vcc
	global_load_dword v7, v[16:17], off
	s_mov_b64 s[20:21], 0
	s_waitcnt vmcnt(1)
	v_subrev_u32_e32 v5, s69, v5
	v_mul_lo_u32 v15, v5, s11
	v_and_b32_e32 v15, 0x7ff, v15
	s_waitcnt vmcnt(0)
	v_mul_f32_e32 v7, v6, v7
	s_branch .LBB12_17
.LBB12_16:                              ;   in Loop: Header=BB12_17 Depth=3
	s_or_b64 exec, exec, s[22:23]
	s_xor_b64 s[22:23], s[24:25], -1
	s_and_b64 s[22:23], exec, s[22:23]
	s_or_b64 s[20:21], s[22:23], s[20:21]
	s_andn2_b64 exec, exec, s[20:21]
	s_cbranch_execz .LBB12_14
.LBB12_17:                              ;   Parent Loop BB12_12 Depth=1
                                        ;     Parent Loop BB12_15 Depth=2
                                        ; =>    This Inner Loop Header: Depth=3
	v_lshl_add_u32 v16, v15, 2, 0
	ds_read_b32 v17, v16
                                        ; implicit-def: $sgpr24_sgpr25
	s_waitcnt lgkmcnt(0)
	v_cmp_ne_u32_e32 vcc, v17, v5
	s_and_saveexec_b64 s[22:23], vcc
	s_xor_b64 s[22:23], exec, s[22:23]
	s_cbranch_execz .LBB12_25
; %bb.18:                               ;   in Loop: Header=BB12_17 Depth=3
	v_cmp_ne_u32_e32 vcc, s33, v17
                                        ; implicit-def: $sgpr24_sgpr25
	s_and_saveexec_b64 s[26:27], vcc
	s_xor_b64 s[26:27], exec, s[26:27]
; %bb.19:                               ;   in Loop: Header=BB12_17 Depth=3
	v_add_u32_e32 v15, 1, v15
	v_and_b32_e32 v15, 0x7ff, v15
	s_mov_b64 s[24:25], -1
                                        ; implicit-def: $vgpr16
; %bb.20:                               ;   in Loop: Header=BB12_17 Depth=3
	s_andn2_saveexec_b64 s[26:27], s[26:27]
	s_cbranch_execz .LBB12_24
; %bb.21:                               ;   in Loop: Header=BB12_17 Depth=3
	v_mov_b32_e32 v17, s33
	ds_cmpst_rtn_b32 v17, v16, v17, v5
	s_mov_b64 s[28:29], -1
	s_waitcnt lgkmcnt(0)
	v_cmp_eq_u32_e32 vcc, s33, v17
	s_and_saveexec_b64 s[30:31], vcc
	s_cbranch_execz .LBB12_23
; %bb.22:                               ;   in Loop: Header=BB12_17 Depth=3
	ds_add_f32 v16, v7 offset:8192
	s_xor_b64 s[28:29], exec, -1
.LBB12_23:                              ;   in Loop: Header=BB12_17 Depth=3
	s_or_b64 exec, exec, s[30:31]
	s_andn2_b64 s[24:25], s[24:25], exec
	s_and_b64 s[28:29], s[28:29], exec
	s_or_b64 s[24:25], s[24:25], s[28:29]
.LBB12_24:                              ;   in Loop: Header=BB12_17 Depth=3
	s_or_b64 exec, exec, s[26:27]
	s_and_b64 s[24:25], s[24:25], exec
                                        ; implicit-def: $vgpr16
.LBB12_25:                              ;   in Loop: Header=BB12_17 Depth=3
	s_andn2_saveexec_b64 s[22:23], s[22:23]
	s_cbranch_execz .LBB12_16
; %bb.26:                               ;   in Loop: Header=BB12_17 Depth=3
	ds_add_f32 v16, v7 offset:8192
	s_andn2_b64 s[24:25], s[24:25], exec
	s_branch .LBB12_16
.LBB12_27:
	s_or_b64 exec, exec, s[2:3]
.LBB12_28:
	s_andn2_b64 vcc, exec, s[0:1]
	s_cbranch_vccnz .LBB12_45
; %bb.29:
	s_waitcnt lgkmcnt(0)
	s_ashr_i32 s77, s76, 31
	s_lshl_b64 s[0:1], s[76:77], 2
	s_add_u32 s0, s60, s0
	s_addc_u32 s1, s61, s1
	s_load_dwordx2 s[0:1], s[0:1], 0x0
	v_subrev_u32_e32 v2, s71, v0
	s_waitcnt lgkmcnt(0)
	s_sub_i32 s16, s1, s71
	v_add_u32_e32 v2, s0, v2
	v_cmp_gt_i32_e32 vcc, s16, v2
	s_and_saveexec_b64 s[0:1], vcc
	s_cbranch_execz .LBB12_44
; %bb.30:
	s_mov_b64 s[2:3], 0
	v_mov_b32_e32 v4, s63
	v_mov_b32_e32 v5, s65
	s_movk_i32 s17, 0x89
	s_branch .LBB12_32
.LBB12_31:                              ;   in Loop: Header=BB12_32 Depth=1
	s_or_b64 exec, exec, s[4:5]
	v_add_u32_e32 v2, 0x400, v2
	v_cmp_le_i32_e32 vcc, s16, v2
	s_or_b64 s[2:3], vcc, s[2:3]
	s_andn2_b64 exec, exec, s[2:3]
	s_cbranch_execz .LBB12_44
.LBB12_32:                              ; =>This Loop Header: Depth=1
                                        ;     Child Loop BB12_34 Depth 2
	v_ashrrev_i32_e32 v3, 31, v2
	v_lshlrev_b64 v[6:7], 2, v[2:3]
	v_add_co_u32_e32 v12, vcc, s62, v6
	v_addc_co_u32_e32 v13, vcc, v4, v7, vcc
	global_load_dword v3, v[12:13], off
	v_add_co_u32_e32 v6, vcc, s64, v6
	v_addc_co_u32_e32 v7, vcc, v5, v7, vcc
	global_load_dword v6, v[6:7], off
	s_mov_b64 s[4:5], 0
	s_waitcnt vmcnt(1)
	v_subrev_u32_e32 v3, s71, v3
	v_mul_lo_u32 v7, v3, s17
	v_and_b32_e32 v7, 0x7ff, v7
	s_waitcnt vmcnt(0)
	v_mul_f32_e32 v6, v9, v6
	s_branch .LBB12_34
.LBB12_33:                              ;   in Loop: Header=BB12_34 Depth=2
	s_or_b64 exec, exec, s[6:7]
	s_xor_b64 s[6:7], s[8:9], -1
	s_and_b64 s[6:7], exec, s[6:7]
	s_or_b64 s[4:5], s[6:7], s[4:5]
	s_andn2_b64 exec, exec, s[4:5]
	s_cbranch_execz .LBB12_31
.LBB12_34:                              ;   Parent Loop BB12_32 Depth=1
                                        ; =>  This Inner Loop Header: Depth=2
	v_lshl_add_u32 v11, v7, 2, 0
	ds_read_b32 v12, v11
                                        ; implicit-def: $sgpr8_sgpr9
	s_waitcnt lgkmcnt(0)
	v_cmp_ne_u32_e32 vcc, v12, v3
	s_and_saveexec_b64 s[6:7], vcc
	s_xor_b64 s[6:7], exec, s[6:7]
	s_cbranch_execz .LBB12_42
; %bb.35:                               ;   in Loop: Header=BB12_34 Depth=2
	v_cmp_ne_u32_e32 vcc, s33, v12
                                        ; implicit-def: $sgpr8_sgpr9
	s_and_saveexec_b64 s[10:11], vcc
	s_xor_b64 s[10:11], exec, s[10:11]
; %bb.36:                               ;   in Loop: Header=BB12_34 Depth=2
	v_add_u32_e32 v7, 1, v7
	v_and_b32_e32 v7, 0x7ff, v7
	s_mov_b64 s[8:9], -1
                                        ; implicit-def: $vgpr11
; %bb.37:                               ;   in Loop: Header=BB12_34 Depth=2
	s_andn2_saveexec_b64 s[10:11], s[10:11]
	s_cbranch_execz .LBB12_41
; %bb.38:                               ;   in Loop: Header=BB12_34 Depth=2
	v_mov_b32_e32 v12, s33
	ds_cmpst_rtn_b32 v12, v11, v12, v3
	s_mov_b64 s[12:13], -1
	s_waitcnt lgkmcnt(0)
	v_cmp_eq_u32_e32 vcc, s33, v12
	s_and_saveexec_b64 s[14:15], vcc
	s_cbranch_execz .LBB12_40
; %bb.39:                               ;   in Loop: Header=BB12_34 Depth=2
	ds_add_f32 v11, v6 offset:8192
	s_xor_b64 s[12:13], exec, -1
.LBB12_40:                              ;   in Loop: Header=BB12_34 Depth=2
	s_or_b64 exec, exec, s[14:15]
	s_andn2_b64 s[8:9], s[8:9], exec
	s_and_b64 s[12:13], s[12:13], exec
	s_or_b64 s[8:9], s[8:9], s[12:13]
.LBB12_41:                              ;   in Loop: Header=BB12_34 Depth=2
	s_or_b64 exec, exec, s[10:11]
	s_and_b64 s[8:9], s[8:9], exec
                                        ; implicit-def: $vgpr11
.LBB12_42:                              ;   in Loop: Header=BB12_34 Depth=2
	s_andn2_saveexec_b64 s[6:7], s[6:7]
	s_cbranch_execz .LBB12_33
; %bb.43:                               ;   in Loop: Header=BB12_34 Depth=2
	ds_add_f32 v11, v6 offset:8192
	s_andn2_b64 s[8:9], s[8:9], exec
	s_branch .LBB12_33
.LBB12_44:
	s_or_b64 exec, exec, s[0:1]
.LBB12_45:
	v_mbcnt_lo_u32_b32 v2, -1, 0
	v_mbcnt_hi_u32_b32 v2, -1, v2
	v_sub_u32_e32 v2, 63, v2
	s_movk_i32 s0, 0x3ff
	s_movk_i32 s6, 0x5f
	;; [unrolled: 1-line block ×30, first 2 shown]
	v_mov_b32_e32 v6, 0
	v_lshrrev_b64 v[2:3], v2, -1
	v_lshl_add_u32 v7, v10, 2, 0
	v_cmp_eq_u32_e64 s[0:1], s0, v0
	v_cmp_lt_u32_e64 s[2:3], 31, v0
	v_cmp_lt_u32_e64 s[4:5], 63, v0
	;; [unrolled: 1-line block ×31, first 2 shown]
	s_mov_b64 s[68:69], 0
	v_mov_b32_e32 v9, 0
	s_waitcnt lgkmcnt(0)
	s_barrier
	s_branch .LBB12_47
.LBB12_46:                              ;   in Loop: Header=BB12_47 Depth=1
	s_or_b64 exec, exec, s[78:79]
	s_waitcnt lgkmcnt(0)
	s_barrier
	ds_read_b32 v4, v6 offset:16508
	v_add_co_u32_e32 v1, vcc, 0x400, v1
	s_xor_b64 s[78:79], vcc, -1
	s_and_b64 s[78:79], exec, s[78:79]
	s_waitcnt lgkmcnt(0)
	v_add_u32_e32 v9, v4, v9
	s_or_b64 s[68:69], s[78:79], s[68:69]
	v_add_u32_e32 v8, 0x1000, v8
	s_andn2_b64 exec, exec, s[68:69]
	s_cbranch_execz .LBB12_113
.LBB12_47:                              ; =>This Inner Loop Header: Depth=1
	ds_read2st64_b32 v[4:5], v8 offset1:32
	s_waitcnt lgkmcnt(0)
	s_barrier
	v_cmp_gt_i32_e32 vcc, s33, v4
	v_and_b32_e32 v11, vcc_lo, v2
	s_bcnt1_i32_b64 s71, vcc
	v_and_b32_e32 v10, vcc_hi, v3
	v_bcnt_u32_b32 v11, v11, 0
	v_bcnt_u32_b32 v10, v10, v11
	v_mov_b32_e32 v11, s71
	ds_write_b32 v7, v11 offset:16384
	s_waitcnt lgkmcnt(0)
	s_barrier
	s_and_saveexec_b64 s[78:79], s[2:3]
	s_cbranch_execnz .LBB12_80
; %bb.48:                               ;   in Loop: Header=BB12_47 Depth=1
	s_or_b64 exec, exec, s[78:79]
	s_and_saveexec_b64 s[78:79], s[4:5]
	s_cbranch_execnz .LBB12_81
.LBB12_49:                              ;   in Loop: Header=BB12_47 Depth=1
	s_or_b64 exec, exec, s[78:79]
	s_and_saveexec_b64 s[78:79], s[6:7]
	s_cbranch_execnz .LBB12_82
.LBB12_50:                              ;   in Loop: Header=BB12_47 Depth=1
	s_or_b64 exec, exec, s[78:79]
	s_and_saveexec_b64 s[78:79], s[8:9]
	s_cbranch_execnz .LBB12_83
.LBB12_51:                              ;   in Loop: Header=BB12_47 Depth=1
	s_or_b64 exec, exec, s[78:79]
	s_and_saveexec_b64 s[78:79], s[10:11]
	s_cbranch_execnz .LBB12_84
.LBB12_52:                              ;   in Loop: Header=BB12_47 Depth=1
	s_or_b64 exec, exec, s[78:79]
	s_and_saveexec_b64 s[78:79], s[12:13]
	s_cbranch_execnz .LBB12_85
.LBB12_53:                              ;   in Loop: Header=BB12_47 Depth=1
	s_or_b64 exec, exec, s[78:79]
	s_and_saveexec_b64 s[78:79], s[14:15]
	s_cbranch_execnz .LBB12_86
.LBB12_54:                              ;   in Loop: Header=BB12_47 Depth=1
	s_or_b64 exec, exec, s[78:79]
	s_and_saveexec_b64 s[78:79], s[16:17]
	s_cbranch_execnz .LBB12_87
.LBB12_55:                              ;   in Loop: Header=BB12_47 Depth=1
	s_or_b64 exec, exec, s[78:79]
	s_and_saveexec_b64 s[78:79], s[18:19]
	s_cbranch_execnz .LBB12_88
.LBB12_56:                              ;   in Loop: Header=BB12_47 Depth=1
	s_or_b64 exec, exec, s[78:79]
	s_and_saveexec_b64 s[78:79], s[20:21]
	s_cbranch_execnz .LBB12_89
.LBB12_57:                              ;   in Loop: Header=BB12_47 Depth=1
	s_or_b64 exec, exec, s[78:79]
	s_and_saveexec_b64 s[78:79], s[22:23]
	s_cbranch_execnz .LBB12_90
.LBB12_58:                              ;   in Loop: Header=BB12_47 Depth=1
	s_or_b64 exec, exec, s[78:79]
	s_and_saveexec_b64 s[78:79], s[24:25]
	s_cbranch_execnz .LBB12_91
.LBB12_59:                              ;   in Loop: Header=BB12_47 Depth=1
	s_or_b64 exec, exec, s[78:79]
	s_and_saveexec_b64 s[78:79], s[26:27]
	s_cbranch_execnz .LBB12_92
.LBB12_60:                              ;   in Loop: Header=BB12_47 Depth=1
	s_or_b64 exec, exec, s[78:79]
	s_and_saveexec_b64 s[78:79], s[28:29]
	s_cbranch_execnz .LBB12_93
.LBB12_61:                              ;   in Loop: Header=BB12_47 Depth=1
	s_or_b64 exec, exec, s[78:79]
	s_and_saveexec_b64 s[78:79], s[30:31]
	s_cbranch_execnz .LBB12_94
.LBB12_62:                              ;   in Loop: Header=BB12_47 Depth=1
	s_or_b64 exec, exec, s[78:79]
	s_and_saveexec_b64 s[78:79], s[34:35]
	s_cbranch_execnz .LBB12_95
.LBB12_63:                              ;   in Loop: Header=BB12_47 Depth=1
	s_or_b64 exec, exec, s[78:79]
	s_and_saveexec_b64 s[78:79], s[36:37]
	s_cbranch_execnz .LBB12_96
.LBB12_64:                              ;   in Loop: Header=BB12_47 Depth=1
	s_or_b64 exec, exec, s[78:79]
	s_and_saveexec_b64 s[78:79], s[38:39]
	s_cbranch_execnz .LBB12_97
.LBB12_65:                              ;   in Loop: Header=BB12_47 Depth=1
	s_or_b64 exec, exec, s[78:79]
	s_and_saveexec_b64 s[78:79], s[40:41]
	s_cbranch_execnz .LBB12_98
.LBB12_66:                              ;   in Loop: Header=BB12_47 Depth=1
	s_or_b64 exec, exec, s[78:79]
	s_and_saveexec_b64 s[78:79], s[42:43]
	s_cbranch_execnz .LBB12_99
.LBB12_67:                              ;   in Loop: Header=BB12_47 Depth=1
	s_or_b64 exec, exec, s[78:79]
	s_and_saveexec_b64 s[78:79], s[44:45]
	s_cbranch_execnz .LBB12_100
.LBB12_68:                              ;   in Loop: Header=BB12_47 Depth=1
	s_or_b64 exec, exec, s[78:79]
	s_and_saveexec_b64 s[78:79], s[46:47]
	s_cbranch_execnz .LBB12_101
.LBB12_69:                              ;   in Loop: Header=BB12_47 Depth=1
	s_or_b64 exec, exec, s[78:79]
	s_and_saveexec_b64 s[78:79], s[48:49]
	s_cbranch_execnz .LBB12_102
.LBB12_70:                              ;   in Loop: Header=BB12_47 Depth=1
	s_or_b64 exec, exec, s[78:79]
	s_and_saveexec_b64 s[78:79], s[50:51]
	s_cbranch_execnz .LBB12_103
.LBB12_71:                              ;   in Loop: Header=BB12_47 Depth=1
	s_or_b64 exec, exec, s[78:79]
	s_and_saveexec_b64 s[78:79], s[52:53]
	s_cbranch_execnz .LBB12_104
.LBB12_72:                              ;   in Loop: Header=BB12_47 Depth=1
	s_or_b64 exec, exec, s[78:79]
	s_and_saveexec_b64 s[78:79], s[54:55]
	s_cbranch_execnz .LBB12_105
.LBB12_73:                              ;   in Loop: Header=BB12_47 Depth=1
	s_or_b64 exec, exec, s[78:79]
	s_and_saveexec_b64 s[78:79], s[56:57]
	s_cbranch_execnz .LBB12_106
.LBB12_74:                              ;   in Loop: Header=BB12_47 Depth=1
	s_or_b64 exec, exec, s[78:79]
	s_and_saveexec_b64 s[78:79], s[58:59]
	s_cbranch_execnz .LBB12_107
.LBB12_75:                              ;   in Loop: Header=BB12_47 Depth=1
	s_or_b64 exec, exec, s[78:79]
	s_and_saveexec_b64 s[78:79], s[60:61]
	s_cbranch_execnz .LBB12_108
.LBB12_76:                              ;   in Loop: Header=BB12_47 Depth=1
	s_or_b64 exec, exec, s[78:79]
	s_and_saveexec_b64 s[78:79], s[62:63]
	s_cbranch_execnz .LBB12_109
.LBB12_77:                              ;   in Loop: Header=BB12_47 Depth=1
	s_or_b64 exec, exec, s[78:79]
	s_and_saveexec_b64 s[78:79], s[64:65]
	s_cbranch_execnz .LBB12_110
.LBB12_78:                              ;   in Loop: Header=BB12_47 Depth=1
	s_or_b64 exec, exec, s[78:79]
	s_and_saveexec_b64 s[78:79], vcc
	s_cbranch_execnz .LBB12_111
.LBB12_79:                              ;   in Loop: Header=BB12_47 Depth=1
	s_or_b64 exec, exec, s[78:79]
	s_and_saveexec_b64 s[78:79], s[0:1]
	s_cbranch_execz .LBB12_46
	s_branch .LBB12_112
.LBB12_80:                              ;   in Loop: Header=BB12_47 Depth=1
	ds_read_b32 v11, v6 offset:16384
	s_waitcnt lgkmcnt(0)
	v_add_u32_e32 v10, v11, v10
	s_or_b64 exec, exec, s[78:79]
	s_and_saveexec_b64 s[78:79], s[4:5]
	s_cbranch_execz .LBB12_49
.LBB12_81:                              ;   in Loop: Header=BB12_47 Depth=1
	ds_read_b32 v11, v6 offset:16388
	s_waitcnt lgkmcnt(0)
	v_add_u32_e32 v10, v11, v10
	s_or_b64 exec, exec, s[78:79]
	s_and_saveexec_b64 s[78:79], s[6:7]
	s_cbranch_execz .LBB12_50
.LBB12_82:                              ;   in Loop: Header=BB12_47 Depth=1
	ds_read_b32 v11, v6 offset:16392
	s_waitcnt lgkmcnt(0)
	v_add_u32_e32 v10, v11, v10
	s_or_b64 exec, exec, s[78:79]
	s_and_saveexec_b64 s[78:79], s[8:9]
	s_cbranch_execz .LBB12_51
.LBB12_83:                              ;   in Loop: Header=BB12_47 Depth=1
	ds_read_b32 v11, v6 offset:16396
	s_waitcnt lgkmcnt(0)
	v_add_u32_e32 v10, v11, v10
	s_or_b64 exec, exec, s[78:79]
	s_and_saveexec_b64 s[78:79], s[10:11]
	s_cbranch_execz .LBB12_52
.LBB12_84:                              ;   in Loop: Header=BB12_47 Depth=1
	ds_read_b32 v11, v6 offset:16400
	s_waitcnt lgkmcnt(0)
	v_add_u32_e32 v10, v11, v10
	s_or_b64 exec, exec, s[78:79]
	s_and_saveexec_b64 s[78:79], s[12:13]
	s_cbranch_execz .LBB12_53
.LBB12_85:                              ;   in Loop: Header=BB12_47 Depth=1
	ds_read_b32 v11, v6 offset:16404
	s_waitcnt lgkmcnt(0)
	v_add_u32_e32 v10, v11, v10
	s_or_b64 exec, exec, s[78:79]
	s_and_saveexec_b64 s[78:79], s[14:15]
	s_cbranch_execz .LBB12_54
.LBB12_86:                              ;   in Loop: Header=BB12_47 Depth=1
	ds_read_b32 v11, v6 offset:16408
	s_waitcnt lgkmcnt(0)
	v_add_u32_e32 v10, v11, v10
	s_or_b64 exec, exec, s[78:79]
	s_and_saveexec_b64 s[78:79], s[16:17]
	s_cbranch_execz .LBB12_55
.LBB12_87:                              ;   in Loop: Header=BB12_47 Depth=1
	ds_read_b32 v11, v6 offset:16412
	s_waitcnt lgkmcnt(0)
	v_add_u32_e32 v10, v11, v10
	s_or_b64 exec, exec, s[78:79]
	s_and_saveexec_b64 s[78:79], s[18:19]
	s_cbranch_execz .LBB12_56
.LBB12_88:                              ;   in Loop: Header=BB12_47 Depth=1
	ds_read_b32 v11, v6 offset:16416
	s_waitcnt lgkmcnt(0)
	v_add_u32_e32 v10, v11, v10
	s_or_b64 exec, exec, s[78:79]
	s_and_saveexec_b64 s[78:79], s[20:21]
	s_cbranch_execz .LBB12_57
.LBB12_89:                              ;   in Loop: Header=BB12_47 Depth=1
	ds_read_b32 v11, v6 offset:16420
	s_waitcnt lgkmcnt(0)
	v_add_u32_e32 v10, v11, v10
	s_or_b64 exec, exec, s[78:79]
	s_and_saveexec_b64 s[78:79], s[22:23]
	s_cbranch_execz .LBB12_58
.LBB12_90:                              ;   in Loop: Header=BB12_47 Depth=1
	ds_read_b32 v11, v6 offset:16424
	s_waitcnt lgkmcnt(0)
	v_add_u32_e32 v10, v11, v10
	s_or_b64 exec, exec, s[78:79]
	s_and_saveexec_b64 s[78:79], s[24:25]
	s_cbranch_execz .LBB12_59
.LBB12_91:                              ;   in Loop: Header=BB12_47 Depth=1
	ds_read_b32 v11, v6 offset:16428
	s_waitcnt lgkmcnt(0)
	v_add_u32_e32 v10, v11, v10
	s_or_b64 exec, exec, s[78:79]
	s_and_saveexec_b64 s[78:79], s[26:27]
	s_cbranch_execz .LBB12_60
.LBB12_92:                              ;   in Loop: Header=BB12_47 Depth=1
	ds_read_b32 v11, v6 offset:16432
	s_waitcnt lgkmcnt(0)
	v_add_u32_e32 v10, v11, v10
	s_or_b64 exec, exec, s[78:79]
	s_and_saveexec_b64 s[78:79], s[28:29]
	s_cbranch_execz .LBB12_61
.LBB12_93:                              ;   in Loop: Header=BB12_47 Depth=1
	ds_read_b32 v11, v6 offset:16436
	s_waitcnt lgkmcnt(0)
	v_add_u32_e32 v10, v11, v10
	s_or_b64 exec, exec, s[78:79]
	s_and_saveexec_b64 s[78:79], s[30:31]
	s_cbranch_execz .LBB12_62
.LBB12_94:                              ;   in Loop: Header=BB12_47 Depth=1
	ds_read_b32 v11, v6 offset:16440
	s_waitcnt lgkmcnt(0)
	v_add_u32_e32 v10, v11, v10
	s_or_b64 exec, exec, s[78:79]
	s_and_saveexec_b64 s[78:79], s[34:35]
	s_cbranch_execz .LBB12_63
.LBB12_95:                              ;   in Loop: Header=BB12_47 Depth=1
	ds_read_b32 v11, v6 offset:16444
	s_waitcnt lgkmcnt(0)
	v_add_u32_e32 v10, v11, v10
	s_or_b64 exec, exec, s[78:79]
	s_and_saveexec_b64 s[78:79], s[36:37]
	s_cbranch_execz .LBB12_64
.LBB12_96:                              ;   in Loop: Header=BB12_47 Depth=1
	ds_read_b32 v11, v6 offset:16448
	s_waitcnt lgkmcnt(0)
	v_add_u32_e32 v10, v11, v10
	s_or_b64 exec, exec, s[78:79]
	s_and_saveexec_b64 s[78:79], s[38:39]
	s_cbranch_execz .LBB12_65
.LBB12_97:                              ;   in Loop: Header=BB12_47 Depth=1
	ds_read_b32 v11, v6 offset:16452
	s_waitcnt lgkmcnt(0)
	v_add_u32_e32 v10, v11, v10
	s_or_b64 exec, exec, s[78:79]
	s_and_saveexec_b64 s[78:79], s[40:41]
	s_cbranch_execz .LBB12_66
.LBB12_98:                              ;   in Loop: Header=BB12_47 Depth=1
	ds_read_b32 v11, v6 offset:16456
	s_waitcnt lgkmcnt(0)
	v_add_u32_e32 v10, v11, v10
	s_or_b64 exec, exec, s[78:79]
	s_and_saveexec_b64 s[78:79], s[42:43]
	s_cbranch_execz .LBB12_67
.LBB12_99:                              ;   in Loop: Header=BB12_47 Depth=1
	ds_read_b32 v11, v6 offset:16460
	s_waitcnt lgkmcnt(0)
	v_add_u32_e32 v10, v11, v10
	s_or_b64 exec, exec, s[78:79]
	s_and_saveexec_b64 s[78:79], s[44:45]
	s_cbranch_execz .LBB12_68
.LBB12_100:                             ;   in Loop: Header=BB12_47 Depth=1
	ds_read_b32 v11, v6 offset:16464
	s_waitcnt lgkmcnt(0)
	v_add_u32_e32 v10, v11, v10
	s_or_b64 exec, exec, s[78:79]
	s_and_saveexec_b64 s[78:79], s[46:47]
	s_cbranch_execz .LBB12_69
.LBB12_101:                             ;   in Loop: Header=BB12_47 Depth=1
	ds_read_b32 v11, v6 offset:16468
	s_waitcnt lgkmcnt(0)
	v_add_u32_e32 v10, v11, v10
	s_or_b64 exec, exec, s[78:79]
	s_and_saveexec_b64 s[78:79], s[48:49]
	s_cbranch_execz .LBB12_70
.LBB12_102:                             ;   in Loop: Header=BB12_47 Depth=1
	ds_read_b32 v11, v6 offset:16472
	s_waitcnt lgkmcnt(0)
	v_add_u32_e32 v10, v11, v10
	s_or_b64 exec, exec, s[78:79]
	s_and_saveexec_b64 s[78:79], s[50:51]
	s_cbranch_execz .LBB12_71
.LBB12_103:                             ;   in Loop: Header=BB12_47 Depth=1
	ds_read_b32 v11, v6 offset:16476
	s_waitcnt lgkmcnt(0)
	v_add_u32_e32 v10, v11, v10
	s_or_b64 exec, exec, s[78:79]
	s_and_saveexec_b64 s[78:79], s[52:53]
	s_cbranch_execz .LBB12_72
.LBB12_104:                             ;   in Loop: Header=BB12_47 Depth=1
	ds_read_b32 v11, v6 offset:16480
	s_waitcnt lgkmcnt(0)
	v_add_u32_e32 v10, v11, v10
	s_or_b64 exec, exec, s[78:79]
	s_and_saveexec_b64 s[78:79], s[54:55]
	s_cbranch_execz .LBB12_73
.LBB12_105:                             ;   in Loop: Header=BB12_47 Depth=1
	ds_read_b32 v11, v6 offset:16484
	s_waitcnt lgkmcnt(0)
	v_add_u32_e32 v10, v11, v10
	s_or_b64 exec, exec, s[78:79]
	s_and_saveexec_b64 s[78:79], s[56:57]
	s_cbranch_execz .LBB12_74
.LBB12_106:                             ;   in Loop: Header=BB12_47 Depth=1
	ds_read_b32 v11, v6 offset:16488
	s_waitcnt lgkmcnt(0)
	v_add_u32_e32 v10, v11, v10
	s_or_b64 exec, exec, s[78:79]
	s_and_saveexec_b64 s[78:79], s[58:59]
	s_cbranch_execz .LBB12_75
.LBB12_107:                             ;   in Loop: Header=BB12_47 Depth=1
	ds_read_b32 v11, v6 offset:16492
	s_waitcnt lgkmcnt(0)
	v_add_u32_e32 v10, v11, v10
	s_or_b64 exec, exec, s[78:79]
	s_and_saveexec_b64 s[78:79], s[60:61]
	s_cbranch_execz .LBB12_76
.LBB12_108:                             ;   in Loop: Header=BB12_47 Depth=1
	ds_read_b32 v11, v6 offset:16496
	s_waitcnt lgkmcnt(0)
	v_add_u32_e32 v10, v11, v10
	s_or_b64 exec, exec, s[78:79]
	s_and_saveexec_b64 s[78:79], s[62:63]
	s_cbranch_execz .LBB12_77
.LBB12_109:                             ;   in Loop: Header=BB12_47 Depth=1
	ds_read_b32 v11, v6 offset:16500
	s_waitcnt lgkmcnt(0)
	v_add_u32_e32 v10, v11, v10
	s_or_b64 exec, exec, s[78:79]
	s_and_saveexec_b64 s[78:79], s[64:65]
	s_cbranch_execz .LBB12_78
.LBB12_110:                             ;   in Loop: Header=BB12_47 Depth=1
	ds_read_b32 v11, v6 offset:16504
	s_waitcnt lgkmcnt(0)
	v_add_u32_e32 v10, v11, v10
	s_or_b64 exec, exec, s[78:79]
	s_and_saveexec_b64 s[78:79], vcc
	s_cbranch_execz .LBB12_79
.LBB12_111:                             ;   in Loop: Header=BB12_47 Depth=1
	v_add3_u32 v11, v9, -1, v10
	v_lshl_add_u32 v11, v11, 2, 0
	ds_write2st64_b32 v11, v4, v5 offset1:32
	s_or_b64 exec, exec, s[78:79]
	s_and_saveexec_b64 s[78:79], s[0:1]
	s_cbranch_execz .LBB12_46
.LBB12_112:                             ;   in Loop: Header=BB12_47 Depth=1
	ds_write_b32 v6, v10 offset:16508
	s_branch .LBB12_46
.LBB12_113:
	s_or_b64 exec, exec, s[68:69]
	s_ashr_i32 s77, s76, 31
	s_lshl_b64 s[0:1], s[76:77], 2
	s_add_u32 s0, s66, s0
	s_addc_u32 s1, s67, s1
	s_load_dwordx2 s[0:1], s[0:1], 0x0
	s_waitcnt lgkmcnt(0)
	s_sub_i32 s14, s1, s0
	v_cmp_gt_i32_e32 vcc, s14, v0
	s_and_saveexec_b64 s[2:3], vcc
	s_cbranch_execz .LBB12_128
; %bb.114:
	s_sub_i32 s6, s0, s70
	s_add_i32 s0, s14, -2
	s_lshr_b32 s1, s0, 1
	s_add_i32 s2, s1, 1
	s_cmp_gt_u32 s14, 1
	s_cselect_b64 s[8:9], -1, 0
	s_and_b32 s15, s14, -2
	s_and_b32 s4, s2, 7
	s_cmp_gt_u32 s0, 13
	s_cselect_b64 s[0:1], -1, 0
	s_and_b32 s16, s2, -8
	s_cmp_lg_u32 s4, 0
	s_cselect_b64 s[2:3], -1, 0
	v_cndmask_b32_e64 v1, 0, 1, s[0:1]
	s_cmp_lg_u32 s14, s15
	v_cmp_ne_u32_e64 s[0:1], 1, v1
	v_cndmask_b32_e64 v1, 0, 1, s[2:3]
	s_mov_b32 s7, 0
	s_cselect_b64 s[10:11], -1, 0
	s_lshl_b32 s17, s4, 3
	s_mov_b64 s[12:13], 0
	v_cmp_ne_u32_e64 s[2:3], 1, v1
	v_mov_b32_e32 v1, s73
	v_mov_b32_e32 v6, s75
	s_branch .LBB12_116
.LBB12_115:                             ;   in Loop: Header=BB12_116 Depth=1
	v_ashrrev_i32_e32 v5, 31, v4
	v_lshlrev_b64 v[4:5], 2, v[4:5]
	v_add_co_u32_e32 v8, vcc, s72, v4
	v_addc_co_u32_e32 v9, vcc, v1, v5, vcc
	v_add_co_u32_e32 v4, vcc, s74, v4
	v_addc_co_u32_e32 v5, vcc, v6, v5, vcc
	v_add_u32_e32 v0, 0x400, v0
	v_cmp_le_i32_e32 vcc, s14, v0
	s_waitcnt lgkmcnt(0)
	v_add_u32_e32 v2, s70, v2
	s_or_b64 s[12:13], vcc, s[12:13]
	global_store_dword v[8:9], v2, off
	global_store_dword v[4:5], v3, off
	s_andn2_b64 exec, exec, s[12:13]
	s_cbranch_execz .LBB12_128
.LBB12_116:                             ; =>This Loop Header: Depth=1
                                        ;     Child Loop BB12_119 Depth 2
                                        ;     Child Loop BB12_124 Depth 2
	;; [unrolled: 1-line block ×3, first 2 shown]
	v_lshl_add_u32 v2, v0, 2, 0
	ds_read2st64_b32 v[2:3], v2 offset1:32
	s_and_b64 vcc, exec, s[8:9]
	s_cbranch_vccz .LBB12_121
; %bb.117:                              ;   in Loop: Header=BB12_116 Depth=1
	s_and_b64 vcc, exec, s[0:1]
	s_cbranch_vccnz .LBB12_122
; %bb.118:                              ;   in Loop: Header=BB12_116 Depth=1
	s_mov_b32 s19, 0
	v_mov_b32_e32 v4, s6
	v_mov_b32_e32 v5, 0
	s_mov_b32 s20, s16
	s_mov_b32 s18, 0
.LBB12_119:                             ;   Parent Loop BB12_116 Depth=1
                                        ; =>  This Inner Loop Header: Depth=2
	v_mov_b32_e32 v7, s19
	ds_read2_b32 v[8:9], v7 offset1:1
	ds_read2_b32 v[10:11], v7 offset0:2 offset1:3
	ds_read2_b32 v[12:13], v7 offset0:4 offset1:5
	;; [unrolled: 1-line block ×7, first 2 shown]
	s_waitcnt lgkmcnt(7)
	v_cmp_gt_i32_e32 vcc, v2, v9
	s_waitcnt lgkmcnt(5)
	v_cmp_gt_i32_e64 s[4:5], v2, v12
	v_cndmask_b32_e64 v7, 0, 1, vcc
	v_cmp_gt_i32_e32 vcc, v2, v8
	v_cndmask_b32_e64 v9, 0, 1, s[4:5]
	v_cmp_gt_i32_e64 s[4:5], v2, v13
	v_cndmask_b32_e64 v8, 0, 1, vcc
	v_cmp_gt_i32_e32 vcc, v2, v11
	v_cndmask_b32_e64 v11, 0, 1, s[4:5]
	s_waitcnt lgkmcnt(3)
	v_cmp_gt_i32_e64 s[4:5], v2, v17
	v_cndmask_b32_e64 v12, 0, 1, s[4:5]
	v_cmp_gt_i32_e64 s[4:5], v2, v16
	v_cndmask_b32_e64 v13, 0, 1, s[4:5]
	s_waitcnt lgkmcnt(1)
	v_cmp_gt_i32_e64 s[4:5], v2, v20
	v_cndmask_b32_e64 v16, 0, 1, s[4:5]
	v_cmp_gt_i32_e64 s[4:5], v2, v21
	v_cndmask_b32_e64 v17, 0, 1, s[4:5]
	v_cmp_gt_i32_e64 s[4:5], v2, v10
	v_addc_co_u32_e64 v4, s[4:5], v4, v8, s[4:5]
	v_addc_co_u32_e32 v5, vcc, v5, v7, vcc
	v_cmp_gt_i32_e32 vcc, v2, v14
	v_cmp_gt_i32_e64 s[4:5], v2, v15
	v_addc_co_u32_e64 v5, s[4:5], v5, v11, s[4:5]
	v_addc_co_u32_e32 v4, vcc, v4, v9, vcc
	v_cmp_gt_i32_e32 vcc, v2, v19
	v_cmp_gt_i32_e64 s[4:5], v2, v18
	v_addc_co_u32_e64 v4, s[4:5], v4, v13, s[4:5]
	v_addc_co_u32_e32 v5, vcc, v5, v12, vcc
	s_add_i32 s18, s18, 16
	s_add_i32 s19, s19, 64
	s_add_i32 s20, s20, -8
	s_waitcnt lgkmcnt(0)
	v_cmp_gt_i32_e32 vcc, v2, v22
	v_cmp_gt_i32_e64 s[4:5], v2, v23
	s_cmp_lg_u32 s20, 0
	v_addc_co_u32_e64 v5, s[4:5], v5, v17, s[4:5]
	v_addc_co_u32_e32 v4, vcc, v4, v16, vcc
	s_cbranch_scc1 .LBB12_119
; %bb.120:                              ;   in Loop: Header=BB12_116 Depth=1
	s_and_b64 vcc, exec, s[2:3]
	s_cbranch_vccz .LBB12_123
	s_branch .LBB12_125
.LBB12_121:                             ;   in Loop: Header=BB12_116 Depth=1
	v_mov_b32_e32 v4, s6
	s_mov_b32 s18, 0
	s_cbranch_execz .LBB12_115
	s_branch .LBB12_126
.LBB12_122:                             ;   in Loop: Header=BB12_116 Depth=1
	v_pk_mov_b32 v[4:5], s[6:7], s[6:7] op_sel:[0,1]
	s_mov_b32 s18, 0
	s_and_b64 vcc, exec, s[2:3]
	s_cbranch_vccnz .LBB12_125
.LBB12_123:                             ;   in Loop: Header=BB12_116 Depth=1
	s_lshl_b32 s4, s18, 2
	s_add_i32 s4, s4, 0
	s_mov_b32 s5, s17
.LBB12_124:                             ;   Parent Loop BB12_116 Depth=1
                                        ; =>  This Inner Loop Header: Depth=2
	v_mov_b32_e32 v7, s4
	ds_read2_b32 v[8:9], v7 offset1:1
	s_add_i32 s4, s4, 8
	s_add_i32 s5, s5, -8
	s_cmp_lg_u32 s5, 0
	s_waitcnt lgkmcnt(0)
	v_cmp_gt_i32_e32 vcc, v2, v9
	v_addc_co_u32_e32 v5, vcc, 0, v5, vcc
	v_cmp_gt_i32_e32 vcc, v2, v8
	v_addc_co_u32_e32 v4, vcc, 0, v4, vcc
	s_cbranch_scc1 .LBB12_124
.LBB12_125:                             ;   in Loop: Header=BB12_116 Depth=1
	v_add_u32_e32 v4, v4, v5
	s_mov_b32 s18, s15
	s_mov_b64 s[4:5], s[10:11]
	s_and_b64 vcc, exec, s[4:5]
	s_cbranch_vccz .LBB12_115
.LBB12_126:                             ;   in Loop: Header=BB12_116 Depth=1
	s_lshl_b32 s4, s18, 2
	s_add_i32 s4, s4, 0
.LBB12_127:                             ;   Parent Loop BB12_116 Depth=1
                                        ; =>  This Inner Loop Header: Depth=2
	v_mov_b32_e32 v5, s4
	ds_read_b32 v5, v5
	s_add_i32 s18, s18, 1
	s_add_i32 s4, s4, 4
	s_cmp_ge_i32 s18, s14
	s_waitcnt lgkmcnt(0)
	v_cmp_gt_i32_e32 vcc, v2, v5
	v_addc_co_u32_e32 v4, vcc, 0, v4, vcc
	s_cbranch_scc0 .LBB12_127
	s_branch .LBB12_115
.LBB12_128:
	s_endpgm
	.section	.rodata,"a",@progbits
	.p2align	6, 0x0
	.amdhsa_kernel _ZN9rocsparseL26csrgemm_fill_block_per_rowILj1024ELj32ELj2048ELj137ELj32EiifEEvT5_PKS1_S3_NS_24const_host_device_scalarIT6_EEPKT4_S3_PKS5_S9_S3_SB_S6_S9_S3_SB_S9_PS1_PS5_21rocsparse_index_base_SE_SE_SE_bbb
		.amdhsa_group_segment_fixed_size 0
		.amdhsa_private_segment_fixed_size 0
		.amdhsa_kernarg_size 156
		.amdhsa_user_sgpr_count 6
		.amdhsa_user_sgpr_private_segment_buffer 1
		.amdhsa_user_sgpr_dispatch_ptr 0
		.amdhsa_user_sgpr_queue_ptr 0
		.amdhsa_user_sgpr_kernarg_segment_ptr 1
		.amdhsa_user_sgpr_dispatch_id 0
		.amdhsa_user_sgpr_flat_scratch_init 0
		.amdhsa_user_sgpr_kernarg_preload_length 0
		.amdhsa_user_sgpr_kernarg_preload_offset 0
		.amdhsa_user_sgpr_private_segment_size 0
		.amdhsa_uses_dynamic_stack 0
		.amdhsa_system_sgpr_private_segment_wavefront_offset 0
		.amdhsa_system_sgpr_workgroup_id_x 1
		.amdhsa_system_sgpr_workgroup_id_y 0
		.amdhsa_system_sgpr_workgroup_id_z 0
		.amdhsa_system_sgpr_workgroup_info 0
		.amdhsa_system_vgpr_workitem_id 0
		.amdhsa_next_free_vgpr 24
		.amdhsa_next_free_sgpr 80
		.amdhsa_accum_offset 24
		.amdhsa_reserve_vcc 1
		.amdhsa_reserve_flat_scratch 0
		.amdhsa_float_round_mode_32 0
		.amdhsa_float_round_mode_16_64 0
		.amdhsa_float_denorm_mode_32 3
		.amdhsa_float_denorm_mode_16_64 3
		.amdhsa_dx10_clamp 1
		.amdhsa_ieee_mode 1
		.amdhsa_fp16_overflow 0
		.amdhsa_tg_split 0
		.amdhsa_exception_fp_ieee_invalid_op 0
		.amdhsa_exception_fp_denorm_src 0
		.amdhsa_exception_fp_ieee_div_zero 0
		.amdhsa_exception_fp_ieee_overflow 0
		.amdhsa_exception_fp_ieee_underflow 0
		.amdhsa_exception_fp_ieee_inexact 0
		.amdhsa_exception_int_div_zero 0
	.end_amdhsa_kernel
	.section	.text._ZN9rocsparseL26csrgemm_fill_block_per_rowILj1024ELj32ELj2048ELj137ELj32EiifEEvT5_PKS1_S3_NS_24const_host_device_scalarIT6_EEPKT4_S3_PKS5_S9_S3_SB_S6_S9_S3_SB_S9_PS1_PS5_21rocsparse_index_base_SE_SE_SE_bbb,"axG",@progbits,_ZN9rocsparseL26csrgemm_fill_block_per_rowILj1024ELj32ELj2048ELj137ELj32EiifEEvT5_PKS1_S3_NS_24const_host_device_scalarIT6_EEPKT4_S3_PKS5_S9_S3_SB_S6_S9_S3_SB_S9_PS1_PS5_21rocsparse_index_base_SE_SE_SE_bbb,comdat
.Lfunc_end12:
	.size	_ZN9rocsparseL26csrgemm_fill_block_per_rowILj1024ELj32ELj2048ELj137ELj32EiifEEvT5_PKS1_S3_NS_24const_host_device_scalarIT6_EEPKT4_S3_PKS5_S9_S3_SB_S6_S9_S3_SB_S9_PS1_PS5_21rocsparse_index_base_SE_SE_SE_bbb, .Lfunc_end12-_ZN9rocsparseL26csrgemm_fill_block_per_rowILj1024ELj32ELj2048ELj137ELj32EiifEEvT5_PKS1_S3_NS_24const_host_device_scalarIT6_EEPKT4_S3_PKS5_S9_S3_SB_S6_S9_S3_SB_S9_PS1_PS5_21rocsparse_index_base_SE_SE_SE_bbb
                                        ; -- End function
	.section	.AMDGPU.csdata,"",@progbits
; Kernel info:
; codeLenInByte = 3960
; NumSgprs: 84
; NumVgprs: 24
; NumAgprs: 0
; TotalNumVgprs: 24
; ScratchSize: 0
; MemoryBound: 0
; FloatMode: 240
; IeeeMode: 1
; LDSByteSize: 0 bytes/workgroup (compile time only)
; SGPRBlocks: 10
; VGPRBlocks: 2
; NumSGPRsForWavesPerEU: 84
; NumVGPRsForWavesPerEU: 24
; AccumOffset: 24
; Occupancy: 8
; WaveLimiterHint : 1
; COMPUTE_PGM_RSRC2:SCRATCH_EN: 0
; COMPUTE_PGM_RSRC2:USER_SGPR: 6
; COMPUTE_PGM_RSRC2:TRAP_HANDLER: 0
; COMPUTE_PGM_RSRC2:TGID_X_EN: 1
; COMPUTE_PGM_RSRC2:TGID_Y_EN: 0
; COMPUTE_PGM_RSRC2:TGID_Z_EN: 0
; COMPUTE_PGM_RSRC2:TIDIG_COMP_CNT: 0
; COMPUTE_PGM_RSRC3_GFX90A:ACCUM_OFFSET: 5
; COMPUTE_PGM_RSRC3_GFX90A:TG_SPLIT: 0
	.section	.text._ZN9rocsparseL26csrgemm_fill_block_per_rowILj1024ELj32ELj2048ELj137ELj64EiifEEvT5_PKS1_S3_NS_24const_host_device_scalarIT6_EEPKT4_S3_PKS5_S9_S3_SB_S6_S9_S3_SB_S9_PS1_PS5_21rocsparse_index_base_SE_SE_SE_bbb,"axG",@progbits,_ZN9rocsparseL26csrgemm_fill_block_per_rowILj1024ELj32ELj2048ELj137ELj64EiifEEvT5_PKS1_S3_NS_24const_host_device_scalarIT6_EEPKT4_S3_PKS5_S9_S3_SB_S6_S9_S3_SB_S9_PS1_PS5_21rocsparse_index_base_SE_SE_SE_bbb,comdat
	.globl	_ZN9rocsparseL26csrgemm_fill_block_per_rowILj1024ELj32ELj2048ELj137ELj64EiifEEvT5_PKS1_S3_NS_24const_host_device_scalarIT6_EEPKT4_S3_PKS5_S9_S3_SB_S6_S9_S3_SB_S9_PS1_PS5_21rocsparse_index_base_SE_SE_SE_bbb ; -- Begin function _ZN9rocsparseL26csrgemm_fill_block_per_rowILj1024ELj32ELj2048ELj137ELj64EiifEEvT5_PKS1_S3_NS_24const_host_device_scalarIT6_EEPKT4_S3_PKS5_S9_S3_SB_S6_S9_S3_SB_S9_PS1_PS5_21rocsparse_index_base_SE_SE_SE_bbb
	.p2align	8
	.type	_ZN9rocsparseL26csrgemm_fill_block_per_rowILj1024ELj32ELj2048ELj137ELj64EiifEEvT5_PKS1_S3_NS_24const_host_device_scalarIT6_EEPKT4_S3_PKS5_S9_S3_SB_S6_S9_S3_SB_S9_PS1_PS5_21rocsparse_index_base_SE_SE_SE_bbb,@function
_ZN9rocsparseL26csrgemm_fill_block_per_rowILj1024ELj32ELj2048ELj137ELj64EiifEEvT5_PKS1_S3_NS_24const_host_device_scalarIT6_EEPKT4_S3_PKS5_S9_S3_SB_S6_S9_S3_SB_S9_PS1_PS5_21rocsparse_index_base_SE_SE_SE_bbb: ; @_ZN9rocsparseL26csrgemm_fill_block_per_rowILj1024ELj32ELj2048ELj137ELj64EiifEEvT5_PKS1_S3_NS_24const_host_device_scalarIT6_EEPKT4_S3_PKS5_S9_S3_SB_S6_S9_S3_SB_S9_PS1_PS5_21rocsparse_index_base_SE_SE_SE_bbb
; %bb.0:
	s_load_dword s7, s[4:5], 0x98
	s_load_dwordx4 s[44:47], s[4:5], 0x88
	s_load_dwordx2 s[0:1], s[4:5], 0x18
	s_load_dwordx2 s[24:25], s[4:5], 0x50
	s_waitcnt lgkmcnt(0)
	s_bitcmp1_b32 s7, 0
	s_cselect_b64 s[2:3], -1, 0
	s_bitcmp1_b32 s7, 16
	s_cselect_b64 s[26:27], -1, 0
	s_xor_b64 s[8:9], s[2:3], -1
	s_or_b64 s[8:9], s[8:9], s[26:27]
	s_and_b64 vcc, exec, s[8:9]
	s_cbranch_vccnz .LBB13_2
; %bb.1:
	s_load_dword s0, s[0:1], 0x0
	s_waitcnt lgkmcnt(0)
	v_mov_b32_e32 v10, s0
	s_branch .LBB13_3
.LBB13_2:
	v_mov_b32_e32 v1, s0
	v_cndmask_b32_e64 v10, 0, v1, s[2:3]
.LBB13_3:
	s_load_dwordx4 s[48:51], s[4:5], 0x78
	s_load_dwordx8 s[36:43], s[4:5], 0x58
	s_load_dwordx4 s[16:19], s[4:5], 0x40
	s_load_dwordx4 s[20:23], s[4:5], 0x8
	s_load_dwordx8 s[8:15], s[4:5], 0x20
	s_bitcmp1_b32 s7, 8
	s_cselect_b64 s[0:1], -1, 0
	s_xor_b64 s[28:29], s[0:1], -1
	s_or_b64 s[26:27], s[28:29], s[26:27]
	s_and_b64 vcc, exec, s[26:27]
	s_cbranch_vccnz .LBB13_5
; %bb.4:
	s_load_dword s7, s[24:25], 0x0
	s_waitcnt lgkmcnt(0)
	v_mov_b32_e32 v9, s7
	s_branch .LBB13_6
.LBB13_5:
	v_mov_b32_e32 v1, s24
	v_cndmask_b32_e64 v9, 0, v1, s[0:1]
.LBB13_6:
	s_load_dword s33, s[4:5], 0x0
	v_or_b32_e32 v1, 0xfffffc00, v0
	v_lshl_add_u32 v8, v0, 2, 0
	s_mov_b64 s[4:5], 0
	v_mov_b32_e32 v2, 0
	s_waitcnt lgkmcnt(0)
	v_mov_b32_e32 v3, s33
	v_mov_b32_e32 v4, v8
	;; [unrolled: 1-line block ×3, first 2 shown]
.LBB13_7:                               ; =>This Inner Loop Header: Depth=1
	v_add_co_u32_e32 v5, vcc, 0x400, v5
	s_xor_b64 s[24:25], vcc, -1
	s_and_b64 s[24:25], exec, s[24:25]
	ds_write2st64_b32 v4, v3, v2 offset1:32
	s_or_b64 s[4:5], s[24:25], s[4:5]
	v_add_u32_e32 v4, 0x1000, v4
	s_andn2_b64 exec, exec, s[4:5]
	s_cbranch_execnz .LBB13_7
; %bb.8:
	s_or_b64 exec, exec, s[4:5]
	s_waitcnt lgkmcnt(0)
	s_barrier
	s_load_dword s4, s[20:21], 0x0
	s_mov_b32 s5, 0
	s_waitcnt lgkmcnt(0)
	s_add_i32 s4, s4, s6
	s_lshl_b64 s[4:5], s[4:5], 2
	s_add_u32 s4, s22, s4
	s_addc_u32 s5, s23, s5
	s_load_dword s34, s[4:5], 0x0
	s_and_b64 vcc, exec, s[2:3]
	s_cbranch_vccz .LBB13_28
; %bb.9:
	s_waitcnt lgkmcnt(0)
	s_ashr_i32 s35, s34, 31
	s_lshl_b64 s[2:3], s[34:35], 2
	s_add_u32 s2, s8, s2
	s_addc_u32 s3, s9, s3
	s_load_dwordx2 s[2:3], s[2:3], 0x0
	v_lshrrev_b32_e32 v2, 5, v0
	v_subrev_u32_e32 v2, s44, v2
	s_waitcnt lgkmcnt(0)
	s_sub_i32 s35, s3, s44
	v_add_u32_e32 v2, s2, v2
	v_cmp_gt_i32_e32 vcc, s35, v2
	s_and_saveexec_b64 s[2:3], vcc
	s_cbranch_execz .LBB13_27
; %bb.10:
	v_and_b32_e32 v3, 31, v0
	v_subrev_u32_e32 v11, s45, v3
	s_mov_b64 s[4:5], 0
	v_mov_b32_e32 v12, s11
	v_mov_b32_e32 v13, s15
	s_movk_i32 s11, 0x89
	s_branch .LBB13_12
.LBB13_11:                              ;   in Loop: Header=BB13_12 Depth=1
	s_or_b64 exec, exec, s[6:7]
	v_add_u32_e32 v2, 32, v2
	v_cmp_le_i32_e32 vcc, s35, v2
	s_or_b64 s[4:5], vcc, s[4:5]
	s_andn2_b64 exec, exec, s[4:5]
	s_cbranch_execz .LBB13_27
.LBB13_12:                              ; =>This Loop Header: Depth=1
                                        ;     Child Loop BB13_15 Depth 2
                                        ;       Child Loop BB13_17 Depth 3
	v_ashrrev_i32_e32 v3, 31, v2
	v_lshlrev_b64 v[6:7], 2, v[2:3]
	v_add_co_u32_e32 v4, vcc, s10, v6
	v_addc_co_u32_e32 v5, vcc, v12, v7, vcc
	global_load_dword v3, v[4:5], off
	s_waitcnt vmcnt(0)
	v_subrev_u32_e32 v4, s44, v3
	v_ashrrev_i32_e32 v5, 31, v4
	v_lshlrev_b64 v[4:5], 2, v[4:5]
	v_add_co_u32_e32 v4, vcc, s14, v4
	v_addc_co_u32_e32 v5, vcc, v13, v5, vcc
	global_load_dwordx2 v[4:5], v[4:5], off
	s_waitcnt vmcnt(0)
	v_subrev_u32_e32 v3, s45, v5
	v_add_u32_e32 v4, v4, v11
	v_cmp_lt_i32_e32 vcc, v4, v3
	s_and_saveexec_b64 s[6:7], vcc
	s_cbranch_execz .LBB13_11
; %bb.13:                               ;   in Loop: Header=BB13_12 Depth=1
	v_mov_b32_e32 v5, s13
	v_add_co_u32_e32 v6, vcc, s12, v6
	v_addc_co_u32_e32 v7, vcc, v5, v7, vcc
	global_load_dword v5, v[6:7], off
	s_mov_b64 s[8:9], 0
	s_waitcnt vmcnt(0)
	v_mul_f32_e32 v6, v10, v5
	s_branch .LBB13_15
.LBB13_14:                              ;   in Loop: Header=BB13_15 Depth=2
	s_or_b64 exec, exec, s[20:21]
	v_add_u32_e32 v4, 32, v4
	v_cmp_ge_i32_e32 vcc, v4, v3
	s_or_b64 s[8:9], vcc, s[8:9]
	s_andn2_b64 exec, exec, s[8:9]
	s_cbranch_execz .LBB13_11
.LBB13_15:                              ;   Parent Loop BB13_12 Depth=1
                                        ; =>  This Loop Header: Depth=2
                                        ;       Child Loop BB13_17 Depth 3
	v_ashrrev_i32_e32 v5, 31, v4
	v_lshlrev_b64 v[14:15], 2, v[4:5]
	v_mov_b32_e32 v5, s17
	v_add_co_u32_e32 v16, vcc, s16, v14
	v_addc_co_u32_e32 v17, vcc, v5, v15, vcc
	global_load_dword v5, v[16:17], off
	v_mov_b32_e32 v7, s19
	v_add_co_u32_e32 v14, vcc, s18, v14
	v_addc_co_u32_e32 v15, vcc, v7, v15, vcc
	global_load_dword v7, v[14:15], off
	s_mov_b64 s[20:21], 0
	s_waitcnt vmcnt(1)
	v_subrev_u32_e32 v5, s45, v5
	v_mul_lo_u32 v14, v5, s11
	v_and_b32_e32 v14, 0x7ff, v14
	s_waitcnt vmcnt(0)
	v_mul_f32_e32 v7, v6, v7
	s_branch .LBB13_17
.LBB13_16:                              ;   in Loop: Header=BB13_17 Depth=3
	s_or_b64 exec, exec, s[22:23]
	s_xor_b64 s[22:23], s[24:25], -1
	s_and_b64 s[22:23], exec, s[22:23]
	s_or_b64 s[20:21], s[22:23], s[20:21]
	s_andn2_b64 exec, exec, s[20:21]
	s_cbranch_execz .LBB13_14
.LBB13_17:                              ;   Parent Loop BB13_12 Depth=1
                                        ;     Parent Loop BB13_15 Depth=2
                                        ; =>    This Inner Loop Header: Depth=3
	v_lshl_add_u32 v15, v14, 2, 0
	ds_read_b32 v16, v15
                                        ; implicit-def: $sgpr24_sgpr25
	s_waitcnt lgkmcnt(0)
	v_cmp_ne_u32_e32 vcc, v16, v5
	s_and_saveexec_b64 s[22:23], vcc
	s_xor_b64 s[22:23], exec, s[22:23]
	s_cbranch_execz .LBB13_25
; %bb.18:                               ;   in Loop: Header=BB13_17 Depth=3
	v_cmp_ne_u32_e32 vcc, s33, v16
                                        ; implicit-def: $sgpr24_sgpr25
	s_and_saveexec_b64 s[26:27], vcc
	s_xor_b64 s[26:27], exec, s[26:27]
; %bb.19:                               ;   in Loop: Header=BB13_17 Depth=3
	v_add_u32_e32 v14, 1, v14
	v_and_b32_e32 v14, 0x7ff, v14
	s_mov_b64 s[24:25], -1
                                        ; implicit-def: $vgpr15
; %bb.20:                               ;   in Loop: Header=BB13_17 Depth=3
	s_andn2_saveexec_b64 s[26:27], s[26:27]
	s_cbranch_execz .LBB13_24
; %bb.21:                               ;   in Loop: Header=BB13_17 Depth=3
	v_mov_b32_e32 v16, s33
	ds_cmpst_rtn_b32 v16, v15, v16, v5
	s_mov_b64 s[28:29], -1
	s_waitcnt lgkmcnt(0)
	v_cmp_eq_u32_e32 vcc, s33, v16
	s_and_saveexec_b64 s[30:31], vcc
	s_cbranch_execz .LBB13_23
; %bb.22:                               ;   in Loop: Header=BB13_17 Depth=3
	ds_add_f32 v15, v7 offset:8192
	s_xor_b64 s[28:29], exec, -1
.LBB13_23:                              ;   in Loop: Header=BB13_17 Depth=3
	s_or_b64 exec, exec, s[30:31]
	s_andn2_b64 s[24:25], s[24:25], exec
	s_and_b64 s[28:29], s[28:29], exec
	s_or_b64 s[24:25], s[24:25], s[28:29]
.LBB13_24:                              ;   in Loop: Header=BB13_17 Depth=3
	s_or_b64 exec, exec, s[26:27]
	s_and_b64 s[24:25], s[24:25], exec
                                        ; implicit-def: $vgpr15
.LBB13_25:                              ;   in Loop: Header=BB13_17 Depth=3
	s_andn2_saveexec_b64 s[22:23], s[22:23]
	s_cbranch_execz .LBB13_16
; %bb.26:                               ;   in Loop: Header=BB13_17 Depth=3
	ds_add_f32 v15, v7 offset:8192
	s_andn2_b64 s[24:25], s[24:25], exec
	s_branch .LBB13_16
.LBB13_27:
	s_or_b64 exec, exec, s[2:3]
.LBB13_28:
	s_andn2_b64 vcc, exec, s[0:1]
	s_cbranch_vccnz .LBB13_45
; %bb.29:
	s_waitcnt lgkmcnt(0)
	s_ashr_i32 s35, s34, 31
	s_lshl_b64 s[0:1], s[34:35], 2
	s_add_u32 s0, s36, s0
	s_addc_u32 s1, s37, s1
	s_load_dwordx2 s[0:1], s[0:1], 0x0
	v_subrev_u32_e32 v2, s47, v0
	s_waitcnt lgkmcnt(0)
	s_sub_i32 s16, s1, s47
	v_add_u32_e32 v2, s0, v2
	v_cmp_gt_i32_e32 vcc, s16, v2
	s_and_saveexec_b64 s[0:1], vcc
	s_cbranch_execz .LBB13_44
; %bb.30:
	s_mov_b64 s[2:3], 0
	v_mov_b32_e32 v4, s39
	v_mov_b32_e32 v5, s41
	s_movk_i32 s17, 0x89
	s_branch .LBB13_32
.LBB13_31:                              ;   in Loop: Header=BB13_32 Depth=1
	s_or_b64 exec, exec, s[4:5]
	v_add_u32_e32 v2, 0x400, v2
	v_cmp_le_i32_e32 vcc, s16, v2
	s_or_b64 s[2:3], vcc, s[2:3]
	s_andn2_b64 exec, exec, s[2:3]
	s_cbranch_execz .LBB13_44
.LBB13_32:                              ; =>This Loop Header: Depth=1
                                        ;     Child Loop BB13_34 Depth 2
	v_ashrrev_i32_e32 v3, 31, v2
	v_lshlrev_b64 v[6:7], 2, v[2:3]
	v_add_co_u32_e32 v10, vcc, s38, v6
	v_addc_co_u32_e32 v11, vcc, v4, v7, vcc
	global_load_dword v3, v[10:11], off
	v_add_co_u32_e32 v6, vcc, s40, v6
	v_addc_co_u32_e32 v7, vcc, v5, v7, vcc
	global_load_dword v6, v[6:7], off
	s_mov_b64 s[4:5], 0
	s_waitcnt vmcnt(1)
	v_subrev_u32_e32 v3, s47, v3
	v_mul_lo_u32 v7, v3, s17
	v_and_b32_e32 v7, 0x7ff, v7
	s_waitcnt vmcnt(0)
	v_mul_f32_e32 v6, v9, v6
	s_branch .LBB13_34
.LBB13_33:                              ;   in Loop: Header=BB13_34 Depth=2
	s_or_b64 exec, exec, s[6:7]
	s_xor_b64 s[6:7], s[8:9], -1
	s_and_b64 s[6:7], exec, s[6:7]
	s_or_b64 s[4:5], s[6:7], s[4:5]
	s_andn2_b64 exec, exec, s[4:5]
	s_cbranch_execz .LBB13_31
.LBB13_34:                              ;   Parent Loop BB13_32 Depth=1
                                        ; =>  This Inner Loop Header: Depth=2
	v_lshl_add_u32 v10, v7, 2, 0
	ds_read_b32 v11, v10
                                        ; implicit-def: $sgpr8_sgpr9
	s_waitcnt lgkmcnt(0)
	v_cmp_ne_u32_e32 vcc, v11, v3
	s_and_saveexec_b64 s[6:7], vcc
	s_xor_b64 s[6:7], exec, s[6:7]
	s_cbranch_execz .LBB13_42
; %bb.35:                               ;   in Loop: Header=BB13_34 Depth=2
	v_cmp_ne_u32_e32 vcc, s33, v11
                                        ; implicit-def: $sgpr8_sgpr9
	s_and_saveexec_b64 s[10:11], vcc
	s_xor_b64 s[10:11], exec, s[10:11]
; %bb.36:                               ;   in Loop: Header=BB13_34 Depth=2
	v_add_u32_e32 v7, 1, v7
	v_and_b32_e32 v7, 0x7ff, v7
	s_mov_b64 s[8:9], -1
                                        ; implicit-def: $vgpr10
; %bb.37:                               ;   in Loop: Header=BB13_34 Depth=2
	s_andn2_saveexec_b64 s[10:11], s[10:11]
	s_cbranch_execz .LBB13_41
; %bb.38:                               ;   in Loop: Header=BB13_34 Depth=2
	v_mov_b32_e32 v11, s33
	ds_cmpst_rtn_b32 v11, v10, v11, v3
	s_mov_b64 s[12:13], -1
	s_waitcnt lgkmcnt(0)
	v_cmp_eq_u32_e32 vcc, s33, v11
	s_and_saveexec_b64 s[14:15], vcc
	s_cbranch_execz .LBB13_40
; %bb.39:                               ;   in Loop: Header=BB13_34 Depth=2
	ds_add_f32 v10, v6 offset:8192
	s_xor_b64 s[12:13], exec, -1
.LBB13_40:                              ;   in Loop: Header=BB13_34 Depth=2
	s_or_b64 exec, exec, s[14:15]
	s_andn2_b64 s[8:9], s[8:9], exec
	s_and_b64 s[12:13], s[12:13], exec
	s_or_b64 s[8:9], s[8:9], s[12:13]
.LBB13_41:                              ;   in Loop: Header=BB13_34 Depth=2
	s_or_b64 exec, exec, s[10:11]
	s_and_b64 s[8:9], s[8:9], exec
                                        ; implicit-def: $vgpr10
.LBB13_42:                              ;   in Loop: Header=BB13_34 Depth=2
	s_andn2_saveexec_b64 s[6:7], s[6:7]
	s_cbranch_execz .LBB13_33
; %bb.43:                               ;   in Loop: Header=BB13_34 Depth=2
	ds_add_f32 v10, v6 offset:8192
	s_andn2_b64 s[8:9], s[8:9], exec
	s_branch .LBB13_33
.LBB13_44:
	s_or_b64 exec, exec, s[0:1]
.LBB13_45:
	v_mbcnt_lo_u32_b32 v2, -1, 0
	v_mbcnt_hi_u32_b32 v2, -1, v2
	v_lshrrev_b32_e32 v4, 4, v0
	v_sub_u32_e32 v2, 63, v2
	v_and_b32_e32 v4, 60, v4
	s_movk_i32 s0, 0x3ff
	s_movk_i32 s4, 0x7f
	;; [unrolled: 1-line block ×15, first 2 shown]
	v_mov_b32_e32 v6, 0
	v_lshrrev_b64 v[2:3], v2, -1
	v_add_u32_e32 v7, 0, v4
	v_cmp_eq_u32_e64 s[0:1], s0, v0
	v_cmp_lt_u32_e64 s[2:3], 63, v0
	v_cmp_lt_u32_e64 s[4:5], s4, v0
	;; [unrolled: 1-line block ×15, first 2 shown]
	s_mov_b64 s[36:37], 0
	v_mov_b32_e32 v9, 0
	s_waitcnt lgkmcnt(0)
	s_barrier
	s_branch .LBB13_47
.LBB13_46:                              ;   in Loop: Header=BB13_47 Depth=1
	s_or_b64 exec, exec, s[38:39]
	s_waitcnt lgkmcnt(0)
	s_barrier
	ds_read_b32 v4, v6 offset:16444
	v_add_co_u32_e32 v1, vcc, 0x400, v1
	s_xor_b64 s[38:39], vcc, -1
	s_and_b64 s[38:39], exec, s[38:39]
	s_waitcnt lgkmcnt(0)
	v_add_u32_e32 v9, v4, v9
	s_or_b64 s[36:37], s[38:39], s[36:37]
	v_add_u32_e32 v8, 0x1000, v8
	s_andn2_b64 exec, exec, s[36:37]
	s_cbranch_execz .LBB13_81
.LBB13_47:                              ; =>This Inner Loop Header: Depth=1
	ds_read2st64_b32 v[4:5], v8 offset1:32
	s_waitcnt lgkmcnt(0)
	s_barrier
	v_cmp_gt_i32_e32 vcc, s33, v4
	v_and_b32_e32 v11, vcc_lo, v2
	s_bcnt1_i32_b64 s35, vcc
	v_and_b32_e32 v10, vcc_hi, v3
	v_bcnt_u32_b32 v11, v11, 0
	v_bcnt_u32_b32 v10, v10, v11
	v_mov_b32_e32 v11, s35
	ds_write_b32 v7, v11 offset:16384
	s_waitcnt lgkmcnt(0)
	s_barrier
	s_and_saveexec_b64 s[38:39], s[2:3]
	s_cbranch_execnz .LBB13_64
; %bb.48:                               ;   in Loop: Header=BB13_47 Depth=1
	s_or_b64 exec, exec, s[38:39]
	s_and_saveexec_b64 s[38:39], s[4:5]
	s_cbranch_execnz .LBB13_65
.LBB13_49:                              ;   in Loop: Header=BB13_47 Depth=1
	s_or_b64 exec, exec, s[38:39]
	s_and_saveexec_b64 s[38:39], s[6:7]
	s_cbranch_execnz .LBB13_66
.LBB13_50:                              ;   in Loop: Header=BB13_47 Depth=1
	s_or_b64 exec, exec, s[38:39]
	s_and_saveexec_b64 s[38:39], s[8:9]
	s_cbranch_execnz .LBB13_67
.LBB13_51:                              ;   in Loop: Header=BB13_47 Depth=1
	s_or_b64 exec, exec, s[38:39]
	s_and_saveexec_b64 s[38:39], s[10:11]
	s_cbranch_execnz .LBB13_68
.LBB13_52:                              ;   in Loop: Header=BB13_47 Depth=1
	s_or_b64 exec, exec, s[38:39]
	s_and_saveexec_b64 s[38:39], s[12:13]
	s_cbranch_execnz .LBB13_69
.LBB13_53:                              ;   in Loop: Header=BB13_47 Depth=1
	s_or_b64 exec, exec, s[38:39]
	s_and_saveexec_b64 s[38:39], s[14:15]
	s_cbranch_execnz .LBB13_70
.LBB13_54:                              ;   in Loop: Header=BB13_47 Depth=1
	s_or_b64 exec, exec, s[38:39]
	s_and_saveexec_b64 s[38:39], s[16:17]
	s_cbranch_execnz .LBB13_71
.LBB13_55:                              ;   in Loop: Header=BB13_47 Depth=1
	s_or_b64 exec, exec, s[38:39]
	s_and_saveexec_b64 s[38:39], s[18:19]
	s_cbranch_execnz .LBB13_72
.LBB13_56:                              ;   in Loop: Header=BB13_47 Depth=1
	s_or_b64 exec, exec, s[38:39]
	s_and_saveexec_b64 s[38:39], s[20:21]
	s_cbranch_execnz .LBB13_73
.LBB13_57:                              ;   in Loop: Header=BB13_47 Depth=1
	s_or_b64 exec, exec, s[38:39]
	s_and_saveexec_b64 s[38:39], s[22:23]
	s_cbranch_execnz .LBB13_74
.LBB13_58:                              ;   in Loop: Header=BB13_47 Depth=1
	s_or_b64 exec, exec, s[38:39]
	s_and_saveexec_b64 s[38:39], s[24:25]
	s_cbranch_execnz .LBB13_75
.LBB13_59:                              ;   in Loop: Header=BB13_47 Depth=1
	s_or_b64 exec, exec, s[38:39]
	s_and_saveexec_b64 s[38:39], s[26:27]
	s_cbranch_execnz .LBB13_76
.LBB13_60:                              ;   in Loop: Header=BB13_47 Depth=1
	s_or_b64 exec, exec, s[38:39]
	s_and_saveexec_b64 s[38:39], s[28:29]
	s_cbranch_execnz .LBB13_77
.LBB13_61:                              ;   in Loop: Header=BB13_47 Depth=1
	s_or_b64 exec, exec, s[38:39]
	s_and_saveexec_b64 s[38:39], s[30:31]
	s_cbranch_execnz .LBB13_78
.LBB13_62:                              ;   in Loop: Header=BB13_47 Depth=1
	s_or_b64 exec, exec, s[38:39]
	s_and_saveexec_b64 s[38:39], vcc
	s_cbranch_execnz .LBB13_79
.LBB13_63:                              ;   in Loop: Header=BB13_47 Depth=1
	s_or_b64 exec, exec, s[38:39]
	s_and_saveexec_b64 s[38:39], s[0:1]
	s_cbranch_execz .LBB13_46
	s_branch .LBB13_80
.LBB13_64:                              ;   in Loop: Header=BB13_47 Depth=1
	ds_read_b32 v11, v6 offset:16384
	s_waitcnt lgkmcnt(0)
	v_add_u32_e32 v10, v11, v10
	s_or_b64 exec, exec, s[38:39]
	s_and_saveexec_b64 s[38:39], s[4:5]
	s_cbranch_execz .LBB13_49
.LBB13_65:                              ;   in Loop: Header=BB13_47 Depth=1
	ds_read_b32 v11, v6 offset:16388
	s_waitcnt lgkmcnt(0)
	v_add_u32_e32 v10, v11, v10
	s_or_b64 exec, exec, s[38:39]
	s_and_saveexec_b64 s[38:39], s[6:7]
	s_cbranch_execz .LBB13_50
.LBB13_66:                              ;   in Loop: Header=BB13_47 Depth=1
	ds_read_b32 v11, v6 offset:16392
	s_waitcnt lgkmcnt(0)
	v_add_u32_e32 v10, v11, v10
	s_or_b64 exec, exec, s[38:39]
	s_and_saveexec_b64 s[38:39], s[8:9]
	s_cbranch_execz .LBB13_51
.LBB13_67:                              ;   in Loop: Header=BB13_47 Depth=1
	ds_read_b32 v11, v6 offset:16396
	s_waitcnt lgkmcnt(0)
	v_add_u32_e32 v10, v11, v10
	s_or_b64 exec, exec, s[38:39]
	s_and_saveexec_b64 s[38:39], s[10:11]
	s_cbranch_execz .LBB13_52
.LBB13_68:                              ;   in Loop: Header=BB13_47 Depth=1
	ds_read_b32 v11, v6 offset:16400
	s_waitcnt lgkmcnt(0)
	v_add_u32_e32 v10, v11, v10
	s_or_b64 exec, exec, s[38:39]
	s_and_saveexec_b64 s[38:39], s[12:13]
	s_cbranch_execz .LBB13_53
.LBB13_69:                              ;   in Loop: Header=BB13_47 Depth=1
	ds_read_b32 v11, v6 offset:16404
	s_waitcnt lgkmcnt(0)
	v_add_u32_e32 v10, v11, v10
	s_or_b64 exec, exec, s[38:39]
	s_and_saveexec_b64 s[38:39], s[14:15]
	s_cbranch_execz .LBB13_54
.LBB13_70:                              ;   in Loop: Header=BB13_47 Depth=1
	ds_read_b32 v11, v6 offset:16408
	s_waitcnt lgkmcnt(0)
	v_add_u32_e32 v10, v11, v10
	s_or_b64 exec, exec, s[38:39]
	s_and_saveexec_b64 s[38:39], s[16:17]
	s_cbranch_execz .LBB13_55
.LBB13_71:                              ;   in Loop: Header=BB13_47 Depth=1
	ds_read_b32 v11, v6 offset:16412
	s_waitcnt lgkmcnt(0)
	v_add_u32_e32 v10, v11, v10
	s_or_b64 exec, exec, s[38:39]
	s_and_saveexec_b64 s[38:39], s[18:19]
	s_cbranch_execz .LBB13_56
.LBB13_72:                              ;   in Loop: Header=BB13_47 Depth=1
	ds_read_b32 v11, v6 offset:16416
	s_waitcnt lgkmcnt(0)
	v_add_u32_e32 v10, v11, v10
	s_or_b64 exec, exec, s[38:39]
	s_and_saveexec_b64 s[38:39], s[20:21]
	s_cbranch_execz .LBB13_57
.LBB13_73:                              ;   in Loop: Header=BB13_47 Depth=1
	ds_read_b32 v11, v6 offset:16420
	s_waitcnt lgkmcnt(0)
	v_add_u32_e32 v10, v11, v10
	s_or_b64 exec, exec, s[38:39]
	s_and_saveexec_b64 s[38:39], s[22:23]
	s_cbranch_execz .LBB13_58
.LBB13_74:                              ;   in Loop: Header=BB13_47 Depth=1
	ds_read_b32 v11, v6 offset:16424
	s_waitcnt lgkmcnt(0)
	v_add_u32_e32 v10, v11, v10
	s_or_b64 exec, exec, s[38:39]
	s_and_saveexec_b64 s[38:39], s[24:25]
	s_cbranch_execz .LBB13_59
.LBB13_75:                              ;   in Loop: Header=BB13_47 Depth=1
	ds_read_b32 v11, v6 offset:16428
	s_waitcnt lgkmcnt(0)
	v_add_u32_e32 v10, v11, v10
	s_or_b64 exec, exec, s[38:39]
	s_and_saveexec_b64 s[38:39], s[26:27]
	s_cbranch_execz .LBB13_60
.LBB13_76:                              ;   in Loop: Header=BB13_47 Depth=1
	ds_read_b32 v11, v6 offset:16432
	s_waitcnt lgkmcnt(0)
	v_add_u32_e32 v10, v11, v10
	s_or_b64 exec, exec, s[38:39]
	s_and_saveexec_b64 s[38:39], s[28:29]
	s_cbranch_execz .LBB13_61
.LBB13_77:                              ;   in Loop: Header=BB13_47 Depth=1
	ds_read_b32 v11, v6 offset:16436
	s_waitcnt lgkmcnt(0)
	v_add_u32_e32 v10, v11, v10
	s_or_b64 exec, exec, s[38:39]
	s_and_saveexec_b64 s[38:39], s[30:31]
	s_cbranch_execz .LBB13_62
.LBB13_78:                              ;   in Loop: Header=BB13_47 Depth=1
	ds_read_b32 v11, v6 offset:16440
	s_waitcnt lgkmcnt(0)
	v_add_u32_e32 v10, v11, v10
	s_or_b64 exec, exec, s[38:39]
	s_and_saveexec_b64 s[38:39], vcc
	s_cbranch_execz .LBB13_63
.LBB13_79:                              ;   in Loop: Header=BB13_47 Depth=1
	v_add3_u32 v11, v9, -1, v10
	v_lshl_add_u32 v11, v11, 2, 0
	ds_write2st64_b32 v11, v4, v5 offset1:32
	s_or_b64 exec, exec, s[38:39]
	s_and_saveexec_b64 s[38:39], s[0:1]
	s_cbranch_execz .LBB13_46
.LBB13_80:                              ;   in Loop: Header=BB13_47 Depth=1
	ds_write_b32 v6, v10 offset:16444
	s_branch .LBB13_46
.LBB13_81:
	s_or_b64 exec, exec, s[36:37]
	s_ashr_i32 s35, s34, 31
	s_lshl_b64 s[0:1], s[34:35], 2
	s_add_u32 s0, s42, s0
	s_addc_u32 s1, s43, s1
	s_load_dwordx2 s[0:1], s[0:1], 0x0
	s_waitcnt lgkmcnt(0)
	s_sub_i32 s14, s1, s0
	v_cmp_gt_i32_e32 vcc, s14, v0
	s_and_saveexec_b64 s[2:3], vcc
	s_cbranch_execz .LBB13_96
; %bb.82:
	s_sub_i32 s6, s0, s46
	s_add_i32 s0, s14, -2
	s_lshr_b32 s1, s0, 1
	s_add_i32 s2, s1, 1
	s_cmp_gt_u32 s14, 1
	s_cselect_b64 s[8:9], -1, 0
	s_and_b32 s15, s14, -2
	s_and_b32 s4, s2, 7
	s_cmp_gt_u32 s0, 13
	s_cselect_b64 s[0:1], -1, 0
	s_and_b32 s16, s2, -8
	s_cmp_lg_u32 s4, 0
	s_cselect_b64 s[2:3], -1, 0
	v_cndmask_b32_e64 v1, 0, 1, s[0:1]
	s_cmp_lg_u32 s14, s15
	v_cmp_ne_u32_e64 s[0:1], 1, v1
	v_cndmask_b32_e64 v1, 0, 1, s[2:3]
	s_mov_b32 s7, 0
	s_cselect_b64 s[10:11], -1, 0
	s_lshl_b32 s17, s4, 3
	s_mov_b64 s[12:13], 0
	v_cmp_ne_u32_e64 s[2:3], 1, v1
	v_mov_b32_e32 v1, s49
	v_mov_b32_e32 v6, s51
	s_branch .LBB13_84
.LBB13_83:                              ;   in Loop: Header=BB13_84 Depth=1
	v_ashrrev_i32_e32 v5, 31, v4
	v_lshlrev_b64 v[4:5], 2, v[4:5]
	v_add_co_u32_e32 v8, vcc, s48, v4
	v_addc_co_u32_e32 v9, vcc, v1, v5, vcc
	v_add_co_u32_e32 v4, vcc, s50, v4
	v_addc_co_u32_e32 v5, vcc, v6, v5, vcc
	v_add_u32_e32 v0, 0x400, v0
	v_cmp_le_i32_e32 vcc, s14, v0
	s_waitcnt lgkmcnt(0)
	v_add_u32_e32 v2, s46, v2
	s_or_b64 s[12:13], vcc, s[12:13]
	global_store_dword v[8:9], v2, off
	global_store_dword v[4:5], v3, off
	s_andn2_b64 exec, exec, s[12:13]
	s_cbranch_execz .LBB13_96
.LBB13_84:                              ; =>This Loop Header: Depth=1
                                        ;     Child Loop BB13_87 Depth 2
                                        ;     Child Loop BB13_92 Depth 2
                                        ;     Child Loop BB13_95 Depth 2
	v_lshl_add_u32 v2, v0, 2, 0
	ds_read2st64_b32 v[2:3], v2 offset1:32
	s_and_b64 vcc, exec, s[8:9]
	s_cbranch_vccz .LBB13_89
; %bb.85:                               ;   in Loop: Header=BB13_84 Depth=1
	s_and_b64 vcc, exec, s[0:1]
	s_cbranch_vccnz .LBB13_90
; %bb.86:                               ;   in Loop: Header=BB13_84 Depth=1
	s_mov_b32 s19, 0
	v_mov_b32_e32 v4, s6
	v_mov_b32_e32 v5, 0
	s_mov_b32 s20, s16
	s_mov_b32 s18, 0
.LBB13_87:                              ;   Parent Loop BB13_84 Depth=1
                                        ; =>  This Inner Loop Header: Depth=2
	v_mov_b32_e32 v7, s19
	ds_read2_b32 v[8:9], v7 offset1:1
	ds_read2_b32 v[10:11], v7 offset0:2 offset1:3
	ds_read2_b32 v[12:13], v7 offset0:4 offset1:5
	;; [unrolled: 1-line block ×7, first 2 shown]
	s_waitcnt lgkmcnt(7)
	v_cmp_gt_i32_e32 vcc, v2, v9
	s_waitcnt lgkmcnt(5)
	v_cmp_gt_i32_e64 s[4:5], v2, v12
	v_cndmask_b32_e64 v7, 0, 1, vcc
	v_cmp_gt_i32_e32 vcc, v2, v8
	v_cndmask_b32_e64 v9, 0, 1, s[4:5]
	v_cmp_gt_i32_e64 s[4:5], v2, v13
	v_cndmask_b32_e64 v8, 0, 1, vcc
	v_cmp_gt_i32_e32 vcc, v2, v11
	v_cndmask_b32_e64 v11, 0, 1, s[4:5]
	s_waitcnt lgkmcnt(3)
	v_cmp_gt_i32_e64 s[4:5], v2, v17
	v_cndmask_b32_e64 v12, 0, 1, s[4:5]
	v_cmp_gt_i32_e64 s[4:5], v2, v16
	v_cndmask_b32_e64 v13, 0, 1, s[4:5]
	s_waitcnt lgkmcnt(1)
	v_cmp_gt_i32_e64 s[4:5], v2, v20
	v_cndmask_b32_e64 v16, 0, 1, s[4:5]
	v_cmp_gt_i32_e64 s[4:5], v2, v21
	v_cndmask_b32_e64 v17, 0, 1, s[4:5]
	v_cmp_gt_i32_e64 s[4:5], v2, v10
	v_addc_co_u32_e64 v4, s[4:5], v4, v8, s[4:5]
	v_addc_co_u32_e32 v5, vcc, v5, v7, vcc
	v_cmp_gt_i32_e32 vcc, v2, v14
	v_cmp_gt_i32_e64 s[4:5], v2, v15
	v_addc_co_u32_e64 v5, s[4:5], v5, v11, s[4:5]
	v_addc_co_u32_e32 v4, vcc, v4, v9, vcc
	v_cmp_gt_i32_e32 vcc, v2, v19
	v_cmp_gt_i32_e64 s[4:5], v2, v18
	v_addc_co_u32_e64 v4, s[4:5], v4, v13, s[4:5]
	v_addc_co_u32_e32 v5, vcc, v5, v12, vcc
	s_add_i32 s18, s18, 16
	s_add_i32 s19, s19, 64
	s_add_i32 s20, s20, -8
	s_waitcnt lgkmcnt(0)
	v_cmp_gt_i32_e32 vcc, v2, v22
	v_cmp_gt_i32_e64 s[4:5], v2, v23
	s_cmp_lg_u32 s20, 0
	v_addc_co_u32_e64 v5, s[4:5], v5, v17, s[4:5]
	v_addc_co_u32_e32 v4, vcc, v4, v16, vcc
	s_cbranch_scc1 .LBB13_87
; %bb.88:                               ;   in Loop: Header=BB13_84 Depth=1
	s_and_b64 vcc, exec, s[2:3]
	s_cbranch_vccz .LBB13_91
	s_branch .LBB13_93
.LBB13_89:                              ;   in Loop: Header=BB13_84 Depth=1
	v_mov_b32_e32 v4, s6
	s_mov_b32 s18, 0
	s_cbranch_execz .LBB13_83
	s_branch .LBB13_94
.LBB13_90:                              ;   in Loop: Header=BB13_84 Depth=1
	v_pk_mov_b32 v[4:5], s[6:7], s[6:7] op_sel:[0,1]
	s_mov_b32 s18, 0
	s_and_b64 vcc, exec, s[2:3]
	s_cbranch_vccnz .LBB13_93
.LBB13_91:                              ;   in Loop: Header=BB13_84 Depth=1
	s_lshl_b32 s4, s18, 2
	s_add_i32 s4, s4, 0
	s_mov_b32 s5, s17
.LBB13_92:                              ;   Parent Loop BB13_84 Depth=1
                                        ; =>  This Inner Loop Header: Depth=2
	v_mov_b32_e32 v7, s4
	ds_read2_b32 v[8:9], v7 offset1:1
	s_add_i32 s4, s4, 8
	s_add_i32 s5, s5, -8
	s_cmp_lg_u32 s5, 0
	s_waitcnt lgkmcnt(0)
	v_cmp_gt_i32_e32 vcc, v2, v9
	v_addc_co_u32_e32 v5, vcc, 0, v5, vcc
	v_cmp_gt_i32_e32 vcc, v2, v8
	v_addc_co_u32_e32 v4, vcc, 0, v4, vcc
	s_cbranch_scc1 .LBB13_92
.LBB13_93:                              ;   in Loop: Header=BB13_84 Depth=1
	v_add_u32_e32 v4, v4, v5
	s_mov_b32 s18, s15
	s_mov_b64 s[4:5], s[10:11]
	s_and_b64 vcc, exec, s[4:5]
	s_cbranch_vccz .LBB13_83
.LBB13_94:                              ;   in Loop: Header=BB13_84 Depth=1
	s_lshl_b32 s4, s18, 2
	s_add_i32 s4, s4, 0
.LBB13_95:                              ;   Parent Loop BB13_84 Depth=1
                                        ; =>  This Inner Loop Header: Depth=2
	v_mov_b32_e32 v5, s4
	ds_read_b32 v5, v5
	s_add_i32 s18, s18, 1
	s_add_i32 s4, s4, 4
	s_cmp_ge_i32 s18, s14
	s_waitcnt lgkmcnt(0)
	v_cmp_gt_i32_e32 vcc, v2, v5
	v_addc_co_u32_e32 v4, vcc, 0, v4, vcc
	s_cbranch_scc0 .LBB13_95
	s_branch .LBB13_83
.LBB13_96:
	s_endpgm
	.section	.rodata,"a",@progbits
	.p2align	6, 0x0
	.amdhsa_kernel _ZN9rocsparseL26csrgemm_fill_block_per_rowILj1024ELj32ELj2048ELj137ELj64EiifEEvT5_PKS1_S3_NS_24const_host_device_scalarIT6_EEPKT4_S3_PKS5_S9_S3_SB_S6_S9_S3_SB_S9_PS1_PS5_21rocsparse_index_base_SE_SE_SE_bbb
		.amdhsa_group_segment_fixed_size 0
		.amdhsa_private_segment_fixed_size 0
		.amdhsa_kernarg_size 156
		.amdhsa_user_sgpr_count 6
		.amdhsa_user_sgpr_private_segment_buffer 1
		.amdhsa_user_sgpr_dispatch_ptr 0
		.amdhsa_user_sgpr_queue_ptr 0
		.amdhsa_user_sgpr_kernarg_segment_ptr 1
		.amdhsa_user_sgpr_dispatch_id 0
		.amdhsa_user_sgpr_flat_scratch_init 0
		.amdhsa_user_sgpr_kernarg_preload_length 0
		.amdhsa_user_sgpr_kernarg_preload_offset 0
		.amdhsa_user_sgpr_private_segment_size 0
		.amdhsa_uses_dynamic_stack 0
		.amdhsa_system_sgpr_private_segment_wavefront_offset 0
		.amdhsa_system_sgpr_workgroup_id_x 1
		.amdhsa_system_sgpr_workgroup_id_y 0
		.amdhsa_system_sgpr_workgroup_id_z 0
		.amdhsa_system_sgpr_workgroup_info 0
		.amdhsa_system_vgpr_workitem_id 0
		.amdhsa_next_free_vgpr 24
		.amdhsa_next_free_sgpr 52
		.amdhsa_accum_offset 24
		.amdhsa_reserve_vcc 1
		.amdhsa_reserve_flat_scratch 0
		.amdhsa_float_round_mode_32 0
		.amdhsa_float_round_mode_16_64 0
		.amdhsa_float_denorm_mode_32 3
		.amdhsa_float_denorm_mode_16_64 3
		.amdhsa_dx10_clamp 1
		.amdhsa_ieee_mode 1
		.amdhsa_fp16_overflow 0
		.amdhsa_tg_split 0
		.amdhsa_exception_fp_ieee_invalid_op 0
		.amdhsa_exception_fp_denorm_src 0
		.amdhsa_exception_fp_ieee_div_zero 0
		.amdhsa_exception_fp_ieee_overflow 0
		.amdhsa_exception_fp_ieee_underflow 0
		.amdhsa_exception_fp_ieee_inexact 0
		.amdhsa_exception_int_div_zero 0
	.end_amdhsa_kernel
	.section	.text._ZN9rocsparseL26csrgemm_fill_block_per_rowILj1024ELj32ELj2048ELj137ELj64EiifEEvT5_PKS1_S3_NS_24const_host_device_scalarIT6_EEPKT4_S3_PKS5_S9_S3_SB_S6_S9_S3_SB_S9_PS1_PS5_21rocsparse_index_base_SE_SE_SE_bbb,"axG",@progbits,_ZN9rocsparseL26csrgemm_fill_block_per_rowILj1024ELj32ELj2048ELj137ELj64EiifEEvT5_PKS1_S3_NS_24const_host_device_scalarIT6_EEPKT4_S3_PKS5_S9_S3_SB_S6_S9_S3_SB_S9_PS1_PS5_21rocsparse_index_base_SE_SE_SE_bbb,comdat
.Lfunc_end13:
	.size	_ZN9rocsparseL26csrgemm_fill_block_per_rowILj1024ELj32ELj2048ELj137ELj64EiifEEvT5_PKS1_S3_NS_24const_host_device_scalarIT6_EEPKT4_S3_PKS5_S9_S3_SB_S6_S9_S3_SB_S9_PS1_PS5_21rocsparse_index_base_SE_SE_SE_bbb, .Lfunc_end13-_ZN9rocsparseL26csrgemm_fill_block_per_rowILj1024ELj32ELj2048ELj137ELj64EiifEEvT5_PKS1_S3_NS_24const_host_device_scalarIT6_EEPKT4_S3_PKS5_S9_S3_SB_S6_S9_S3_SB_S9_PS1_PS5_21rocsparse_index_base_SE_SE_SE_bbb
                                        ; -- End function
	.section	.AMDGPU.csdata,"",@progbits
; Kernel info:
; codeLenInByte = 3136
; NumSgprs: 56
; NumVgprs: 24
; NumAgprs: 0
; TotalNumVgprs: 24
; ScratchSize: 0
; MemoryBound: 0
; FloatMode: 240
; IeeeMode: 1
; LDSByteSize: 0 bytes/workgroup (compile time only)
; SGPRBlocks: 6
; VGPRBlocks: 2
; NumSGPRsForWavesPerEU: 56
; NumVGPRsForWavesPerEU: 24
; AccumOffset: 24
; Occupancy: 8
; WaveLimiterHint : 1
; COMPUTE_PGM_RSRC2:SCRATCH_EN: 0
; COMPUTE_PGM_RSRC2:USER_SGPR: 6
; COMPUTE_PGM_RSRC2:TRAP_HANDLER: 0
; COMPUTE_PGM_RSRC2:TGID_X_EN: 1
; COMPUTE_PGM_RSRC2:TGID_Y_EN: 0
; COMPUTE_PGM_RSRC2:TGID_Z_EN: 0
; COMPUTE_PGM_RSRC2:TIDIG_COMP_CNT: 0
; COMPUTE_PGM_RSRC3_GFX90A:ACCUM_OFFSET: 5
; COMPUTE_PGM_RSRC3_GFX90A:TG_SPLIT: 0
	.section	.text._ZN9rocsparseL26csrgemm_fill_block_per_rowILj1024ELj64ELj4096ELj137ELj32EiifEEvT5_PKS1_S3_NS_24const_host_device_scalarIT6_EEPKT4_S3_PKS5_S9_S3_SB_S6_S9_S3_SB_S9_PS1_PS5_21rocsparse_index_base_SE_SE_SE_bbb,"axG",@progbits,_ZN9rocsparseL26csrgemm_fill_block_per_rowILj1024ELj64ELj4096ELj137ELj32EiifEEvT5_PKS1_S3_NS_24const_host_device_scalarIT6_EEPKT4_S3_PKS5_S9_S3_SB_S6_S9_S3_SB_S9_PS1_PS5_21rocsparse_index_base_SE_SE_SE_bbb,comdat
	.globl	_ZN9rocsparseL26csrgemm_fill_block_per_rowILj1024ELj64ELj4096ELj137ELj32EiifEEvT5_PKS1_S3_NS_24const_host_device_scalarIT6_EEPKT4_S3_PKS5_S9_S3_SB_S6_S9_S3_SB_S9_PS1_PS5_21rocsparse_index_base_SE_SE_SE_bbb ; -- Begin function _ZN9rocsparseL26csrgemm_fill_block_per_rowILj1024ELj64ELj4096ELj137ELj32EiifEEvT5_PKS1_S3_NS_24const_host_device_scalarIT6_EEPKT4_S3_PKS5_S9_S3_SB_S6_S9_S3_SB_S9_PS1_PS5_21rocsparse_index_base_SE_SE_SE_bbb
	.p2align	8
	.type	_ZN9rocsparseL26csrgemm_fill_block_per_rowILj1024ELj64ELj4096ELj137ELj32EiifEEvT5_PKS1_S3_NS_24const_host_device_scalarIT6_EEPKT4_S3_PKS5_S9_S3_SB_S6_S9_S3_SB_S9_PS1_PS5_21rocsparse_index_base_SE_SE_SE_bbb,@function
_ZN9rocsparseL26csrgemm_fill_block_per_rowILj1024ELj64ELj4096ELj137ELj32EiifEEvT5_PKS1_S3_NS_24const_host_device_scalarIT6_EEPKT4_S3_PKS5_S9_S3_SB_S6_S9_S3_SB_S9_PS1_PS5_21rocsparse_index_base_SE_SE_SE_bbb: ; @_ZN9rocsparseL26csrgemm_fill_block_per_rowILj1024ELj64ELj4096ELj137ELj32EiifEEvT5_PKS1_S3_NS_24const_host_device_scalarIT6_EEPKT4_S3_PKS5_S9_S3_SB_S6_S9_S3_SB_S9_PS1_PS5_21rocsparse_index_base_SE_SE_SE_bbb
; %bb.0:
	s_load_dword s7, s[4:5], 0x98
	s_load_dwordx4 s[68:71], s[4:5], 0x88
	s_load_dwordx2 s[0:1], s[4:5], 0x18
	s_load_dwordx2 s[24:25], s[4:5], 0x50
	s_waitcnt lgkmcnt(0)
	s_bitcmp1_b32 s7, 0
	s_cselect_b64 s[2:3], -1, 0
	s_bitcmp1_b32 s7, 16
	s_cselect_b64 s[26:27], -1, 0
	s_xor_b64 s[8:9], s[2:3], -1
	s_or_b64 s[8:9], s[8:9], s[26:27]
	s_and_b64 vcc, exec, s[8:9]
	s_cbranch_vccnz .LBB14_2
; %bb.1:
	s_load_dword s0, s[0:1], 0x0
	s_waitcnt lgkmcnt(0)
	v_mov_b32_e32 v10, s0
	s_branch .LBB14_3
.LBB14_2:
	v_mov_b32_e32 v1, s0
	v_cndmask_b32_e64 v10, 0, v1, s[2:3]
.LBB14_3:
	s_load_dwordx4 s[72:75], s[4:5], 0x78
	s_load_dwordx8 s[60:67], s[4:5], 0x58
	s_load_dwordx4 s[16:19], s[4:5], 0x40
	s_load_dwordx4 s[20:23], s[4:5], 0x8
	s_load_dwordx8 s[8:15], s[4:5], 0x20
	s_bitcmp1_b32 s7, 8
	s_cselect_b64 s[0:1], -1, 0
	s_xor_b64 s[28:29], s[0:1], -1
	s_or_b64 s[26:27], s[28:29], s[26:27]
	s_and_b64 vcc, exec, s[26:27]
	s_cbranch_vccnz .LBB14_5
; %bb.4:
	s_load_dword s7, s[24:25], 0x0
	s_waitcnt lgkmcnt(0)
	v_mov_b32_e32 v9, s7
	s_branch .LBB14_6
.LBB14_5:
	v_mov_b32_e32 v1, s24
	v_cndmask_b32_e64 v9, 0, v1, s[0:1]
.LBB14_6:
	s_load_dword s33, s[4:5], 0x0
	v_or_b32_e32 v1, 0xfffffc00, v0
	v_lshl_add_u32 v8, v0, 2, 0
	s_mov_b64 s[4:5], 0
	v_mov_b32_e32 v2, 0
	s_waitcnt lgkmcnt(0)
	v_mov_b32_e32 v3, s33
	s_movk_i32 s7, 0xbff
	v_mov_b32_e32 v4, v8
	v_mov_b32_e32 v5, v1
.LBB14_7:                               ; =>This Inner Loop Header: Depth=1
	v_add_u32_e32 v5, 0x400, v5
	v_cmp_lt_u32_e32 vcc, s7, v5
	ds_write2st64_b32 v4, v3, v2 offset1:64
	s_or_b64 s[4:5], vcc, s[4:5]
	v_add_u32_e32 v4, 0x1000, v4
	s_andn2_b64 exec, exec, s[4:5]
	s_cbranch_execnz .LBB14_7
; %bb.8:
	s_or_b64 exec, exec, s[4:5]
	s_waitcnt lgkmcnt(0)
	s_barrier
	s_load_dword s4, s[20:21], 0x0
	s_mov_b32 s5, 0
	s_waitcnt lgkmcnt(0)
	s_add_i32 s4, s4, s6
	s_lshl_b64 s[4:5], s[4:5], 2
	s_add_u32 s4, s22, s4
	s_addc_u32 s5, s23, s5
	s_load_dword s76, s[4:5], 0x0
	s_and_b64 vcc, exec, s[2:3]
	s_cbranch_vccz .LBB14_28
; %bb.9:
	s_waitcnt lgkmcnt(0)
	s_ashr_i32 s77, s76, 31
	s_lshl_b64 s[2:3], s[76:77], 2
	s_add_u32 s2, s8, s2
	s_addc_u32 s3, s9, s3
	s_load_dwordx2 s[2:3], s[2:3], 0x0
	v_lshrrev_b32_e32 v2, 6, v0
	v_subrev_u32_e32 v2, s68, v2
	s_waitcnt lgkmcnt(0)
	s_sub_i32 s34, s3, s68
	v_add_u32_e32 v2, s2, v2
	v_cmp_gt_i32_e32 vcc, s34, v2
	s_and_saveexec_b64 s[2:3], vcc
	s_cbranch_execz .LBB14_27
; %bb.10:
	v_and_b32_e32 v3, 63, v0
	v_subrev_u32_e32 v11, s69, v3
	s_mov_b64 s[4:5], 0
	v_mov_b32_e32 v12, s11
	v_mov_b32_e32 v13, s15
	s_movk_i32 s11, 0x89
	s_branch .LBB14_12
.LBB14_11:                              ;   in Loop: Header=BB14_12 Depth=1
	s_or_b64 exec, exec, s[6:7]
	v_add_u32_e32 v2, 16, v2
	v_cmp_le_i32_e32 vcc, s34, v2
	s_or_b64 s[4:5], vcc, s[4:5]
	s_andn2_b64 exec, exec, s[4:5]
	s_cbranch_execz .LBB14_27
.LBB14_12:                              ; =>This Loop Header: Depth=1
                                        ;     Child Loop BB14_15 Depth 2
                                        ;       Child Loop BB14_17 Depth 3
	v_ashrrev_i32_e32 v3, 31, v2
	v_lshlrev_b64 v[6:7], 2, v[2:3]
	v_add_co_u32_e32 v4, vcc, s10, v6
	v_addc_co_u32_e32 v5, vcc, v12, v7, vcc
	global_load_dword v3, v[4:5], off
	s_waitcnt vmcnt(0)
	v_subrev_u32_e32 v4, s68, v3
	v_ashrrev_i32_e32 v5, 31, v4
	v_lshlrev_b64 v[4:5], 2, v[4:5]
	v_add_co_u32_e32 v4, vcc, s14, v4
	v_addc_co_u32_e32 v5, vcc, v13, v5, vcc
	global_load_dwordx2 v[4:5], v[4:5], off
	s_waitcnt vmcnt(0)
	v_subrev_u32_e32 v3, s69, v5
	v_add_u32_e32 v4, v4, v11
	v_cmp_lt_i32_e32 vcc, v4, v3
	s_and_saveexec_b64 s[6:7], vcc
	s_cbranch_execz .LBB14_11
; %bb.13:                               ;   in Loop: Header=BB14_12 Depth=1
	v_mov_b32_e32 v5, s13
	v_add_co_u32_e32 v6, vcc, s12, v6
	v_addc_co_u32_e32 v7, vcc, v5, v7, vcc
	global_load_dword v5, v[6:7], off
	s_mov_b64 s[8:9], 0
	s_waitcnt vmcnt(0)
	v_mul_f32_e32 v6, v10, v5
	s_branch .LBB14_15
.LBB14_14:                              ;   in Loop: Header=BB14_15 Depth=2
	s_or_b64 exec, exec, s[20:21]
	v_add_u32_e32 v4, 64, v4
	v_cmp_ge_i32_e32 vcc, v4, v3
	s_or_b64 s[8:9], vcc, s[8:9]
	s_andn2_b64 exec, exec, s[8:9]
	s_cbranch_execz .LBB14_11
.LBB14_15:                              ;   Parent Loop BB14_12 Depth=1
                                        ; =>  This Loop Header: Depth=2
                                        ;       Child Loop BB14_17 Depth 3
	v_ashrrev_i32_e32 v5, 31, v4
	v_lshlrev_b64 v[14:15], 2, v[4:5]
	v_mov_b32_e32 v5, s17
	v_add_co_u32_e32 v16, vcc, s16, v14
	v_addc_co_u32_e32 v17, vcc, v5, v15, vcc
	global_load_dword v5, v[16:17], off
	v_mov_b32_e32 v7, s19
	v_add_co_u32_e32 v14, vcc, s18, v14
	v_addc_co_u32_e32 v15, vcc, v7, v15, vcc
	global_load_dword v7, v[14:15], off
	s_mov_b64 s[20:21], 0
	s_waitcnt vmcnt(1)
	v_subrev_u32_e32 v5, s69, v5
	v_mul_lo_u32 v14, v5, s11
	v_and_b32_e32 v14, 0xfff, v14
	s_waitcnt vmcnt(0)
	v_mul_f32_e32 v7, v6, v7
	s_branch .LBB14_17
.LBB14_16:                              ;   in Loop: Header=BB14_17 Depth=3
	s_or_b64 exec, exec, s[22:23]
	s_xor_b64 s[22:23], s[24:25], -1
	s_and_b64 s[22:23], exec, s[22:23]
	s_or_b64 s[20:21], s[22:23], s[20:21]
	s_andn2_b64 exec, exec, s[20:21]
	s_cbranch_execz .LBB14_14
.LBB14_17:                              ;   Parent Loop BB14_12 Depth=1
                                        ;     Parent Loop BB14_15 Depth=2
                                        ; =>    This Inner Loop Header: Depth=3
	v_lshl_add_u32 v15, v14, 2, 0
	ds_read_b32 v16, v15
                                        ; implicit-def: $sgpr24_sgpr25
	s_waitcnt lgkmcnt(0)
	v_cmp_ne_u32_e32 vcc, v16, v5
	s_and_saveexec_b64 s[22:23], vcc
	s_xor_b64 s[22:23], exec, s[22:23]
	s_cbranch_execz .LBB14_25
; %bb.18:                               ;   in Loop: Header=BB14_17 Depth=3
	v_cmp_ne_u32_e32 vcc, s33, v16
                                        ; implicit-def: $sgpr24_sgpr25
	s_and_saveexec_b64 s[26:27], vcc
	s_xor_b64 s[26:27], exec, s[26:27]
; %bb.19:                               ;   in Loop: Header=BB14_17 Depth=3
	v_add_u32_e32 v14, 1, v14
	v_and_b32_e32 v14, 0xfff, v14
	s_mov_b64 s[24:25], -1
                                        ; implicit-def: $vgpr15
; %bb.20:                               ;   in Loop: Header=BB14_17 Depth=3
	s_andn2_saveexec_b64 s[26:27], s[26:27]
	s_cbranch_execz .LBB14_24
; %bb.21:                               ;   in Loop: Header=BB14_17 Depth=3
	v_mov_b32_e32 v16, s33
	ds_cmpst_rtn_b32 v16, v15, v16, v5
	s_mov_b64 s[28:29], -1
	s_waitcnt lgkmcnt(0)
	v_cmp_eq_u32_e32 vcc, s33, v16
	s_and_saveexec_b64 s[30:31], vcc
	s_cbranch_execz .LBB14_23
; %bb.22:                               ;   in Loop: Header=BB14_17 Depth=3
	ds_add_f32 v15, v7 offset:16384
	s_xor_b64 s[28:29], exec, -1
.LBB14_23:                              ;   in Loop: Header=BB14_17 Depth=3
	s_or_b64 exec, exec, s[30:31]
	s_andn2_b64 s[24:25], s[24:25], exec
	s_and_b64 s[28:29], s[28:29], exec
	s_or_b64 s[24:25], s[24:25], s[28:29]
.LBB14_24:                              ;   in Loop: Header=BB14_17 Depth=3
	s_or_b64 exec, exec, s[26:27]
	s_and_b64 s[24:25], s[24:25], exec
                                        ; implicit-def: $vgpr15
.LBB14_25:                              ;   in Loop: Header=BB14_17 Depth=3
	s_andn2_saveexec_b64 s[22:23], s[22:23]
	s_cbranch_execz .LBB14_16
; %bb.26:                               ;   in Loop: Header=BB14_17 Depth=3
	ds_add_f32 v15, v7 offset:16384
	s_andn2_b64 s[24:25], s[24:25], exec
	s_branch .LBB14_16
.LBB14_27:
	s_or_b64 exec, exec, s[2:3]
.LBB14_28:
	s_andn2_b64 vcc, exec, s[0:1]
	s_cbranch_vccnz .LBB14_45
; %bb.29:
	s_waitcnt lgkmcnt(0)
	s_ashr_i32 s77, s76, 31
	s_lshl_b64 s[0:1], s[76:77], 2
	s_add_u32 s0, s60, s0
	s_addc_u32 s1, s61, s1
	s_load_dwordx2 s[0:1], s[0:1], 0x0
	v_subrev_u32_e32 v2, s71, v0
	s_waitcnt lgkmcnt(0)
	s_sub_i32 s16, s1, s71
	v_add_u32_e32 v2, s0, v2
	v_cmp_gt_i32_e32 vcc, s16, v2
	s_and_saveexec_b64 s[0:1], vcc
	s_cbranch_execz .LBB14_44
; %bb.30:
	s_mov_b64 s[2:3], 0
	v_mov_b32_e32 v4, s63
	v_mov_b32_e32 v5, s65
	s_movk_i32 s17, 0x89
	s_branch .LBB14_32
.LBB14_31:                              ;   in Loop: Header=BB14_32 Depth=1
	s_or_b64 exec, exec, s[4:5]
	v_add_u32_e32 v2, 0x400, v2
	v_cmp_le_i32_e32 vcc, s16, v2
	s_or_b64 s[2:3], vcc, s[2:3]
	s_andn2_b64 exec, exec, s[2:3]
	s_cbranch_execz .LBB14_44
.LBB14_32:                              ; =>This Loop Header: Depth=1
                                        ;     Child Loop BB14_34 Depth 2
	v_ashrrev_i32_e32 v3, 31, v2
	v_lshlrev_b64 v[6:7], 2, v[2:3]
	v_add_co_u32_e32 v10, vcc, s62, v6
	v_addc_co_u32_e32 v11, vcc, v4, v7, vcc
	global_load_dword v3, v[10:11], off
	v_add_co_u32_e32 v6, vcc, s64, v6
	v_addc_co_u32_e32 v7, vcc, v5, v7, vcc
	global_load_dword v6, v[6:7], off
	s_mov_b64 s[4:5], 0
	s_waitcnt vmcnt(1)
	v_subrev_u32_e32 v3, s71, v3
	v_mul_lo_u32 v7, v3, s17
	v_and_b32_e32 v7, 0xfff, v7
	s_waitcnt vmcnt(0)
	v_mul_f32_e32 v6, v9, v6
	s_branch .LBB14_34
.LBB14_33:                              ;   in Loop: Header=BB14_34 Depth=2
	s_or_b64 exec, exec, s[6:7]
	s_xor_b64 s[6:7], s[8:9], -1
	s_and_b64 s[6:7], exec, s[6:7]
	s_or_b64 s[4:5], s[6:7], s[4:5]
	s_andn2_b64 exec, exec, s[4:5]
	s_cbranch_execz .LBB14_31
.LBB14_34:                              ;   Parent Loop BB14_32 Depth=1
                                        ; =>  This Inner Loop Header: Depth=2
	v_lshl_add_u32 v10, v7, 2, 0
	ds_read_b32 v11, v10
                                        ; implicit-def: $sgpr8_sgpr9
	s_waitcnt lgkmcnt(0)
	v_cmp_ne_u32_e32 vcc, v11, v3
	s_and_saveexec_b64 s[6:7], vcc
	s_xor_b64 s[6:7], exec, s[6:7]
	s_cbranch_execz .LBB14_42
; %bb.35:                               ;   in Loop: Header=BB14_34 Depth=2
	v_cmp_ne_u32_e32 vcc, s33, v11
                                        ; implicit-def: $sgpr8_sgpr9
	s_and_saveexec_b64 s[10:11], vcc
	s_xor_b64 s[10:11], exec, s[10:11]
; %bb.36:                               ;   in Loop: Header=BB14_34 Depth=2
	v_add_u32_e32 v7, 1, v7
	v_and_b32_e32 v7, 0xfff, v7
	s_mov_b64 s[8:9], -1
                                        ; implicit-def: $vgpr10
; %bb.37:                               ;   in Loop: Header=BB14_34 Depth=2
	s_andn2_saveexec_b64 s[10:11], s[10:11]
	s_cbranch_execz .LBB14_41
; %bb.38:                               ;   in Loop: Header=BB14_34 Depth=2
	v_mov_b32_e32 v11, s33
	ds_cmpst_rtn_b32 v11, v10, v11, v3
	s_mov_b64 s[12:13], -1
	s_waitcnt lgkmcnt(0)
	v_cmp_eq_u32_e32 vcc, s33, v11
	s_and_saveexec_b64 s[14:15], vcc
	s_cbranch_execz .LBB14_40
; %bb.39:                               ;   in Loop: Header=BB14_34 Depth=2
	ds_add_f32 v10, v6 offset:16384
	s_xor_b64 s[12:13], exec, -1
.LBB14_40:                              ;   in Loop: Header=BB14_34 Depth=2
	s_or_b64 exec, exec, s[14:15]
	s_andn2_b64 s[8:9], s[8:9], exec
	s_and_b64 s[12:13], s[12:13], exec
	s_or_b64 s[8:9], s[8:9], s[12:13]
.LBB14_41:                              ;   in Loop: Header=BB14_34 Depth=2
	s_or_b64 exec, exec, s[10:11]
	s_and_b64 s[8:9], s[8:9], exec
                                        ; implicit-def: $vgpr10
.LBB14_42:                              ;   in Loop: Header=BB14_34 Depth=2
	s_andn2_saveexec_b64 s[6:7], s[6:7]
	s_cbranch_execz .LBB14_33
; %bb.43:                               ;   in Loop: Header=BB14_34 Depth=2
	ds_add_f32 v10, v6 offset:16384
	s_andn2_b64 s[8:9], s[8:9], exec
	s_branch .LBB14_33
.LBB14_44:
	s_or_b64 exec, exec, s[0:1]
.LBB14_45:
	v_mbcnt_lo_u32_b32 v2, -1, 0
	v_mbcnt_hi_u32_b32 v2, -1, v2
	v_lshrrev_b32_e32 v4, 3, v0
	v_sub_u32_e32 v2, 63, v2
	v_and_b32_e32 v4, 0x7c, v4
	s_movk_i32 s0, 0x3ff
	s_movk_i32 s4, 0x5f
	;; [unrolled: 1-line block ×30, first 2 shown]
	v_mov_b32_e32 v6, 0
	v_lshrrev_b64 v[2:3], v2, -1
	v_add_u32_e32 v7, 0, v4
	v_cmp_eq_u32_e32 vcc, s0, v0
	v_cmp_lt_u32_e64 s[0:1], 31, v0
	v_cmp_lt_u32_e64 s[2:3], 63, v0
	;; [unrolled: 1-line block ×31, first 2 shown]
	s_mov_b64 s[68:69], 0
	s_movk_i32 s71, 0xbff
	v_mov_b32_e32 v9, 0
	s_waitcnt lgkmcnt(0)
	s_barrier
	s_branch .LBB14_47
.LBB14_46:                              ;   in Loop: Header=BB14_47 Depth=1
	s_or_b64 exec, exec, s[64:65]
	s_waitcnt lgkmcnt(0)
	s_barrier
	ds_read_b32 v4, v6 offset:32892
	v_add_u32_e32 v1, 0x400, v1
	v_cmp_lt_u32_e64 s[64:65], s71, v1
	s_or_b64 s[68:69], s[64:65], s[68:69]
	v_add_u32_e32 v8, 0x1000, v8
	s_waitcnt lgkmcnt(0)
	v_add_u32_e32 v9, v4, v9
	s_andn2_b64 exec, exec, s[68:69]
	s_cbranch_execz .LBB14_113
.LBB14_47:                              ; =>This Inner Loop Header: Depth=1
	ds_read2st64_b32 v[4:5], v8 offset1:64
	s_waitcnt lgkmcnt(0)
	s_barrier
	v_cmp_gt_i32_e64 s[64:65], s33, v4
	v_and_b32_e32 v11, s64, v2
	s_bcnt1_i32_b64 s77, s[64:65]
	v_and_b32_e32 v10, s65, v3
	v_bcnt_u32_b32 v11, v11, 0
	v_bcnt_u32_b32 v10, v10, v11
	v_mov_b32_e32 v11, s77
	ds_write_b32 v7, v11 offset:32768
	s_waitcnt lgkmcnt(0)
	s_barrier
	s_and_saveexec_b64 s[78:79], s[0:1]
	s_cbranch_execnz .LBB14_80
; %bb.48:                               ;   in Loop: Header=BB14_47 Depth=1
	s_or_b64 exec, exec, s[78:79]
	s_and_saveexec_b64 s[78:79], s[2:3]
	s_cbranch_execnz .LBB14_81
.LBB14_49:                              ;   in Loop: Header=BB14_47 Depth=1
	s_or_b64 exec, exec, s[78:79]
	s_and_saveexec_b64 s[78:79], s[4:5]
	s_cbranch_execnz .LBB14_82
.LBB14_50:                              ;   in Loop: Header=BB14_47 Depth=1
	s_or_b64 exec, exec, s[78:79]
	s_and_saveexec_b64 s[78:79], s[6:7]
	s_cbranch_execnz .LBB14_83
.LBB14_51:                              ;   in Loop: Header=BB14_47 Depth=1
	s_or_b64 exec, exec, s[78:79]
	s_and_saveexec_b64 s[78:79], s[8:9]
	s_cbranch_execnz .LBB14_84
.LBB14_52:                              ;   in Loop: Header=BB14_47 Depth=1
	s_or_b64 exec, exec, s[78:79]
	s_and_saveexec_b64 s[78:79], s[10:11]
	s_cbranch_execnz .LBB14_85
.LBB14_53:                              ;   in Loop: Header=BB14_47 Depth=1
	s_or_b64 exec, exec, s[78:79]
	s_and_saveexec_b64 s[78:79], s[12:13]
	s_cbranch_execnz .LBB14_86
.LBB14_54:                              ;   in Loop: Header=BB14_47 Depth=1
	s_or_b64 exec, exec, s[78:79]
	s_and_saveexec_b64 s[78:79], s[14:15]
	s_cbranch_execnz .LBB14_87
.LBB14_55:                              ;   in Loop: Header=BB14_47 Depth=1
	s_or_b64 exec, exec, s[78:79]
	s_and_saveexec_b64 s[78:79], s[16:17]
	s_cbranch_execnz .LBB14_88
.LBB14_56:                              ;   in Loop: Header=BB14_47 Depth=1
	s_or_b64 exec, exec, s[78:79]
	s_and_saveexec_b64 s[78:79], s[18:19]
	s_cbranch_execnz .LBB14_89
.LBB14_57:                              ;   in Loop: Header=BB14_47 Depth=1
	s_or_b64 exec, exec, s[78:79]
	s_and_saveexec_b64 s[78:79], s[20:21]
	s_cbranch_execnz .LBB14_90
.LBB14_58:                              ;   in Loop: Header=BB14_47 Depth=1
	s_or_b64 exec, exec, s[78:79]
	s_and_saveexec_b64 s[78:79], s[22:23]
	s_cbranch_execnz .LBB14_91
.LBB14_59:                              ;   in Loop: Header=BB14_47 Depth=1
	s_or_b64 exec, exec, s[78:79]
	s_and_saveexec_b64 s[78:79], s[24:25]
	s_cbranch_execnz .LBB14_92
.LBB14_60:                              ;   in Loop: Header=BB14_47 Depth=1
	s_or_b64 exec, exec, s[78:79]
	s_and_saveexec_b64 s[78:79], s[26:27]
	s_cbranch_execnz .LBB14_93
.LBB14_61:                              ;   in Loop: Header=BB14_47 Depth=1
	s_or_b64 exec, exec, s[78:79]
	s_and_saveexec_b64 s[78:79], s[28:29]
	s_cbranch_execnz .LBB14_94
.LBB14_62:                              ;   in Loop: Header=BB14_47 Depth=1
	s_or_b64 exec, exec, s[78:79]
	s_and_saveexec_b64 s[78:79], s[30:31]
	s_cbranch_execnz .LBB14_95
.LBB14_63:                              ;   in Loop: Header=BB14_47 Depth=1
	s_or_b64 exec, exec, s[78:79]
	s_and_saveexec_b64 s[78:79], s[34:35]
	s_cbranch_execnz .LBB14_96
.LBB14_64:                              ;   in Loop: Header=BB14_47 Depth=1
	s_or_b64 exec, exec, s[78:79]
	s_and_saveexec_b64 s[78:79], s[36:37]
	s_cbranch_execnz .LBB14_97
.LBB14_65:                              ;   in Loop: Header=BB14_47 Depth=1
	s_or_b64 exec, exec, s[78:79]
	s_and_saveexec_b64 s[78:79], s[38:39]
	s_cbranch_execnz .LBB14_98
.LBB14_66:                              ;   in Loop: Header=BB14_47 Depth=1
	s_or_b64 exec, exec, s[78:79]
	s_and_saveexec_b64 s[78:79], s[40:41]
	s_cbranch_execnz .LBB14_99
.LBB14_67:                              ;   in Loop: Header=BB14_47 Depth=1
	s_or_b64 exec, exec, s[78:79]
	s_and_saveexec_b64 s[78:79], s[42:43]
	s_cbranch_execnz .LBB14_100
.LBB14_68:                              ;   in Loop: Header=BB14_47 Depth=1
	s_or_b64 exec, exec, s[78:79]
	s_and_saveexec_b64 s[78:79], s[44:45]
	s_cbranch_execnz .LBB14_101
.LBB14_69:                              ;   in Loop: Header=BB14_47 Depth=1
	s_or_b64 exec, exec, s[78:79]
	s_and_saveexec_b64 s[78:79], s[46:47]
	s_cbranch_execnz .LBB14_102
.LBB14_70:                              ;   in Loop: Header=BB14_47 Depth=1
	s_or_b64 exec, exec, s[78:79]
	s_and_saveexec_b64 s[78:79], s[48:49]
	s_cbranch_execnz .LBB14_103
.LBB14_71:                              ;   in Loop: Header=BB14_47 Depth=1
	s_or_b64 exec, exec, s[78:79]
	s_and_saveexec_b64 s[78:79], s[50:51]
	s_cbranch_execnz .LBB14_104
.LBB14_72:                              ;   in Loop: Header=BB14_47 Depth=1
	s_or_b64 exec, exec, s[78:79]
	s_and_saveexec_b64 s[78:79], s[52:53]
	s_cbranch_execnz .LBB14_105
.LBB14_73:                              ;   in Loop: Header=BB14_47 Depth=1
	s_or_b64 exec, exec, s[78:79]
	s_and_saveexec_b64 s[78:79], s[54:55]
	s_cbranch_execnz .LBB14_106
.LBB14_74:                              ;   in Loop: Header=BB14_47 Depth=1
	s_or_b64 exec, exec, s[78:79]
	s_and_saveexec_b64 s[78:79], s[56:57]
	s_cbranch_execnz .LBB14_107
.LBB14_75:                              ;   in Loop: Header=BB14_47 Depth=1
	s_or_b64 exec, exec, s[78:79]
	s_and_saveexec_b64 s[78:79], s[58:59]
	s_cbranch_execnz .LBB14_108
.LBB14_76:                              ;   in Loop: Header=BB14_47 Depth=1
	s_or_b64 exec, exec, s[78:79]
	s_and_saveexec_b64 s[78:79], s[60:61]
	s_cbranch_execnz .LBB14_109
.LBB14_77:                              ;   in Loop: Header=BB14_47 Depth=1
	s_or_b64 exec, exec, s[78:79]
	s_and_saveexec_b64 s[78:79], s[62:63]
	s_cbranch_execnz .LBB14_110
.LBB14_78:                              ;   in Loop: Header=BB14_47 Depth=1
	s_or_b64 exec, exec, s[78:79]
	s_and_saveexec_b64 s[78:79], s[64:65]
	s_cbranch_execnz .LBB14_111
.LBB14_79:                              ;   in Loop: Header=BB14_47 Depth=1
	s_or_b64 exec, exec, s[78:79]
	s_and_saveexec_b64 s[64:65], vcc
	s_cbranch_execz .LBB14_46
	s_branch .LBB14_112
.LBB14_80:                              ;   in Loop: Header=BB14_47 Depth=1
	ds_read_b32 v11, v6 offset:32768
	s_waitcnt lgkmcnt(0)
	v_add_u32_e32 v10, v11, v10
	s_or_b64 exec, exec, s[78:79]
	s_and_saveexec_b64 s[78:79], s[2:3]
	s_cbranch_execz .LBB14_49
.LBB14_81:                              ;   in Loop: Header=BB14_47 Depth=1
	ds_read_b32 v11, v6 offset:32772
	s_waitcnt lgkmcnt(0)
	v_add_u32_e32 v10, v11, v10
	s_or_b64 exec, exec, s[78:79]
	s_and_saveexec_b64 s[78:79], s[4:5]
	s_cbranch_execz .LBB14_50
.LBB14_82:                              ;   in Loop: Header=BB14_47 Depth=1
	ds_read_b32 v11, v6 offset:32776
	s_waitcnt lgkmcnt(0)
	v_add_u32_e32 v10, v11, v10
	s_or_b64 exec, exec, s[78:79]
	s_and_saveexec_b64 s[78:79], s[6:7]
	s_cbranch_execz .LBB14_51
.LBB14_83:                              ;   in Loop: Header=BB14_47 Depth=1
	ds_read_b32 v11, v6 offset:32780
	s_waitcnt lgkmcnt(0)
	v_add_u32_e32 v10, v11, v10
	s_or_b64 exec, exec, s[78:79]
	s_and_saveexec_b64 s[78:79], s[8:9]
	s_cbranch_execz .LBB14_52
.LBB14_84:                              ;   in Loop: Header=BB14_47 Depth=1
	ds_read_b32 v11, v6 offset:32784
	s_waitcnt lgkmcnt(0)
	v_add_u32_e32 v10, v11, v10
	s_or_b64 exec, exec, s[78:79]
	s_and_saveexec_b64 s[78:79], s[10:11]
	s_cbranch_execz .LBB14_53
.LBB14_85:                              ;   in Loop: Header=BB14_47 Depth=1
	ds_read_b32 v11, v6 offset:32788
	s_waitcnt lgkmcnt(0)
	v_add_u32_e32 v10, v11, v10
	s_or_b64 exec, exec, s[78:79]
	s_and_saveexec_b64 s[78:79], s[12:13]
	s_cbranch_execz .LBB14_54
.LBB14_86:                              ;   in Loop: Header=BB14_47 Depth=1
	ds_read_b32 v11, v6 offset:32792
	s_waitcnt lgkmcnt(0)
	v_add_u32_e32 v10, v11, v10
	s_or_b64 exec, exec, s[78:79]
	s_and_saveexec_b64 s[78:79], s[14:15]
	s_cbranch_execz .LBB14_55
.LBB14_87:                              ;   in Loop: Header=BB14_47 Depth=1
	ds_read_b32 v11, v6 offset:32796
	s_waitcnt lgkmcnt(0)
	v_add_u32_e32 v10, v11, v10
	s_or_b64 exec, exec, s[78:79]
	s_and_saveexec_b64 s[78:79], s[16:17]
	s_cbranch_execz .LBB14_56
.LBB14_88:                              ;   in Loop: Header=BB14_47 Depth=1
	ds_read_b32 v11, v6 offset:32800
	s_waitcnt lgkmcnt(0)
	v_add_u32_e32 v10, v11, v10
	s_or_b64 exec, exec, s[78:79]
	s_and_saveexec_b64 s[78:79], s[18:19]
	s_cbranch_execz .LBB14_57
.LBB14_89:                              ;   in Loop: Header=BB14_47 Depth=1
	ds_read_b32 v11, v6 offset:32804
	s_waitcnt lgkmcnt(0)
	v_add_u32_e32 v10, v11, v10
	s_or_b64 exec, exec, s[78:79]
	s_and_saveexec_b64 s[78:79], s[20:21]
	s_cbranch_execz .LBB14_58
.LBB14_90:                              ;   in Loop: Header=BB14_47 Depth=1
	ds_read_b32 v11, v6 offset:32808
	s_waitcnt lgkmcnt(0)
	v_add_u32_e32 v10, v11, v10
	s_or_b64 exec, exec, s[78:79]
	s_and_saveexec_b64 s[78:79], s[22:23]
	s_cbranch_execz .LBB14_59
.LBB14_91:                              ;   in Loop: Header=BB14_47 Depth=1
	ds_read_b32 v11, v6 offset:32812
	s_waitcnt lgkmcnt(0)
	v_add_u32_e32 v10, v11, v10
	s_or_b64 exec, exec, s[78:79]
	s_and_saveexec_b64 s[78:79], s[24:25]
	s_cbranch_execz .LBB14_60
.LBB14_92:                              ;   in Loop: Header=BB14_47 Depth=1
	ds_read_b32 v11, v6 offset:32816
	s_waitcnt lgkmcnt(0)
	v_add_u32_e32 v10, v11, v10
	s_or_b64 exec, exec, s[78:79]
	s_and_saveexec_b64 s[78:79], s[26:27]
	s_cbranch_execz .LBB14_61
.LBB14_93:                              ;   in Loop: Header=BB14_47 Depth=1
	ds_read_b32 v11, v6 offset:32820
	s_waitcnt lgkmcnt(0)
	v_add_u32_e32 v10, v11, v10
	s_or_b64 exec, exec, s[78:79]
	s_and_saveexec_b64 s[78:79], s[28:29]
	s_cbranch_execz .LBB14_62
.LBB14_94:                              ;   in Loop: Header=BB14_47 Depth=1
	ds_read_b32 v11, v6 offset:32824
	s_waitcnt lgkmcnt(0)
	v_add_u32_e32 v10, v11, v10
	s_or_b64 exec, exec, s[78:79]
	s_and_saveexec_b64 s[78:79], s[30:31]
	s_cbranch_execz .LBB14_63
.LBB14_95:                              ;   in Loop: Header=BB14_47 Depth=1
	ds_read_b32 v11, v6 offset:32828
	s_waitcnt lgkmcnt(0)
	v_add_u32_e32 v10, v11, v10
	s_or_b64 exec, exec, s[78:79]
	s_and_saveexec_b64 s[78:79], s[34:35]
	s_cbranch_execz .LBB14_64
.LBB14_96:                              ;   in Loop: Header=BB14_47 Depth=1
	ds_read_b32 v11, v6 offset:32832
	s_waitcnt lgkmcnt(0)
	v_add_u32_e32 v10, v11, v10
	s_or_b64 exec, exec, s[78:79]
	s_and_saveexec_b64 s[78:79], s[36:37]
	s_cbranch_execz .LBB14_65
.LBB14_97:                              ;   in Loop: Header=BB14_47 Depth=1
	ds_read_b32 v11, v6 offset:32836
	s_waitcnt lgkmcnt(0)
	v_add_u32_e32 v10, v11, v10
	s_or_b64 exec, exec, s[78:79]
	s_and_saveexec_b64 s[78:79], s[38:39]
	s_cbranch_execz .LBB14_66
.LBB14_98:                              ;   in Loop: Header=BB14_47 Depth=1
	ds_read_b32 v11, v6 offset:32840
	s_waitcnt lgkmcnt(0)
	v_add_u32_e32 v10, v11, v10
	s_or_b64 exec, exec, s[78:79]
	s_and_saveexec_b64 s[78:79], s[40:41]
	s_cbranch_execz .LBB14_67
.LBB14_99:                              ;   in Loop: Header=BB14_47 Depth=1
	ds_read_b32 v11, v6 offset:32844
	s_waitcnt lgkmcnt(0)
	v_add_u32_e32 v10, v11, v10
	s_or_b64 exec, exec, s[78:79]
	s_and_saveexec_b64 s[78:79], s[42:43]
	s_cbranch_execz .LBB14_68
.LBB14_100:                             ;   in Loop: Header=BB14_47 Depth=1
	ds_read_b32 v11, v6 offset:32848
	s_waitcnt lgkmcnt(0)
	v_add_u32_e32 v10, v11, v10
	s_or_b64 exec, exec, s[78:79]
	s_and_saveexec_b64 s[78:79], s[44:45]
	s_cbranch_execz .LBB14_69
.LBB14_101:                             ;   in Loop: Header=BB14_47 Depth=1
	ds_read_b32 v11, v6 offset:32852
	s_waitcnt lgkmcnt(0)
	v_add_u32_e32 v10, v11, v10
	s_or_b64 exec, exec, s[78:79]
	s_and_saveexec_b64 s[78:79], s[46:47]
	s_cbranch_execz .LBB14_70
.LBB14_102:                             ;   in Loop: Header=BB14_47 Depth=1
	ds_read_b32 v11, v6 offset:32856
	s_waitcnt lgkmcnt(0)
	v_add_u32_e32 v10, v11, v10
	s_or_b64 exec, exec, s[78:79]
	s_and_saveexec_b64 s[78:79], s[48:49]
	s_cbranch_execz .LBB14_71
.LBB14_103:                             ;   in Loop: Header=BB14_47 Depth=1
	ds_read_b32 v11, v6 offset:32860
	s_waitcnt lgkmcnt(0)
	v_add_u32_e32 v10, v11, v10
	s_or_b64 exec, exec, s[78:79]
	s_and_saveexec_b64 s[78:79], s[50:51]
	s_cbranch_execz .LBB14_72
.LBB14_104:                             ;   in Loop: Header=BB14_47 Depth=1
	ds_read_b32 v11, v6 offset:32864
	s_waitcnt lgkmcnt(0)
	v_add_u32_e32 v10, v11, v10
	s_or_b64 exec, exec, s[78:79]
	s_and_saveexec_b64 s[78:79], s[52:53]
	s_cbranch_execz .LBB14_73
.LBB14_105:                             ;   in Loop: Header=BB14_47 Depth=1
	ds_read_b32 v11, v6 offset:32868
	s_waitcnt lgkmcnt(0)
	v_add_u32_e32 v10, v11, v10
	s_or_b64 exec, exec, s[78:79]
	s_and_saveexec_b64 s[78:79], s[54:55]
	s_cbranch_execz .LBB14_74
.LBB14_106:                             ;   in Loop: Header=BB14_47 Depth=1
	ds_read_b32 v11, v6 offset:32872
	s_waitcnt lgkmcnt(0)
	v_add_u32_e32 v10, v11, v10
	s_or_b64 exec, exec, s[78:79]
	s_and_saveexec_b64 s[78:79], s[56:57]
	s_cbranch_execz .LBB14_75
.LBB14_107:                             ;   in Loop: Header=BB14_47 Depth=1
	ds_read_b32 v11, v6 offset:32876
	s_waitcnt lgkmcnt(0)
	v_add_u32_e32 v10, v11, v10
	s_or_b64 exec, exec, s[78:79]
	s_and_saveexec_b64 s[78:79], s[58:59]
	s_cbranch_execz .LBB14_76
.LBB14_108:                             ;   in Loop: Header=BB14_47 Depth=1
	ds_read_b32 v11, v6 offset:32880
	s_waitcnt lgkmcnt(0)
	v_add_u32_e32 v10, v11, v10
	s_or_b64 exec, exec, s[78:79]
	s_and_saveexec_b64 s[78:79], s[60:61]
	s_cbranch_execz .LBB14_77
.LBB14_109:                             ;   in Loop: Header=BB14_47 Depth=1
	ds_read_b32 v11, v6 offset:32884
	s_waitcnt lgkmcnt(0)
	v_add_u32_e32 v10, v11, v10
	s_or_b64 exec, exec, s[78:79]
	s_and_saveexec_b64 s[78:79], s[62:63]
	s_cbranch_execz .LBB14_78
.LBB14_110:                             ;   in Loop: Header=BB14_47 Depth=1
	ds_read_b32 v11, v6 offset:32888
	s_waitcnt lgkmcnt(0)
	v_add_u32_e32 v10, v11, v10
	s_or_b64 exec, exec, s[78:79]
	s_and_saveexec_b64 s[78:79], s[64:65]
	s_cbranch_execz .LBB14_79
.LBB14_111:                             ;   in Loop: Header=BB14_47 Depth=1
	v_add3_u32 v11, v9, -1, v10
	v_lshl_add_u32 v11, v11, 2, 0
	ds_write2st64_b32 v11, v4, v5 offset1:64
	s_or_b64 exec, exec, s[78:79]
	s_and_saveexec_b64 s[64:65], vcc
	s_cbranch_execz .LBB14_46
.LBB14_112:                             ;   in Loop: Header=BB14_47 Depth=1
	ds_write_b32 v6, v10 offset:32892
	s_branch .LBB14_46
.LBB14_113:
	s_or_b64 exec, exec, s[68:69]
	s_ashr_i32 s77, s76, 31
	s_lshl_b64 s[0:1], s[76:77], 2
	s_add_u32 s0, s66, s0
	s_addc_u32 s1, s67, s1
	s_load_dwordx2 s[0:1], s[0:1], 0x0
	s_waitcnt lgkmcnt(0)
	s_sub_i32 s14, s1, s0
	v_cmp_gt_i32_e32 vcc, s14, v0
	s_and_saveexec_b64 s[2:3], vcc
	s_cbranch_execz .LBB14_128
; %bb.114:
	s_sub_i32 s6, s0, s70
	s_add_i32 s0, s14, -2
	s_lshr_b32 s1, s0, 1
	s_add_i32 s2, s1, 1
	s_cmp_gt_u32 s14, 1
	s_cselect_b64 s[8:9], -1, 0
	s_and_b32 s15, s14, -2
	s_and_b32 s4, s2, 7
	s_cmp_gt_u32 s0, 13
	s_cselect_b64 s[0:1], -1, 0
	s_and_b32 s16, s2, -8
	s_cmp_lg_u32 s4, 0
	s_cselect_b64 s[2:3], -1, 0
	v_cndmask_b32_e64 v1, 0, 1, s[0:1]
	s_cmp_lg_u32 s14, s15
	v_cmp_ne_u32_e64 s[0:1], 1, v1
	v_cndmask_b32_e64 v1, 0, 1, s[2:3]
	s_mov_b32 s7, 0
	s_cselect_b64 s[10:11], -1, 0
	s_lshl_b32 s17, s4, 3
	s_mov_b64 s[12:13], 0
	v_cmp_ne_u32_e64 s[2:3], 1, v1
	v_mov_b32_e32 v1, s73
	v_mov_b32_e32 v6, s75
	s_branch .LBB14_116
.LBB14_115:                             ;   in Loop: Header=BB14_116 Depth=1
	v_ashrrev_i32_e32 v5, 31, v4
	v_lshlrev_b64 v[4:5], 2, v[4:5]
	v_add_co_u32_e32 v8, vcc, s72, v4
	v_addc_co_u32_e32 v9, vcc, v1, v5, vcc
	v_add_co_u32_e32 v4, vcc, s74, v4
	v_addc_co_u32_e32 v5, vcc, v6, v5, vcc
	v_add_u32_e32 v0, 0x400, v0
	v_cmp_le_i32_e32 vcc, s14, v0
	s_waitcnt lgkmcnt(0)
	v_add_u32_e32 v2, s70, v2
	s_or_b64 s[12:13], vcc, s[12:13]
	global_store_dword v[8:9], v2, off
	global_store_dword v[4:5], v3, off
	s_andn2_b64 exec, exec, s[12:13]
	s_cbranch_execz .LBB14_128
.LBB14_116:                             ; =>This Loop Header: Depth=1
                                        ;     Child Loop BB14_119 Depth 2
                                        ;     Child Loop BB14_124 Depth 2
	;; [unrolled: 1-line block ×3, first 2 shown]
	v_lshl_add_u32 v2, v0, 2, 0
	ds_read2st64_b32 v[2:3], v2 offset1:64
	s_and_b64 vcc, exec, s[8:9]
	s_cbranch_vccz .LBB14_121
; %bb.117:                              ;   in Loop: Header=BB14_116 Depth=1
	s_and_b64 vcc, exec, s[0:1]
	s_cbranch_vccnz .LBB14_122
; %bb.118:                              ;   in Loop: Header=BB14_116 Depth=1
	s_mov_b32 s19, 0
	v_mov_b32_e32 v4, s6
	v_mov_b32_e32 v5, 0
	s_mov_b32 s20, s16
	s_mov_b32 s18, 0
.LBB14_119:                             ;   Parent Loop BB14_116 Depth=1
                                        ; =>  This Inner Loop Header: Depth=2
	v_mov_b32_e32 v7, s19
	ds_read2_b32 v[8:9], v7 offset1:1
	ds_read2_b32 v[10:11], v7 offset0:2 offset1:3
	ds_read2_b32 v[12:13], v7 offset0:4 offset1:5
	;; [unrolled: 1-line block ×7, first 2 shown]
	s_waitcnt lgkmcnt(7)
	v_cmp_gt_i32_e32 vcc, v2, v9
	s_waitcnt lgkmcnt(5)
	v_cmp_gt_i32_e64 s[4:5], v2, v12
	v_cndmask_b32_e64 v7, 0, 1, vcc
	v_cmp_gt_i32_e32 vcc, v2, v8
	v_cndmask_b32_e64 v9, 0, 1, s[4:5]
	v_cmp_gt_i32_e64 s[4:5], v2, v13
	v_cndmask_b32_e64 v8, 0, 1, vcc
	v_cmp_gt_i32_e32 vcc, v2, v11
	v_cndmask_b32_e64 v11, 0, 1, s[4:5]
	s_waitcnt lgkmcnt(3)
	v_cmp_gt_i32_e64 s[4:5], v2, v17
	v_cndmask_b32_e64 v12, 0, 1, s[4:5]
	v_cmp_gt_i32_e64 s[4:5], v2, v16
	v_cndmask_b32_e64 v13, 0, 1, s[4:5]
	s_waitcnt lgkmcnt(1)
	v_cmp_gt_i32_e64 s[4:5], v2, v20
	v_cndmask_b32_e64 v16, 0, 1, s[4:5]
	v_cmp_gt_i32_e64 s[4:5], v2, v21
	v_cndmask_b32_e64 v17, 0, 1, s[4:5]
	v_cmp_gt_i32_e64 s[4:5], v2, v10
	v_addc_co_u32_e64 v4, s[4:5], v4, v8, s[4:5]
	v_addc_co_u32_e32 v5, vcc, v5, v7, vcc
	v_cmp_gt_i32_e32 vcc, v2, v14
	v_cmp_gt_i32_e64 s[4:5], v2, v15
	v_addc_co_u32_e64 v5, s[4:5], v5, v11, s[4:5]
	v_addc_co_u32_e32 v4, vcc, v4, v9, vcc
	v_cmp_gt_i32_e32 vcc, v2, v19
	v_cmp_gt_i32_e64 s[4:5], v2, v18
	v_addc_co_u32_e64 v4, s[4:5], v4, v13, s[4:5]
	v_addc_co_u32_e32 v5, vcc, v5, v12, vcc
	s_add_i32 s18, s18, 16
	s_add_i32 s19, s19, 64
	s_add_i32 s20, s20, -8
	s_waitcnt lgkmcnt(0)
	v_cmp_gt_i32_e32 vcc, v2, v22
	v_cmp_gt_i32_e64 s[4:5], v2, v23
	s_cmp_lg_u32 s20, 0
	v_addc_co_u32_e64 v5, s[4:5], v5, v17, s[4:5]
	v_addc_co_u32_e32 v4, vcc, v4, v16, vcc
	s_cbranch_scc1 .LBB14_119
; %bb.120:                              ;   in Loop: Header=BB14_116 Depth=1
	s_and_b64 vcc, exec, s[2:3]
	s_cbranch_vccz .LBB14_123
	s_branch .LBB14_125
.LBB14_121:                             ;   in Loop: Header=BB14_116 Depth=1
	v_mov_b32_e32 v4, s6
	s_mov_b32 s18, 0
	s_cbranch_execz .LBB14_115
	s_branch .LBB14_126
.LBB14_122:                             ;   in Loop: Header=BB14_116 Depth=1
	v_pk_mov_b32 v[4:5], s[6:7], s[6:7] op_sel:[0,1]
	s_mov_b32 s18, 0
	s_and_b64 vcc, exec, s[2:3]
	s_cbranch_vccnz .LBB14_125
.LBB14_123:                             ;   in Loop: Header=BB14_116 Depth=1
	s_lshl_b32 s4, s18, 2
	s_add_i32 s4, s4, 0
	s_mov_b32 s5, s17
.LBB14_124:                             ;   Parent Loop BB14_116 Depth=1
                                        ; =>  This Inner Loop Header: Depth=2
	v_mov_b32_e32 v7, s4
	ds_read2_b32 v[8:9], v7 offset1:1
	s_add_i32 s4, s4, 8
	s_add_i32 s5, s5, -8
	s_cmp_lg_u32 s5, 0
	s_waitcnt lgkmcnt(0)
	v_cmp_gt_i32_e32 vcc, v2, v9
	v_addc_co_u32_e32 v5, vcc, 0, v5, vcc
	v_cmp_gt_i32_e32 vcc, v2, v8
	v_addc_co_u32_e32 v4, vcc, 0, v4, vcc
	s_cbranch_scc1 .LBB14_124
.LBB14_125:                             ;   in Loop: Header=BB14_116 Depth=1
	v_add_u32_e32 v4, v4, v5
	s_mov_b32 s18, s15
	s_mov_b64 s[4:5], s[10:11]
	s_and_b64 vcc, exec, s[4:5]
	s_cbranch_vccz .LBB14_115
.LBB14_126:                             ;   in Loop: Header=BB14_116 Depth=1
	s_lshl_b32 s4, s18, 2
	s_add_i32 s4, s4, 0
.LBB14_127:                             ;   Parent Loop BB14_116 Depth=1
                                        ; =>  This Inner Loop Header: Depth=2
	v_mov_b32_e32 v5, s4
	ds_read_b32 v5, v5
	s_add_i32 s18, s18, 1
	s_add_i32 s4, s4, 4
	s_cmp_ge_i32 s18, s14
	s_waitcnt lgkmcnt(0)
	v_cmp_gt_i32_e32 vcc, v2, v5
	v_addc_co_u32_e32 v4, vcc, 0, v4, vcc
	s_cbranch_scc0 .LBB14_127
	s_branch .LBB14_115
.LBB14_128:
	s_endpgm
	.section	.rodata,"a",@progbits
	.p2align	6, 0x0
	.amdhsa_kernel _ZN9rocsparseL26csrgemm_fill_block_per_rowILj1024ELj64ELj4096ELj137ELj32EiifEEvT5_PKS1_S3_NS_24const_host_device_scalarIT6_EEPKT4_S3_PKS5_S9_S3_SB_S6_S9_S3_SB_S9_PS1_PS5_21rocsparse_index_base_SE_SE_SE_bbb
		.amdhsa_group_segment_fixed_size 0
		.amdhsa_private_segment_fixed_size 0
		.amdhsa_kernarg_size 156
		.amdhsa_user_sgpr_count 6
		.amdhsa_user_sgpr_private_segment_buffer 1
		.amdhsa_user_sgpr_dispatch_ptr 0
		.amdhsa_user_sgpr_queue_ptr 0
		.amdhsa_user_sgpr_kernarg_segment_ptr 1
		.amdhsa_user_sgpr_dispatch_id 0
		.amdhsa_user_sgpr_flat_scratch_init 0
		.amdhsa_user_sgpr_kernarg_preload_length 0
		.amdhsa_user_sgpr_kernarg_preload_offset 0
		.amdhsa_user_sgpr_private_segment_size 0
		.amdhsa_uses_dynamic_stack 0
		.amdhsa_system_sgpr_private_segment_wavefront_offset 0
		.amdhsa_system_sgpr_workgroup_id_x 1
		.amdhsa_system_sgpr_workgroup_id_y 0
		.amdhsa_system_sgpr_workgroup_id_z 0
		.amdhsa_system_sgpr_workgroup_info 0
		.amdhsa_system_vgpr_workitem_id 0
		.amdhsa_next_free_vgpr 24
		.amdhsa_next_free_sgpr 80
		.amdhsa_accum_offset 24
		.amdhsa_reserve_vcc 1
		.amdhsa_reserve_flat_scratch 0
		.amdhsa_float_round_mode_32 0
		.amdhsa_float_round_mode_16_64 0
		.amdhsa_float_denorm_mode_32 3
		.amdhsa_float_denorm_mode_16_64 3
		.amdhsa_dx10_clamp 1
		.amdhsa_ieee_mode 1
		.amdhsa_fp16_overflow 0
		.amdhsa_tg_split 0
		.amdhsa_exception_fp_ieee_invalid_op 0
		.amdhsa_exception_fp_denorm_src 0
		.amdhsa_exception_fp_ieee_div_zero 0
		.amdhsa_exception_fp_ieee_overflow 0
		.amdhsa_exception_fp_ieee_underflow 0
		.amdhsa_exception_fp_ieee_inexact 0
		.amdhsa_exception_int_div_zero 0
	.end_amdhsa_kernel
	.section	.text._ZN9rocsparseL26csrgemm_fill_block_per_rowILj1024ELj64ELj4096ELj137ELj32EiifEEvT5_PKS1_S3_NS_24const_host_device_scalarIT6_EEPKT4_S3_PKS5_S9_S3_SB_S6_S9_S3_SB_S9_PS1_PS5_21rocsparse_index_base_SE_SE_SE_bbb,"axG",@progbits,_ZN9rocsparseL26csrgemm_fill_block_per_rowILj1024ELj64ELj4096ELj137ELj32EiifEEvT5_PKS1_S3_NS_24const_host_device_scalarIT6_EEPKT4_S3_PKS5_S9_S3_SB_S6_S9_S3_SB_S9_PS1_PS5_21rocsparse_index_base_SE_SE_SE_bbb,comdat
.Lfunc_end14:
	.size	_ZN9rocsparseL26csrgemm_fill_block_per_rowILj1024ELj64ELj4096ELj137ELj32EiifEEvT5_PKS1_S3_NS_24const_host_device_scalarIT6_EEPKT4_S3_PKS5_S9_S3_SB_S6_S9_S3_SB_S9_PS1_PS5_21rocsparse_index_base_SE_SE_SE_bbb, .Lfunc_end14-_ZN9rocsparseL26csrgemm_fill_block_per_rowILj1024ELj64ELj4096ELj137ELj32EiifEEvT5_PKS1_S3_NS_24const_host_device_scalarIT6_EEPKT4_S3_PKS5_S9_S3_SB_S6_S9_S3_SB_S9_PS1_PS5_21rocsparse_index_base_SE_SE_SE_bbb
                                        ; -- End function
	.section	.AMDGPU.csdata,"",@progbits
; Kernel info:
; codeLenInByte = 3972
; NumSgprs: 84
; NumVgprs: 24
; NumAgprs: 0
; TotalNumVgprs: 24
; ScratchSize: 0
; MemoryBound: 0
; FloatMode: 240
; IeeeMode: 1
; LDSByteSize: 0 bytes/workgroup (compile time only)
; SGPRBlocks: 10
; VGPRBlocks: 2
; NumSGPRsForWavesPerEU: 84
; NumVGPRsForWavesPerEU: 24
; AccumOffset: 24
; Occupancy: 8
; WaveLimiterHint : 1
; COMPUTE_PGM_RSRC2:SCRATCH_EN: 0
; COMPUTE_PGM_RSRC2:USER_SGPR: 6
; COMPUTE_PGM_RSRC2:TRAP_HANDLER: 0
; COMPUTE_PGM_RSRC2:TGID_X_EN: 1
; COMPUTE_PGM_RSRC2:TGID_Y_EN: 0
; COMPUTE_PGM_RSRC2:TGID_Z_EN: 0
; COMPUTE_PGM_RSRC2:TIDIG_COMP_CNT: 0
; COMPUTE_PGM_RSRC3_GFX90A:ACCUM_OFFSET: 5
; COMPUTE_PGM_RSRC3_GFX90A:TG_SPLIT: 0
	.section	.text._ZN9rocsparseL26csrgemm_fill_block_per_rowILj1024ELj64ELj4096ELj137ELj64EiifEEvT5_PKS1_S3_NS_24const_host_device_scalarIT6_EEPKT4_S3_PKS5_S9_S3_SB_S6_S9_S3_SB_S9_PS1_PS5_21rocsparse_index_base_SE_SE_SE_bbb,"axG",@progbits,_ZN9rocsparseL26csrgemm_fill_block_per_rowILj1024ELj64ELj4096ELj137ELj64EiifEEvT5_PKS1_S3_NS_24const_host_device_scalarIT6_EEPKT4_S3_PKS5_S9_S3_SB_S6_S9_S3_SB_S9_PS1_PS5_21rocsparse_index_base_SE_SE_SE_bbb,comdat
	.globl	_ZN9rocsparseL26csrgemm_fill_block_per_rowILj1024ELj64ELj4096ELj137ELj64EiifEEvT5_PKS1_S3_NS_24const_host_device_scalarIT6_EEPKT4_S3_PKS5_S9_S3_SB_S6_S9_S3_SB_S9_PS1_PS5_21rocsparse_index_base_SE_SE_SE_bbb ; -- Begin function _ZN9rocsparseL26csrgemm_fill_block_per_rowILj1024ELj64ELj4096ELj137ELj64EiifEEvT5_PKS1_S3_NS_24const_host_device_scalarIT6_EEPKT4_S3_PKS5_S9_S3_SB_S6_S9_S3_SB_S9_PS1_PS5_21rocsparse_index_base_SE_SE_SE_bbb
	.p2align	8
	.type	_ZN9rocsparseL26csrgemm_fill_block_per_rowILj1024ELj64ELj4096ELj137ELj64EiifEEvT5_PKS1_S3_NS_24const_host_device_scalarIT6_EEPKT4_S3_PKS5_S9_S3_SB_S6_S9_S3_SB_S9_PS1_PS5_21rocsparse_index_base_SE_SE_SE_bbb,@function
_ZN9rocsparseL26csrgemm_fill_block_per_rowILj1024ELj64ELj4096ELj137ELj64EiifEEvT5_PKS1_S3_NS_24const_host_device_scalarIT6_EEPKT4_S3_PKS5_S9_S3_SB_S6_S9_S3_SB_S9_PS1_PS5_21rocsparse_index_base_SE_SE_SE_bbb: ; @_ZN9rocsparseL26csrgemm_fill_block_per_rowILj1024ELj64ELj4096ELj137ELj64EiifEEvT5_PKS1_S3_NS_24const_host_device_scalarIT6_EEPKT4_S3_PKS5_S9_S3_SB_S6_S9_S3_SB_S9_PS1_PS5_21rocsparse_index_base_SE_SE_SE_bbb
; %bb.0:
	s_load_dword s7, s[4:5], 0x98
	s_load_dwordx4 s[44:47], s[4:5], 0x88
	s_load_dwordx2 s[0:1], s[4:5], 0x18
	s_load_dwordx2 s[24:25], s[4:5], 0x50
	s_waitcnt lgkmcnt(0)
	s_bitcmp1_b32 s7, 0
	s_cselect_b64 s[2:3], -1, 0
	s_bitcmp1_b32 s7, 16
	s_cselect_b64 s[26:27], -1, 0
	s_xor_b64 s[8:9], s[2:3], -1
	s_or_b64 s[8:9], s[8:9], s[26:27]
	s_and_b64 vcc, exec, s[8:9]
	s_cbranch_vccnz .LBB15_2
; %bb.1:
	s_load_dword s0, s[0:1], 0x0
	s_waitcnt lgkmcnt(0)
	v_mov_b32_e32 v11, s0
	s_branch .LBB15_3
.LBB15_2:
	v_mov_b32_e32 v1, s0
	v_cndmask_b32_e64 v11, 0, v1, s[2:3]
.LBB15_3:
	s_load_dwordx4 s[48:51], s[4:5], 0x78
	s_load_dwordx8 s[36:43], s[4:5], 0x58
	s_load_dwordx4 s[16:19], s[4:5], 0x40
	s_load_dwordx4 s[20:23], s[4:5], 0x8
	s_load_dwordx8 s[8:15], s[4:5], 0x20
	s_bitcmp1_b32 s7, 8
	s_cselect_b64 s[0:1], -1, 0
	s_xor_b64 s[28:29], s[0:1], -1
	s_or_b64 s[26:27], s[28:29], s[26:27]
	s_and_b64 vcc, exec, s[26:27]
	s_cbranch_vccnz .LBB15_5
; %bb.4:
	s_load_dword s7, s[24:25], 0x0
	s_waitcnt lgkmcnt(0)
	v_mov_b32_e32 v9, s7
	s_branch .LBB15_6
.LBB15_5:
	v_mov_b32_e32 v1, s24
	v_cndmask_b32_e64 v9, 0, v1, s[0:1]
.LBB15_6:
	s_load_dword s33, s[4:5], 0x0
	v_or_b32_e32 v1, 0xfffffc00, v0
	v_lshl_add_u32 v8, v0, 2, 0
	s_mov_b64 s[4:5], 0
	v_mov_b32_e32 v2, 0
	s_waitcnt lgkmcnt(0)
	v_mov_b32_e32 v3, s33
	s_movk_i32 s7, 0xbff
	v_mov_b32_e32 v4, v8
	v_mov_b32_e32 v5, v1
.LBB15_7:                               ; =>This Inner Loop Header: Depth=1
	v_add_u32_e32 v5, 0x400, v5
	v_cmp_lt_u32_e32 vcc, s7, v5
	ds_write2st64_b32 v4, v3, v2 offset1:64
	s_or_b64 s[4:5], vcc, s[4:5]
	v_add_u32_e32 v4, 0x1000, v4
	s_andn2_b64 exec, exec, s[4:5]
	s_cbranch_execnz .LBB15_7
; %bb.8:
	s_or_b64 exec, exec, s[4:5]
	s_waitcnt lgkmcnt(0)
	s_barrier
	s_load_dword s4, s[20:21], 0x0
	s_mov_b32 s5, 0
	v_lshrrev_b32_e32 v10, 6, v0
	s_waitcnt lgkmcnt(0)
	s_add_i32 s4, s4, s6
	s_lshl_b64 s[4:5], s[4:5], 2
	s_add_u32 s4, s22, s4
	s_addc_u32 s5, s23, s5
	s_load_dword s34, s[4:5], 0x0
	s_and_b64 vcc, exec, s[2:3]
	s_cbranch_vccz .LBB15_28
; %bb.9:
	s_waitcnt lgkmcnt(0)
	s_ashr_i32 s35, s34, 31
	s_lshl_b64 s[2:3], s[34:35], 2
	s_add_u32 s2, s8, s2
	s_addc_u32 s3, s9, s3
	s_load_dwordx2 s[2:3], s[2:3], 0x0
	v_subrev_u32_e32 v2, s44, v10
	s_waitcnt lgkmcnt(0)
	s_sub_i32 s35, s3, s44
	v_add_u32_e32 v2, s2, v2
	v_cmp_gt_i32_e32 vcc, s35, v2
	s_and_saveexec_b64 s[2:3], vcc
	s_cbranch_execz .LBB15_27
; %bb.10:
	v_and_b32_e32 v3, 63, v0
	v_subrev_u32_e32 v12, s45, v3
	s_mov_b64 s[4:5], 0
	v_mov_b32_e32 v13, s11
	v_mov_b32_e32 v14, s15
	s_movk_i32 s11, 0x89
	s_branch .LBB15_12
.LBB15_11:                              ;   in Loop: Header=BB15_12 Depth=1
	s_or_b64 exec, exec, s[6:7]
	v_add_u32_e32 v2, 16, v2
	v_cmp_le_i32_e32 vcc, s35, v2
	s_or_b64 s[4:5], vcc, s[4:5]
	s_andn2_b64 exec, exec, s[4:5]
	s_cbranch_execz .LBB15_27
.LBB15_12:                              ; =>This Loop Header: Depth=1
                                        ;     Child Loop BB15_15 Depth 2
                                        ;       Child Loop BB15_17 Depth 3
	v_ashrrev_i32_e32 v3, 31, v2
	v_lshlrev_b64 v[6:7], 2, v[2:3]
	v_add_co_u32_e32 v4, vcc, s10, v6
	v_addc_co_u32_e32 v5, vcc, v13, v7, vcc
	global_load_dword v3, v[4:5], off
	s_waitcnt vmcnt(0)
	v_subrev_u32_e32 v4, s44, v3
	v_ashrrev_i32_e32 v5, 31, v4
	v_lshlrev_b64 v[4:5], 2, v[4:5]
	v_add_co_u32_e32 v4, vcc, s14, v4
	v_addc_co_u32_e32 v5, vcc, v14, v5, vcc
	global_load_dwordx2 v[4:5], v[4:5], off
	s_waitcnt vmcnt(0)
	v_subrev_u32_e32 v3, s45, v5
	v_add_u32_e32 v4, v4, v12
	v_cmp_lt_i32_e32 vcc, v4, v3
	s_and_saveexec_b64 s[6:7], vcc
	s_cbranch_execz .LBB15_11
; %bb.13:                               ;   in Loop: Header=BB15_12 Depth=1
	v_mov_b32_e32 v5, s13
	v_add_co_u32_e32 v6, vcc, s12, v6
	v_addc_co_u32_e32 v7, vcc, v5, v7, vcc
	global_load_dword v5, v[6:7], off
	s_mov_b64 s[8:9], 0
	s_waitcnt vmcnt(0)
	v_mul_f32_e32 v6, v11, v5
	s_branch .LBB15_15
.LBB15_14:                              ;   in Loop: Header=BB15_15 Depth=2
	s_or_b64 exec, exec, s[20:21]
	v_add_u32_e32 v4, 64, v4
	v_cmp_ge_i32_e32 vcc, v4, v3
	s_or_b64 s[8:9], vcc, s[8:9]
	s_andn2_b64 exec, exec, s[8:9]
	s_cbranch_execz .LBB15_11
.LBB15_15:                              ;   Parent Loop BB15_12 Depth=1
                                        ; =>  This Loop Header: Depth=2
                                        ;       Child Loop BB15_17 Depth 3
	v_ashrrev_i32_e32 v5, 31, v4
	v_lshlrev_b64 v[16:17], 2, v[4:5]
	v_mov_b32_e32 v5, s17
	v_add_co_u32_e32 v18, vcc, s16, v16
	v_addc_co_u32_e32 v19, vcc, v5, v17, vcc
	global_load_dword v5, v[18:19], off
	v_mov_b32_e32 v7, s19
	v_add_co_u32_e32 v16, vcc, s18, v16
	v_addc_co_u32_e32 v17, vcc, v7, v17, vcc
	global_load_dword v7, v[16:17], off
	s_mov_b64 s[20:21], 0
	s_waitcnt vmcnt(1)
	v_subrev_u32_e32 v5, s45, v5
	v_mul_lo_u32 v15, v5, s11
	v_and_b32_e32 v15, 0xfff, v15
	s_waitcnt vmcnt(0)
	v_mul_f32_e32 v7, v6, v7
	s_branch .LBB15_17
.LBB15_16:                              ;   in Loop: Header=BB15_17 Depth=3
	s_or_b64 exec, exec, s[22:23]
	s_xor_b64 s[22:23], s[24:25], -1
	s_and_b64 s[22:23], exec, s[22:23]
	s_or_b64 s[20:21], s[22:23], s[20:21]
	s_andn2_b64 exec, exec, s[20:21]
	s_cbranch_execz .LBB15_14
.LBB15_17:                              ;   Parent Loop BB15_12 Depth=1
                                        ;     Parent Loop BB15_15 Depth=2
                                        ; =>    This Inner Loop Header: Depth=3
	v_lshl_add_u32 v16, v15, 2, 0
	ds_read_b32 v17, v16
                                        ; implicit-def: $sgpr24_sgpr25
	s_waitcnt lgkmcnt(0)
	v_cmp_ne_u32_e32 vcc, v17, v5
	s_and_saveexec_b64 s[22:23], vcc
	s_xor_b64 s[22:23], exec, s[22:23]
	s_cbranch_execz .LBB15_25
; %bb.18:                               ;   in Loop: Header=BB15_17 Depth=3
	v_cmp_ne_u32_e32 vcc, s33, v17
                                        ; implicit-def: $sgpr24_sgpr25
	s_and_saveexec_b64 s[26:27], vcc
	s_xor_b64 s[26:27], exec, s[26:27]
; %bb.19:                               ;   in Loop: Header=BB15_17 Depth=3
	v_add_u32_e32 v15, 1, v15
	v_and_b32_e32 v15, 0xfff, v15
	s_mov_b64 s[24:25], -1
                                        ; implicit-def: $vgpr16
; %bb.20:                               ;   in Loop: Header=BB15_17 Depth=3
	s_andn2_saveexec_b64 s[26:27], s[26:27]
	s_cbranch_execz .LBB15_24
; %bb.21:                               ;   in Loop: Header=BB15_17 Depth=3
	v_mov_b32_e32 v17, s33
	ds_cmpst_rtn_b32 v17, v16, v17, v5
	s_mov_b64 s[28:29], -1
	s_waitcnt lgkmcnt(0)
	v_cmp_eq_u32_e32 vcc, s33, v17
	s_and_saveexec_b64 s[30:31], vcc
	s_cbranch_execz .LBB15_23
; %bb.22:                               ;   in Loop: Header=BB15_17 Depth=3
	ds_add_f32 v16, v7 offset:16384
	s_xor_b64 s[28:29], exec, -1
.LBB15_23:                              ;   in Loop: Header=BB15_17 Depth=3
	s_or_b64 exec, exec, s[30:31]
	s_andn2_b64 s[24:25], s[24:25], exec
	s_and_b64 s[28:29], s[28:29], exec
	s_or_b64 s[24:25], s[24:25], s[28:29]
.LBB15_24:                              ;   in Loop: Header=BB15_17 Depth=3
	s_or_b64 exec, exec, s[26:27]
	s_and_b64 s[24:25], s[24:25], exec
                                        ; implicit-def: $vgpr16
.LBB15_25:                              ;   in Loop: Header=BB15_17 Depth=3
	s_andn2_saveexec_b64 s[22:23], s[22:23]
	s_cbranch_execz .LBB15_16
; %bb.26:                               ;   in Loop: Header=BB15_17 Depth=3
	ds_add_f32 v16, v7 offset:16384
	s_andn2_b64 s[24:25], s[24:25], exec
	s_branch .LBB15_16
.LBB15_27:
	s_or_b64 exec, exec, s[2:3]
.LBB15_28:
	s_andn2_b64 vcc, exec, s[0:1]
	s_cbranch_vccnz .LBB15_45
; %bb.29:
	s_waitcnt lgkmcnt(0)
	s_ashr_i32 s35, s34, 31
	s_lshl_b64 s[0:1], s[34:35], 2
	s_add_u32 s0, s36, s0
	s_addc_u32 s1, s37, s1
	s_load_dwordx2 s[0:1], s[0:1], 0x0
	v_subrev_u32_e32 v2, s47, v0
	s_waitcnt lgkmcnt(0)
	s_sub_i32 s16, s1, s47
	v_add_u32_e32 v2, s0, v2
	v_cmp_gt_i32_e32 vcc, s16, v2
	s_and_saveexec_b64 s[0:1], vcc
	s_cbranch_execz .LBB15_44
; %bb.30:
	s_mov_b64 s[2:3], 0
	v_mov_b32_e32 v4, s39
	v_mov_b32_e32 v5, s41
	s_movk_i32 s17, 0x89
	s_branch .LBB15_32
.LBB15_31:                              ;   in Loop: Header=BB15_32 Depth=1
	s_or_b64 exec, exec, s[4:5]
	v_add_u32_e32 v2, 0x400, v2
	v_cmp_le_i32_e32 vcc, s16, v2
	s_or_b64 s[2:3], vcc, s[2:3]
	s_andn2_b64 exec, exec, s[2:3]
	s_cbranch_execz .LBB15_44
.LBB15_32:                              ; =>This Loop Header: Depth=1
                                        ;     Child Loop BB15_34 Depth 2
	v_ashrrev_i32_e32 v3, 31, v2
	v_lshlrev_b64 v[6:7], 2, v[2:3]
	v_add_co_u32_e32 v12, vcc, s38, v6
	v_addc_co_u32_e32 v13, vcc, v4, v7, vcc
	global_load_dword v3, v[12:13], off
	v_add_co_u32_e32 v6, vcc, s40, v6
	v_addc_co_u32_e32 v7, vcc, v5, v7, vcc
	global_load_dword v6, v[6:7], off
	s_mov_b64 s[4:5], 0
	s_waitcnt vmcnt(1)
	v_subrev_u32_e32 v3, s47, v3
	v_mul_lo_u32 v7, v3, s17
	v_and_b32_e32 v7, 0xfff, v7
	s_waitcnt vmcnt(0)
	v_mul_f32_e32 v6, v9, v6
	s_branch .LBB15_34
.LBB15_33:                              ;   in Loop: Header=BB15_34 Depth=2
	s_or_b64 exec, exec, s[6:7]
	s_xor_b64 s[6:7], s[8:9], -1
	s_and_b64 s[6:7], exec, s[6:7]
	s_or_b64 s[4:5], s[6:7], s[4:5]
	s_andn2_b64 exec, exec, s[4:5]
	s_cbranch_execz .LBB15_31
.LBB15_34:                              ;   Parent Loop BB15_32 Depth=1
                                        ; =>  This Inner Loop Header: Depth=2
	v_lshl_add_u32 v11, v7, 2, 0
	ds_read_b32 v12, v11
                                        ; implicit-def: $sgpr8_sgpr9
	s_waitcnt lgkmcnt(0)
	v_cmp_ne_u32_e32 vcc, v12, v3
	s_and_saveexec_b64 s[6:7], vcc
	s_xor_b64 s[6:7], exec, s[6:7]
	s_cbranch_execz .LBB15_42
; %bb.35:                               ;   in Loop: Header=BB15_34 Depth=2
	v_cmp_ne_u32_e32 vcc, s33, v12
                                        ; implicit-def: $sgpr8_sgpr9
	s_and_saveexec_b64 s[10:11], vcc
	s_xor_b64 s[10:11], exec, s[10:11]
; %bb.36:                               ;   in Loop: Header=BB15_34 Depth=2
	v_add_u32_e32 v7, 1, v7
	v_and_b32_e32 v7, 0xfff, v7
	s_mov_b64 s[8:9], -1
                                        ; implicit-def: $vgpr11
; %bb.37:                               ;   in Loop: Header=BB15_34 Depth=2
	s_andn2_saveexec_b64 s[10:11], s[10:11]
	s_cbranch_execz .LBB15_41
; %bb.38:                               ;   in Loop: Header=BB15_34 Depth=2
	v_mov_b32_e32 v12, s33
	ds_cmpst_rtn_b32 v12, v11, v12, v3
	s_mov_b64 s[12:13], -1
	s_waitcnt lgkmcnt(0)
	v_cmp_eq_u32_e32 vcc, s33, v12
	s_and_saveexec_b64 s[14:15], vcc
	s_cbranch_execz .LBB15_40
; %bb.39:                               ;   in Loop: Header=BB15_34 Depth=2
	ds_add_f32 v11, v6 offset:16384
	s_xor_b64 s[12:13], exec, -1
.LBB15_40:                              ;   in Loop: Header=BB15_34 Depth=2
	s_or_b64 exec, exec, s[14:15]
	s_andn2_b64 s[8:9], s[8:9], exec
	s_and_b64 s[12:13], s[12:13], exec
	s_or_b64 s[8:9], s[8:9], s[12:13]
.LBB15_41:                              ;   in Loop: Header=BB15_34 Depth=2
	s_or_b64 exec, exec, s[10:11]
	s_and_b64 s[8:9], s[8:9], exec
                                        ; implicit-def: $vgpr11
.LBB15_42:                              ;   in Loop: Header=BB15_34 Depth=2
	s_andn2_saveexec_b64 s[6:7], s[6:7]
	s_cbranch_execz .LBB15_33
; %bb.43:                               ;   in Loop: Header=BB15_34 Depth=2
	ds_add_f32 v11, v6 offset:16384
	s_andn2_b64 s[8:9], s[8:9], exec
	s_branch .LBB15_33
.LBB15_44:
	s_or_b64 exec, exec, s[0:1]
.LBB15_45:
	v_mbcnt_lo_u32_b32 v2, -1, 0
	v_mbcnt_hi_u32_b32 v2, -1, v2
	v_sub_u32_e32 v2, 63, v2
	s_movk_i32 s0, 0x3ff
	s_movk_i32 s2, 0x7f
	s_movk_i32 s4, 0xbf
	s_movk_i32 s6, 0xff
	s_movk_i32 s8, 0x13f
	s_movk_i32 s10, 0x17f
	s_movk_i32 s12, 0x1bf
	s_movk_i32 s14, 0x1ff
	s_movk_i32 s16, 0x23f
	s_movk_i32 s18, 0x27f
	s_movk_i32 s20, 0x2bf
	s_movk_i32 s22, 0x2ff
	s_movk_i32 s24, 0x33f
	s_movk_i32 s26, 0x37f
	s_movk_i32 s28, 0x3bf
	v_mov_b32_e32 v6, 0
	v_lshrrev_b64 v[2:3], v2, -1
	v_lshl_add_u32 v7, v10, 2, 0
	v_cmp_eq_u32_e32 vcc, s0, v0
	v_cmp_lt_u32_e64 s[0:1], 63, v0
	v_cmp_lt_u32_e64 s[2:3], s2, v0
	;; [unrolled: 1-line block ×15, first 2 shown]
	s_mov_b64 s[36:37], 0
	s_movk_i32 s35, 0xbff
	v_mov_b32_e32 v9, 0
	s_waitcnt lgkmcnt(0)
	s_barrier
	s_branch .LBB15_47
.LBB15_46:                              ;   in Loop: Header=BB15_47 Depth=1
	s_or_b64 exec, exec, s[30:31]
	s_waitcnt lgkmcnt(0)
	s_barrier
	ds_read_b32 v4, v6 offset:32828
	v_add_u32_e32 v1, 0x400, v1
	v_cmp_lt_u32_e64 s[30:31], s35, v1
	s_or_b64 s[36:37], s[30:31], s[36:37]
	v_add_u32_e32 v8, 0x1000, v8
	s_waitcnt lgkmcnt(0)
	v_add_u32_e32 v9, v4, v9
	s_andn2_b64 exec, exec, s[36:37]
	s_cbranch_execz .LBB15_81
.LBB15_47:                              ; =>This Inner Loop Header: Depth=1
	ds_read2st64_b32 v[4:5], v8 offset1:64
	s_waitcnt lgkmcnt(0)
	s_barrier
	v_cmp_gt_i32_e64 s[30:31], s33, v4
	v_and_b32_e32 v11, s30, v2
	s_bcnt1_i32_b64 s38, s[30:31]
	v_and_b32_e32 v10, s31, v3
	v_bcnt_u32_b32 v11, v11, 0
	v_bcnt_u32_b32 v10, v10, v11
	v_mov_b32_e32 v11, s38
	ds_write_b32 v7, v11 offset:32768
	s_waitcnt lgkmcnt(0)
	s_barrier
	s_and_saveexec_b64 s[38:39], s[0:1]
	s_cbranch_execnz .LBB15_64
; %bb.48:                               ;   in Loop: Header=BB15_47 Depth=1
	s_or_b64 exec, exec, s[38:39]
	s_and_saveexec_b64 s[38:39], s[2:3]
	s_cbranch_execnz .LBB15_65
.LBB15_49:                              ;   in Loop: Header=BB15_47 Depth=1
	s_or_b64 exec, exec, s[38:39]
	s_and_saveexec_b64 s[38:39], s[4:5]
	s_cbranch_execnz .LBB15_66
.LBB15_50:                              ;   in Loop: Header=BB15_47 Depth=1
	s_or_b64 exec, exec, s[38:39]
	s_and_saveexec_b64 s[38:39], s[6:7]
	s_cbranch_execnz .LBB15_67
.LBB15_51:                              ;   in Loop: Header=BB15_47 Depth=1
	s_or_b64 exec, exec, s[38:39]
	s_and_saveexec_b64 s[38:39], s[8:9]
	s_cbranch_execnz .LBB15_68
.LBB15_52:                              ;   in Loop: Header=BB15_47 Depth=1
	s_or_b64 exec, exec, s[38:39]
	s_and_saveexec_b64 s[38:39], s[10:11]
	s_cbranch_execnz .LBB15_69
.LBB15_53:                              ;   in Loop: Header=BB15_47 Depth=1
	s_or_b64 exec, exec, s[38:39]
	s_and_saveexec_b64 s[38:39], s[12:13]
	s_cbranch_execnz .LBB15_70
.LBB15_54:                              ;   in Loop: Header=BB15_47 Depth=1
	s_or_b64 exec, exec, s[38:39]
	s_and_saveexec_b64 s[38:39], s[14:15]
	s_cbranch_execnz .LBB15_71
.LBB15_55:                              ;   in Loop: Header=BB15_47 Depth=1
	s_or_b64 exec, exec, s[38:39]
	s_and_saveexec_b64 s[38:39], s[16:17]
	s_cbranch_execnz .LBB15_72
.LBB15_56:                              ;   in Loop: Header=BB15_47 Depth=1
	s_or_b64 exec, exec, s[38:39]
	s_and_saveexec_b64 s[38:39], s[18:19]
	s_cbranch_execnz .LBB15_73
.LBB15_57:                              ;   in Loop: Header=BB15_47 Depth=1
	s_or_b64 exec, exec, s[38:39]
	s_and_saveexec_b64 s[38:39], s[20:21]
	s_cbranch_execnz .LBB15_74
.LBB15_58:                              ;   in Loop: Header=BB15_47 Depth=1
	s_or_b64 exec, exec, s[38:39]
	s_and_saveexec_b64 s[38:39], s[22:23]
	s_cbranch_execnz .LBB15_75
.LBB15_59:                              ;   in Loop: Header=BB15_47 Depth=1
	s_or_b64 exec, exec, s[38:39]
	s_and_saveexec_b64 s[38:39], s[24:25]
	s_cbranch_execnz .LBB15_76
.LBB15_60:                              ;   in Loop: Header=BB15_47 Depth=1
	s_or_b64 exec, exec, s[38:39]
	s_and_saveexec_b64 s[38:39], s[26:27]
	s_cbranch_execnz .LBB15_77
.LBB15_61:                              ;   in Loop: Header=BB15_47 Depth=1
	s_or_b64 exec, exec, s[38:39]
	s_and_saveexec_b64 s[38:39], s[28:29]
	s_cbranch_execnz .LBB15_78
.LBB15_62:                              ;   in Loop: Header=BB15_47 Depth=1
	s_or_b64 exec, exec, s[38:39]
	s_and_saveexec_b64 s[38:39], s[30:31]
	s_cbranch_execnz .LBB15_79
.LBB15_63:                              ;   in Loop: Header=BB15_47 Depth=1
	s_or_b64 exec, exec, s[38:39]
	s_and_saveexec_b64 s[30:31], vcc
	s_cbranch_execz .LBB15_46
	s_branch .LBB15_80
.LBB15_64:                              ;   in Loop: Header=BB15_47 Depth=1
	ds_read_b32 v11, v6 offset:32768
	s_waitcnt lgkmcnt(0)
	v_add_u32_e32 v10, v11, v10
	s_or_b64 exec, exec, s[38:39]
	s_and_saveexec_b64 s[38:39], s[2:3]
	s_cbranch_execz .LBB15_49
.LBB15_65:                              ;   in Loop: Header=BB15_47 Depth=1
	ds_read_b32 v11, v6 offset:32772
	s_waitcnt lgkmcnt(0)
	v_add_u32_e32 v10, v11, v10
	s_or_b64 exec, exec, s[38:39]
	s_and_saveexec_b64 s[38:39], s[4:5]
	s_cbranch_execz .LBB15_50
.LBB15_66:                              ;   in Loop: Header=BB15_47 Depth=1
	ds_read_b32 v11, v6 offset:32776
	s_waitcnt lgkmcnt(0)
	v_add_u32_e32 v10, v11, v10
	s_or_b64 exec, exec, s[38:39]
	s_and_saveexec_b64 s[38:39], s[6:7]
	s_cbranch_execz .LBB15_51
.LBB15_67:                              ;   in Loop: Header=BB15_47 Depth=1
	ds_read_b32 v11, v6 offset:32780
	s_waitcnt lgkmcnt(0)
	v_add_u32_e32 v10, v11, v10
	s_or_b64 exec, exec, s[38:39]
	s_and_saveexec_b64 s[38:39], s[8:9]
	s_cbranch_execz .LBB15_52
.LBB15_68:                              ;   in Loop: Header=BB15_47 Depth=1
	ds_read_b32 v11, v6 offset:32784
	s_waitcnt lgkmcnt(0)
	v_add_u32_e32 v10, v11, v10
	s_or_b64 exec, exec, s[38:39]
	s_and_saveexec_b64 s[38:39], s[10:11]
	s_cbranch_execz .LBB15_53
.LBB15_69:                              ;   in Loop: Header=BB15_47 Depth=1
	ds_read_b32 v11, v6 offset:32788
	s_waitcnt lgkmcnt(0)
	v_add_u32_e32 v10, v11, v10
	s_or_b64 exec, exec, s[38:39]
	s_and_saveexec_b64 s[38:39], s[12:13]
	s_cbranch_execz .LBB15_54
.LBB15_70:                              ;   in Loop: Header=BB15_47 Depth=1
	ds_read_b32 v11, v6 offset:32792
	s_waitcnt lgkmcnt(0)
	v_add_u32_e32 v10, v11, v10
	s_or_b64 exec, exec, s[38:39]
	s_and_saveexec_b64 s[38:39], s[14:15]
	s_cbranch_execz .LBB15_55
.LBB15_71:                              ;   in Loop: Header=BB15_47 Depth=1
	ds_read_b32 v11, v6 offset:32796
	s_waitcnt lgkmcnt(0)
	v_add_u32_e32 v10, v11, v10
	s_or_b64 exec, exec, s[38:39]
	s_and_saveexec_b64 s[38:39], s[16:17]
	s_cbranch_execz .LBB15_56
.LBB15_72:                              ;   in Loop: Header=BB15_47 Depth=1
	ds_read_b32 v11, v6 offset:32800
	s_waitcnt lgkmcnt(0)
	v_add_u32_e32 v10, v11, v10
	s_or_b64 exec, exec, s[38:39]
	s_and_saveexec_b64 s[38:39], s[18:19]
	s_cbranch_execz .LBB15_57
.LBB15_73:                              ;   in Loop: Header=BB15_47 Depth=1
	ds_read_b32 v11, v6 offset:32804
	s_waitcnt lgkmcnt(0)
	v_add_u32_e32 v10, v11, v10
	s_or_b64 exec, exec, s[38:39]
	s_and_saveexec_b64 s[38:39], s[20:21]
	s_cbranch_execz .LBB15_58
.LBB15_74:                              ;   in Loop: Header=BB15_47 Depth=1
	ds_read_b32 v11, v6 offset:32808
	s_waitcnt lgkmcnt(0)
	v_add_u32_e32 v10, v11, v10
	s_or_b64 exec, exec, s[38:39]
	s_and_saveexec_b64 s[38:39], s[22:23]
	s_cbranch_execz .LBB15_59
.LBB15_75:                              ;   in Loop: Header=BB15_47 Depth=1
	ds_read_b32 v11, v6 offset:32812
	s_waitcnt lgkmcnt(0)
	v_add_u32_e32 v10, v11, v10
	s_or_b64 exec, exec, s[38:39]
	s_and_saveexec_b64 s[38:39], s[24:25]
	s_cbranch_execz .LBB15_60
.LBB15_76:                              ;   in Loop: Header=BB15_47 Depth=1
	ds_read_b32 v11, v6 offset:32816
	s_waitcnt lgkmcnt(0)
	v_add_u32_e32 v10, v11, v10
	s_or_b64 exec, exec, s[38:39]
	s_and_saveexec_b64 s[38:39], s[26:27]
	s_cbranch_execz .LBB15_61
.LBB15_77:                              ;   in Loop: Header=BB15_47 Depth=1
	ds_read_b32 v11, v6 offset:32820
	s_waitcnt lgkmcnt(0)
	v_add_u32_e32 v10, v11, v10
	s_or_b64 exec, exec, s[38:39]
	s_and_saveexec_b64 s[38:39], s[28:29]
	s_cbranch_execz .LBB15_62
.LBB15_78:                              ;   in Loop: Header=BB15_47 Depth=1
	ds_read_b32 v11, v6 offset:32824
	s_waitcnt lgkmcnt(0)
	v_add_u32_e32 v10, v11, v10
	s_or_b64 exec, exec, s[38:39]
	s_and_saveexec_b64 s[38:39], s[30:31]
	s_cbranch_execz .LBB15_63
.LBB15_79:                              ;   in Loop: Header=BB15_47 Depth=1
	v_add3_u32 v11, v9, -1, v10
	v_lshl_add_u32 v11, v11, 2, 0
	ds_write2st64_b32 v11, v4, v5 offset1:64
	s_or_b64 exec, exec, s[38:39]
	s_and_saveexec_b64 s[30:31], vcc
	s_cbranch_execz .LBB15_46
.LBB15_80:                              ;   in Loop: Header=BB15_47 Depth=1
	ds_write_b32 v6, v10 offset:32828
	s_branch .LBB15_46
.LBB15_81:
	s_or_b64 exec, exec, s[36:37]
	s_ashr_i32 s35, s34, 31
	s_lshl_b64 s[0:1], s[34:35], 2
	s_add_u32 s0, s42, s0
	s_addc_u32 s1, s43, s1
	s_load_dwordx2 s[0:1], s[0:1], 0x0
	s_waitcnt lgkmcnt(0)
	s_sub_i32 s14, s1, s0
	v_cmp_gt_i32_e32 vcc, s14, v0
	s_and_saveexec_b64 s[2:3], vcc
	s_cbranch_execz .LBB15_96
; %bb.82:
	s_sub_i32 s6, s0, s46
	s_add_i32 s0, s14, -2
	s_lshr_b32 s1, s0, 1
	s_add_i32 s2, s1, 1
	s_cmp_gt_u32 s14, 1
	s_cselect_b64 s[8:9], -1, 0
	s_and_b32 s15, s14, -2
	s_and_b32 s4, s2, 7
	s_cmp_gt_u32 s0, 13
	s_cselect_b64 s[0:1], -1, 0
	s_and_b32 s16, s2, -8
	s_cmp_lg_u32 s4, 0
	s_cselect_b64 s[2:3], -1, 0
	v_cndmask_b32_e64 v1, 0, 1, s[0:1]
	s_cmp_lg_u32 s14, s15
	v_cmp_ne_u32_e64 s[0:1], 1, v1
	v_cndmask_b32_e64 v1, 0, 1, s[2:3]
	s_mov_b32 s7, 0
	s_cselect_b64 s[10:11], -1, 0
	s_lshl_b32 s17, s4, 3
	s_mov_b64 s[12:13], 0
	v_cmp_ne_u32_e64 s[2:3], 1, v1
	v_mov_b32_e32 v1, s49
	v_mov_b32_e32 v6, s51
	s_branch .LBB15_84
.LBB15_83:                              ;   in Loop: Header=BB15_84 Depth=1
	v_ashrrev_i32_e32 v5, 31, v4
	v_lshlrev_b64 v[4:5], 2, v[4:5]
	v_add_co_u32_e32 v8, vcc, s48, v4
	v_addc_co_u32_e32 v9, vcc, v1, v5, vcc
	v_add_co_u32_e32 v4, vcc, s50, v4
	v_addc_co_u32_e32 v5, vcc, v6, v5, vcc
	v_add_u32_e32 v0, 0x400, v0
	v_cmp_le_i32_e32 vcc, s14, v0
	s_waitcnt lgkmcnt(0)
	v_add_u32_e32 v2, s46, v2
	s_or_b64 s[12:13], vcc, s[12:13]
	global_store_dword v[8:9], v2, off
	global_store_dword v[4:5], v3, off
	s_andn2_b64 exec, exec, s[12:13]
	s_cbranch_execz .LBB15_96
.LBB15_84:                              ; =>This Loop Header: Depth=1
                                        ;     Child Loop BB15_87 Depth 2
                                        ;     Child Loop BB15_92 Depth 2
	;; [unrolled: 1-line block ×3, first 2 shown]
	v_lshl_add_u32 v2, v0, 2, 0
	ds_read2st64_b32 v[2:3], v2 offset1:64
	s_and_b64 vcc, exec, s[8:9]
	s_cbranch_vccz .LBB15_89
; %bb.85:                               ;   in Loop: Header=BB15_84 Depth=1
	s_and_b64 vcc, exec, s[0:1]
	s_cbranch_vccnz .LBB15_90
; %bb.86:                               ;   in Loop: Header=BB15_84 Depth=1
	s_mov_b32 s19, 0
	v_mov_b32_e32 v4, s6
	v_mov_b32_e32 v5, 0
	s_mov_b32 s20, s16
	s_mov_b32 s18, 0
.LBB15_87:                              ;   Parent Loop BB15_84 Depth=1
                                        ; =>  This Inner Loop Header: Depth=2
	v_mov_b32_e32 v7, s19
	ds_read2_b32 v[8:9], v7 offset1:1
	ds_read2_b32 v[10:11], v7 offset0:2 offset1:3
	ds_read2_b32 v[12:13], v7 offset0:4 offset1:5
	;; [unrolled: 1-line block ×7, first 2 shown]
	s_waitcnt lgkmcnt(7)
	v_cmp_gt_i32_e32 vcc, v2, v9
	s_waitcnt lgkmcnt(5)
	v_cmp_gt_i32_e64 s[4:5], v2, v12
	v_cndmask_b32_e64 v7, 0, 1, vcc
	v_cmp_gt_i32_e32 vcc, v2, v8
	v_cndmask_b32_e64 v9, 0, 1, s[4:5]
	v_cmp_gt_i32_e64 s[4:5], v2, v13
	v_cndmask_b32_e64 v8, 0, 1, vcc
	v_cmp_gt_i32_e32 vcc, v2, v11
	v_cndmask_b32_e64 v11, 0, 1, s[4:5]
	s_waitcnt lgkmcnt(3)
	v_cmp_gt_i32_e64 s[4:5], v2, v17
	v_cndmask_b32_e64 v12, 0, 1, s[4:5]
	v_cmp_gt_i32_e64 s[4:5], v2, v16
	v_cndmask_b32_e64 v13, 0, 1, s[4:5]
	s_waitcnt lgkmcnt(1)
	v_cmp_gt_i32_e64 s[4:5], v2, v20
	v_cndmask_b32_e64 v16, 0, 1, s[4:5]
	v_cmp_gt_i32_e64 s[4:5], v2, v21
	v_cndmask_b32_e64 v17, 0, 1, s[4:5]
	v_cmp_gt_i32_e64 s[4:5], v2, v10
	v_addc_co_u32_e64 v4, s[4:5], v4, v8, s[4:5]
	v_addc_co_u32_e32 v5, vcc, v5, v7, vcc
	v_cmp_gt_i32_e32 vcc, v2, v14
	v_cmp_gt_i32_e64 s[4:5], v2, v15
	v_addc_co_u32_e64 v5, s[4:5], v5, v11, s[4:5]
	v_addc_co_u32_e32 v4, vcc, v4, v9, vcc
	v_cmp_gt_i32_e32 vcc, v2, v19
	v_cmp_gt_i32_e64 s[4:5], v2, v18
	v_addc_co_u32_e64 v4, s[4:5], v4, v13, s[4:5]
	v_addc_co_u32_e32 v5, vcc, v5, v12, vcc
	s_add_i32 s18, s18, 16
	s_add_i32 s19, s19, 64
	s_add_i32 s20, s20, -8
	s_waitcnt lgkmcnt(0)
	v_cmp_gt_i32_e32 vcc, v2, v22
	v_cmp_gt_i32_e64 s[4:5], v2, v23
	s_cmp_lg_u32 s20, 0
	v_addc_co_u32_e64 v5, s[4:5], v5, v17, s[4:5]
	v_addc_co_u32_e32 v4, vcc, v4, v16, vcc
	s_cbranch_scc1 .LBB15_87
; %bb.88:                               ;   in Loop: Header=BB15_84 Depth=1
	s_and_b64 vcc, exec, s[2:3]
	s_cbranch_vccz .LBB15_91
	s_branch .LBB15_93
.LBB15_89:                              ;   in Loop: Header=BB15_84 Depth=1
	v_mov_b32_e32 v4, s6
	s_mov_b32 s18, 0
	s_cbranch_execz .LBB15_83
	s_branch .LBB15_94
.LBB15_90:                              ;   in Loop: Header=BB15_84 Depth=1
	v_pk_mov_b32 v[4:5], s[6:7], s[6:7] op_sel:[0,1]
	s_mov_b32 s18, 0
	s_and_b64 vcc, exec, s[2:3]
	s_cbranch_vccnz .LBB15_93
.LBB15_91:                              ;   in Loop: Header=BB15_84 Depth=1
	s_lshl_b32 s4, s18, 2
	s_add_i32 s4, s4, 0
	s_mov_b32 s5, s17
.LBB15_92:                              ;   Parent Loop BB15_84 Depth=1
                                        ; =>  This Inner Loop Header: Depth=2
	v_mov_b32_e32 v7, s4
	ds_read2_b32 v[8:9], v7 offset1:1
	s_add_i32 s4, s4, 8
	s_add_i32 s5, s5, -8
	s_cmp_lg_u32 s5, 0
	s_waitcnt lgkmcnt(0)
	v_cmp_gt_i32_e32 vcc, v2, v9
	v_addc_co_u32_e32 v5, vcc, 0, v5, vcc
	v_cmp_gt_i32_e32 vcc, v2, v8
	v_addc_co_u32_e32 v4, vcc, 0, v4, vcc
	s_cbranch_scc1 .LBB15_92
.LBB15_93:                              ;   in Loop: Header=BB15_84 Depth=1
	v_add_u32_e32 v4, v4, v5
	s_mov_b32 s18, s15
	s_mov_b64 s[4:5], s[10:11]
	s_and_b64 vcc, exec, s[4:5]
	s_cbranch_vccz .LBB15_83
.LBB15_94:                              ;   in Loop: Header=BB15_84 Depth=1
	s_lshl_b32 s4, s18, 2
	s_add_i32 s4, s4, 0
.LBB15_95:                              ;   Parent Loop BB15_84 Depth=1
                                        ; =>  This Inner Loop Header: Depth=2
	v_mov_b32_e32 v5, s4
	ds_read_b32 v5, v5
	s_add_i32 s18, s18, 1
	s_add_i32 s4, s4, 4
	s_cmp_ge_i32 s18, s14
	s_waitcnt lgkmcnt(0)
	v_cmp_gt_i32_e32 vcc, v2, v5
	v_addc_co_u32_e32 v4, vcc, 0, v4, vcc
	s_cbranch_scc0 .LBB15_95
	s_branch .LBB15_83
.LBB15_96:
	s_endpgm
	.section	.rodata,"a",@progbits
	.p2align	6, 0x0
	.amdhsa_kernel _ZN9rocsparseL26csrgemm_fill_block_per_rowILj1024ELj64ELj4096ELj137ELj64EiifEEvT5_PKS1_S3_NS_24const_host_device_scalarIT6_EEPKT4_S3_PKS5_S9_S3_SB_S6_S9_S3_SB_S9_PS1_PS5_21rocsparse_index_base_SE_SE_SE_bbb
		.amdhsa_group_segment_fixed_size 0
		.amdhsa_private_segment_fixed_size 0
		.amdhsa_kernarg_size 156
		.amdhsa_user_sgpr_count 6
		.amdhsa_user_sgpr_private_segment_buffer 1
		.amdhsa_user_sgpr_dispatch_ptr 0
		.amdhsa_user_sgpr_queue_ptr 0
		.amdhsa_user_sgpr_kernarg_segment_ptr 1
		.amdhsa_user_sgpr_dispatch_id 0
		.amdhsa_user_sgpr_flat_scratch_init 0
		.amdhsa_user_sgpr_kernarg_preload_length 0
		.amdhsa_user_sgpr_kernarg_preload_offset 0
		.amdhsa_user_sgpr_private_segment_size 0
		.amdhsa_uses_dynamic_stack 0
		.amdhsa_system_sgpr_private_segment_wavefront_offset 0
		.amdhsa_system_sgpr_workgroup_id_x 1
		.amdhsa_system_sgpr_workgroup_id_y 0
		.amdhsa_system_sgpr_workgroup_id_z 0
		.amdhsa_system_sgpr_workgroup_info 0
		.amdhsa_system_vgpr_workitem_id 0
		.amdhsa_next_free_vgpr 24
		.amdhsa_next_free_sgpr 52
		.amdhsa_accum_offset 24
		.amdhsa_reserve_vcc 1
		.amdhsa_reserve_flat_scratch 0
		.amdhsa_float_round_mode_32 0
		.amdhsa_float_round_mode_16_64 0
		.amdhsa_float_denorm_mode_32 3
		.amdhsa_float_denorm_mode_16_64 3
		.amdhsa_dx10_clamp 1
		.amdhsa_ieee_mode 1
		.amdhsa_fp16_overflow 0
		.amdhsa_tg_split 0
		.amdhsa_exception_fp_ieee_invalid_op 0
		.amdhsa_exception_fp_denorm_src 0
		.amdhsa_exception_fp_ieee_div_zero 0
		.amdhsa_exception_fp_ieee_overflow 0
		.amdhsa_exception_fp_ieee_underflow 0
		.amdhsa_exception_fp_ieee_inexact 0
		.amdhsa_exception_int_div_zero 0
	.end_amdhsa_kernel
	.section	.text._ZN9rocsparseL26csrgemm_fill_block_per_rowILj1024ELj64ELj4096ELj137ELj64EiifEEvT5_PKS1_S3_NS_24const_host_device_scalarIT6_EEPKT4_S3_PKS5_S9_S3_SB_S6_S9_S3_SB_S9_PS1_PS5_21rocsparse_index_base_SE_SE_SE_bbb,"axG",@progbits,_ZN9rocsparseL26csrgemm_fill_block_per_rowILj1024ELj64ELj4096ELj137ELj64EiifEEvT5_PKS1_S3_NS_24const_host_device_scalarIT6_EEPKT4_S3_PKS5_S9_S3_SB_S6_S9_S3_SB_S9_PS1_PS5_21rocsparse_index_base_SE_SE_SE_bbb,comdat
.Lfunc_end15:
	.size	_ZN9rocsparseL26csrgemm_fill_block_per_rowILj1024ELj64ELj4096ELj137ELj64EiifEEvT5_PKS1_S3_NS_24const_host_device_scalarIT6_EEPKT4_S3_PKS5_S9_S3_SB_S6_S9_S3_SB_S9_PS1_PS5_21rocsparse_index_base_SE_SE_SE_bbb, .Lfunc_end15-_ZN9rocsparseL26csrgemm_fill_block_per_rowILj1024ELj64ELj4096ELj137ELj64EiifEEvT5_PKS1_S3_NS_24const_host_device_scalarIT6_EEPKT4_S3_PKS5_S9_S3_SB_S6_S9_S3_SB_S9_PS1_PS5_21rocsparse_index_base_SE_SE_SE_bbb
                                        ; -- End function
	.section	.AMDGPU.csdata,"",@progbits
; Kernel info:
; codeLenInByte = 3136
; NumSgprs: 56
; NumVgprs: 24
; NumAgprs: 0
; TotalNumVgprs: 24
; ScratchSize: 0
; MemoryBound: 0
; FloatMode: 240
; IeeeMode: 1
; LDSByteSize: 0 bytes/workgroup (compile time only)
; SGPRBlocks: 6
; VGPRBlocks: 2
; NumSGPRsForWavesPerEU: 56
; NumVGPRsForWavesPerEU: 24
; AccumOffset: 24
; Occupancy: 8
; WaveLimiterHint : 1
; COMPUTE_PGM_RSRC2:SCRATCH_EN: 0
; COMPUTE_PGM_RSRC2:USER_SGPR: 6
; COMPUTE_PGM_RSRC2:TRAP_HANDLER: 0
; COMPUTE_PGM_RSRC2:TGID_X_EN: 1
; COMPUTE_PGM_RSRC2:TGID_Y_EN: 0
; COMPUTE_PGM_RSRC2:TGID_Z_EN: 0
; COMPUTE_PGM_RSRC2:TIDIG_COMP_CNT: 0
; COMPUTE_PGM_RSRC3_GFX90A:ACCUM_OFFSET: 5
; COMPUTE_PGM_RSRC3_GFX90A:TG_SPLIT: 0
	.section	.text._ZN9rocsparseL26csrgemm_fill_block_per_rowILj1024ELj64ELj8192ELj137ELj32EiifEEvT5_PKS1_S3_NS_24const_host_device_scalarIT6_EEPKT4_S3_PKS5_S9_S3_SB_S6_S9_S3_SB_S9_PS1_PS5_21rocsparse_index_base_SE_SE_SE_bbb,"axG",@progbits,_ZN9rocsparseL26csrgemm_fill_block_per_rowILj1024ELj64ELj8192ELj137ELj32EiifEEvT5_PKS1_S3_NS_24const_host_device_scalarIT6_EEPKT4_S3_PKS5_S9_S3_SB_S6_S9_S3_SB_S9_PS1_PS5_21rocsparse_index_base_SE_SE_SE_bbb,comdat
	.globl	_ZN9rocsparseL26csrgemm_fill_block_per_rowILj1024ELj64ELj8192ELj137ELj32EiifEEvT5_PKS1_S3_NS_24const_host_device_scalarIT6_EEPKT4_S3_PKS5_S9_S3_SB_S6_S9_S3_SB_S9_PS1_PS5_21rocsparse_index_base_SE_SE_SE_bbb ; -- Begin function _ZN9rocsparseL26csrgemm_fill_block_per_rowILj1024ELj64ELj8192ELj137ELj32EiifEEvT5_PKS1_S3_NS_24const_host_device_scalarIT6_EEPKT4_S3_PKS5_S9_S3_SB_S6_S9_S3_SB_S9_PS1_PS5_21rocsparse_index_base_SE_SE_SE_bbb
	.p2align	8
	.type	_ZN9rocsparseL26csrgemm_fill_block_per_rowILj1024ELj64ELj8192ELj137ELj32EiifEEvT5_PKS1_S3_NS_24const_host_device_scalarIT6_EEPKT4_S3_PKS5_S9_S3_SB_S6_S9_S3_SB_S9_PS1_PS5_21rocsparse_index_base_SE_SE_SE_bbb,@function
_ZN9rocsparseL26csrgemm_fill_block_per_rowILj1024ELj64ELj8192ELj137ELj32EiifEEvT5_PKS1_S3_NS_24const_host_device_scalarIT6_EEPKT4_S3_PKS5_S9_S3_SB_S6_S9_S3_SB_S9_PS1_PS5_21rocsparse_index_base_SE_SE_SE_bbb: ; @_ZN9rocsparseL26csrgemm_fill_block_per_rowILj1024ELj64ELj8192ELj137ELj32EiifEEvT5_PKS1_S3_NS_24const_host_device_scalarIT6_EEPKT4_S3_PKS5_S9_S3_SB_S6_S9_S3_SB_S9_PS1_PS5_21rocsparse_index_base_SE_SE_SE_bbb
; %bb.0:
	s_load_dword s7, s[4:5], 0x98
	s_load_dwordx4 s[8:11], s[4:5], 0x8
	s_load_dwordx2 s[0:1], s[4:5], 0x18
	s_load_dwordx4 s[64:67], s[4:5], 0x88
	s_load_dwordx2 s[12:13], s[4:5], 0x50
	s_waitcnt lgkmcnt(0)
	s_bitcmp1_b32 s7, 0
	s_cselect_b64 s[2:3], -1, 0
	s_bitcmp1_b32 s7, 16
	s_cselect_b64 s[14:15], -1, 0
	s_xor_b64 s[16:17], s[2:3], -1
	s_or_b64 s[16:17], s[16:17], s[14:15]
	s_and_b64 vcc, exec, s[16:17]
	s_cbranch_vccnz .LBB16_2
; %bb.1:
	s_load_dword s0, s[0:1], 0x0
	s_waitcnt lgkmcnt(0)
	v_mov_b32_e32 v8, s0
	s_branch .LBB16_3
.LBB16_2:
	v_mov_b32_e32 v1, s0
	v_cndmask_b32_e64 v8, 0, v1, s[2:3]
.LBB16_3:
	s_bitcmp1_b32 s7, 8
	s_cselect_b64 s[0:1], -1, 0
	s_xor_b64 s[16:17], s[0:1], -1
	s_or_b64 s[14:15], s[16:17], s[14:15]
	s_mov_b32 s7, 0
	s_and_b64 vcc, exec, s[14:15]
	s_cbranch_vccnz .LBB16_5
; %bb.4:
	s_load_dword s12, s[12:13], 0x0
	s_waitcnt lgkmcnt(0)
	v_mov_b32_e32 v1, s12
	s_branch .LBB16_6
.LBB16_5:
	v_mov_b32_e32 v1, s12
	v_cndmask_b32_e64 v1, 0, v1, s[0:1]
.LBB16_6:
	s_load_dword s33, s[4:5], 0x0
	v_lshlrev_b32_e32 v2, 2, v0
	s_add_i32 s12, 0, 0x8000
	v_mov_b32_e32 v3, 0
	v_add_u32_e32 v4, 0, v2
	s_waitcnt lgkmcnt(0)
	v_mov_b32_e32 v5, s33
	v_mov_b32_e32 v6, s33
	v_add_u32_e32 v2, s12, v2
	ds_write_b32 v4, v3 offset:32768
	ds_write2st64_b32 v4, v5, v6 offset1:16
	ds_write2st64_b32 v2, v3, v3 offset0:16 offset1:32
	ds_write2st64_b32 v4, v5, v6 offset0:32 offset1:48
	;; [unrolled: 1-line block ×6, first 2 shown]
	ds_write_b32 v2, v3 offset:28672
	s_waitcnt lgkmcnt(0)
	s_barrier
	s_load_dword s8, s[8:9], 0x0
                                        ; implicit-def: $vgpr24 : SGPR spill to VGPR lane
	s_waitcnt lgkmcnt(0)
	s_add_i32 s6, s8, s6
	s_lshl_b64 s[6:7], s[6:7], 2
	s_add_u32 s6, s10, s6
	s_addc_u32 s7, s11, s7
	s_load_dword s6, s[6:7], 0x0
	s_andn2_b64 vcc, exec, s[2:3]
	s_waitcnt lgkmcnt(0)
	v_writelane_b32 v24, s6, 0
	v_writelane_b32 v24, s7, 1
	s_cbranch_vccnz .LBB16_26
; %bb.7:
	s_load_dwordx2 s[2:3], s[4:5], 0x20
	v_readlane_b32 s6, v24, 0
	v_readlane_b32 s7, v24, 1
	s_mov_b32 s8, s6
	s_ashr_i32 s9, s6, 31
	v_writelane_b32 v24, s6, 0
	v_writelane_b32 v24, s7, 1
	s_lshl_b64 s[6:7], s[8:9], 2
	s_waitcnt lgkmcnt(0)
	s_add_u32 s2, s2, s6
	s_addc_u32 s3, s3, s7
	s_load_dwordx2 s[2:3], s[2:3], 0x0
	v_lshrrev_b32_e32 v2, 6, v0
	v_subrev_u32_e32 v2, s64, v2
	s_waitcnt lgkmcnt(0)
	s_sub_i32 s36, s3, s64
	v_add_u32_e32 v2, s2, v2
	v_cmp_gt_i32_e32 vcc, s36, v2
	s_and_saveexec_b64 s[2:3], vcc
	s_cbranch_execz .LBB16_25
; %bb.8:
	s_load_dwordx8 s[8:15], s[4:5], 0x28
	s_load_dwordx2 s[6:7], s[4:5], 0x48
	v_and_b32_e32 v3, 63, v0
	s_mov_b64 s[16:17], 0
	v_subrev_u32_e32 v9, s65, v3
	s_waitcnt lgkmcnt(0)
	v_mov_b32_e32 v10, s9
	v_mov_b32_e32 v11, s13
	s_movk_i32 s9, 0x89
	s_branch .LBB16_10
.LBB16_9:                               ;   in Loop: Header=BB16_10 Depth=1
	s_or_b64 exec, exec, s[18:19]
	v_add_u32_e32 v2, 16, v2
	v_cmp_le_i32_e32 vcc, s36, v2
	s_or_b64 s[16:17], vcc, s[16:17]
	s_andn2_b64 exec, exec, s[16:17]
	s_cbranch_execz .LBB16_25
.LBB16_10:                              ; =>This Loop Header: Depth=1
                                        ;     Child Loop BB16_13 Depth 2
                                        ;       Child Loop BB16_15 Depth 3
	v_ashrrev_i32_e32 v3, 31, v2
	v_lshlrev_b64 v[6:7], 2, v[2:3]
	v_add_co_u32_e32 v4, vcc, s8, v6
	v_addc_co_u32_e32 v5, vcc, v10, v7, vcc
	global_load_dword v3, v[4:5], off
	s_waitcnt vmcnt(0)
	v_subrev_u32_e32 v4, s64, v3
	v_ashrrev_i32_e32 v5, 31, v4
	v_lshlrev_b64 v[4:5], 2, v[4:5]
	v_add_co_u32_e32 v4, vcc, s12, v4
	v_addc_co_u32_e32 v5, vcc, v11, v5, vcc
	global_load_dwordx2 v[4:5], v[4:5], off
	s_waitcnt vmcnt(0)
	v_subrev_u32_e32 v3, s65, v5
	v_add_u32_e32 v4, v4, v9
	v_cmp_lt_i32_e32 vcc, v4, v3
	s_and_saveexec_b64 s[18:19], vcc
	s_cbranch_execz .LBB16_9
; %bb.11:                               ;   in Loop: Header=BB16_10 Depth=1
	v_mov_b32_e32 v5, s11
	v_add_co_u32_e32 v6, vcc, s10, v6
	v_addc_co_u32_e32 v7, vcc, v5, v7, vcc
	global_load_dword v5, v[6:7], off
	s_mov_b64 s[20:21], 0
	s_waitcnt vmcnt(0)
	v_mul_f32_e32 v6, v8, v5
	s_branch .LBB16_13
.LBB16_12:                              ;   in Loop: Header=BB16_13 Depth=2
	s_or_b64 exec, exec, s[22:23]
	v_add_u32_e32 v4, 64, v4
	v_cmp_ge_i32_e32 vcc, v4, v3
	s_or_b64 s[20:21], vcc, s[20:21]
	s_andn2_b64 exec, exec, s[20:21]
	s_cbranch_execz .LBB16_9
.LBB16_13:                              ;   Parent Loop BB16_10 Depth=1
                                        ; =>  This Loop Header: Depth=2
                                        ;       Child Loop BB16_15 Depth 3
	v_ashrrev_i32_e32 v5, 31, v4
	v_lshlrev_b64 v[12:13], 2, v[4:5]
	v_mov_b32_e32 v5, s15
	v_add_co_u32_e32 v14, vcc, s14, v12
	v_addc_co_u32_e32 v15, vcc, v5, v13, vcc
	global_load_dword v5, v[14:15], off
	v_mov_b32_e32 v7, s7
	v_add_co_u32_e32 v12, vcc, s6, v12
	v_addc_co_u32_e32 v13, vcc, v7, v13, vcc
	global_load_dword v7, v[12:13], off
	s_mov_b64 s[22:23], 0
	s_waitcnt vmcnt(1)
	v_subrev_u32_e32 v5, s65, v5
	v_mul_lo_u32 v12, v5, s9
	v_and_b32_e32 v12, 0x1fff, v12
	s_waitcnt vmcnt(0)
	v_mul_f32_e32 v7, v6, v7
	s_branch .LBB16_15
.LBB16_14:                              ;   in Loop: Header=BB16_15 Depth=3
	s_or_b64 exec, exec, s[24:25]
	s_xor_b64 s[24:25], s[26:27], -1
	s_and_b64 s[24:25], exec, s[24:25]
	s_or_b64 s[22:23], s[24:25], s[22:23]
	s_andn2_b64 exec, exec, s[22:23]
	s_cbranch_execz .LBB16_12
.LBB16_15:                              ;   Parent Loop BB16_10 Depth=1
                                        ;     Parent Loop BB16_13 Depth=2
                                        ; =>    This Inner Loop Header: Depth=3
	v_lshl_add_u32 v13, v12, 2, 0
	ds_read_b32 v14, v13
                                        ; implicit-def: $sgpr26_sgpr27
	s_waitcnt lgkmcnt(0)
	v_cmp_ne_u32_e32 vcc, v14, v5
	s_and_saveexec_b64 s[24:25], vcc
	s_xor_b64 s[24:25], exec, s[24:25]
	s_cbranch_execz .LBB16_23
; %bb.16:                               ;   in Loop: Header=BB16_15 Depth=3
	v_cmp_ne_u32_e32 vcc, s33, v14
                                        ; implicit-def: $sgpr26_sgpr27
	s_and_saveexec_b64 s[28:29], vcc
	s_xor_b64 s[28:29], exec, s[28:29]
; %bb.17:                               ;   in Loop: Header=BB16_15 Depth=3
	v_add_u32_e32 v12, 1, v12
	v_and_b32_e32 v12, 0x1fff, v12
	s_mov_b64 s[26:27], -1
                                        ; implicit-def: $vgpr13
; %bb.18:                               ;   in Loop: Header=BB16_15 Depth=3
	s_andn2_saveexec_b64 s[28:29], s[28:29]
	s_cbranch_execz .LBB16_22
; %bb.19:                               ;   in Loop: Header=BB16_15 Depth=3
	v_mov_b32_e32 v14, s33
	ds_cmpst_rtn_b32 v14, v13, v14, v5
	s_mov_b64 s[30:31], -1
	s_waitcnt lgkmcnt(0)
	v_cmp_eq_u32_e32 vcc, s33, v14
	s_and_saveexec_b64 s[34:35], vcc
	s_cbranch_execz .LBB16_21
; %bb.20:                               ;   in Loop: Header=BB16_15 Depth=3
	ds_add_f32 v13, v7 offset:32768
	s_xor_b64 s[30:31], exec, -1
.LBB16_21:                              ;   in Loop: Header=BB16_15 Depth=3
	s_or_b64 exec, exec, s[34:35]
	s_andn2_b64 s[26:27], s[26:27], exec
	s_and_b64 s[30:31], s[30:31], exec
	s_or_b64 s[26:27], s[26:27], s[30:31]
.LBB16_22:                              ;   in Loop: Header=BB16_15 Depth=3
	s_or_b64 exec, exec, s[28:29]
	s_and_b64 s[26:27], s[26:27], exec
                                        ; implicit-def: $vgpr13
.LBB16_23:                              ;   in Loop: Header=BB16_15 Depth=3
	s_andn2_saveexec_b64 s[24:25], s[24:25]
	s_cbranch_execz .LBB16_14
; %bb.24:                               ;   in Loop: Header=BB16_15 Depth=3
	ds_add_f32 v13, v7 offset:32768
	s_andn2_b64 s[26:27], s[26:27], exec
	s_branch .LBB16_14
.LBB16_25:
	s_or_b64 exec, exec, s[2:3]
.LBB16_26:
	s_load_dwordx2 s[24:25], s[4:5], 0x80
	s_load_dwordx4 s[8:11], s[4:5], 0x70
	s_andn2_b64 vcc, exec, s[0:1]
	s_waitcnt lgkmcnt(0)
	v_writelane_b32 v24, s8, 2
	v_writelane_b32 v24, s9, 3
	;; [unrolled: 1-line block ×4, first 2 shown]
	s_cbranch_vccnz .LBB16_43
; %bb.27:
	s_load_dwordx2 s[0:1], s[4:5], 0x58
	v_readlane_b32 s2, v24, 0
	v_readlane_b32 s3, v24, 1
	s_mov_b32 s6, s2
	s_ashr_i32 s7, s2, 31
	v_writelane_b32 v24, s2, 0
	v_writelane_b32 v24, s3, 1
	s_lshl_b64 s[2:3], s[6:7], 2
	s_waitcnt lgkmcnt(0)
	s_add_u32 s0, s0, s2
	s_addc_u32 s1, s1, s3
	s_load_dwordx2 s[0:1], s[0:1], 0x0
	v_subrev_u32_e32 v2, s67, v0
	s_waitcnt lgkmcnt(0)
	s_sub_i32 s20, s1, s67
	v_add_u32_e32 v2, s0, v2
	v_cmp_gt_i32_e32 vcc, s20, v2
	s_and_saveexec_b64 s[6:7], vcc
	s_cbranch_execz .LBB16_42
; %bb.28:
	s_load_dwordx4 s[0:3], s[4:5], 0x60
	s_mov_b64 s[4:5], 0
	s_waitcnt lgkmcnt(0)
	v_mov_b32_e32 v4, s1
	v_mov_b32_e32 v5, s3
	s_movk_i32 s1, 0x89
	s_branch .LBB16_30
.LBB16_29:                              ;   in Loop: Header=BB16_30 Depth=1
	s_or_b64 exec, exec, s[8:9]
	v_add_u32_e32 v2, 0x400, v2
	v_cmp_le_i32_e32 vcc, s20, v2
	s_or_b64 s[4:5], vcc, s[4:5]
	s_andn2_b64 exec, exec, s[4:5]
	s_cbranch_execz .LBB16_42
.LBB16_30:                              ; =>This Loop Header: Depth=1
                                        ;     Child Loop BB16_32 Depth 2
	v_ashrrev_i32_e32 v3, 31, v2
	v_lshlrev_b64 v[6:7], 2, v[2:3]
	v_add_co_u32_e32 v8, vcc, s0, v6
	v_addc_co_u32_e32 v9, vcc, v4, v7, vcc
	global_load_dword v3, v[8:9], off
	v_add_co_u32_e32 v6, vcc, s2, v6
	v_addc_co_u32_e32 v7, vcc, v5, v7, vcc
	global_load_dword v6, v[6:7], off
	s_mov_b64 s[8:9], 0
	s_waitcnt vmcnt(1)
	v_subrev_u32_e32 v3, s67, v3
	v_mul_lo_u32 v7, v3, s1
	v_and_b32_e32 v7, 0x1fff, v7
	s_waitcnt vmcnt(0)
	v_mul_f32_e32 v6, v1, v6
	s_branch .LBB16_32
.LBB16_31:                              ;   in Loop: Header=BB16_32 Depth=2
	s_or_b64 exec, exec, s[10:11]
	s_xor_b64 s[10:11], s[12:13], -1
	s_and_b64 s[10:11], exec, s[10:11]
	s_or_b64 s[8:9], s[10:11], s[8:9]
	s_andn2_b64 exec, exec, s[8:9]
	s_cbranch_execz .LBB16_29
.LBB16_32:                              ;   Parent Loop BB16_30 Depth=1
                                        ; =>  This Inner Loop Header: Depth=2
	v_lshl_add_u32 v8, v7, 2, 0
	ds_read_b32 v9, v8
                                        ; implicit-def: $sgpr12_sgpr13
	s_waitcnt lgkmcnt(0)
	v_cmp_ne_u32_e32 vcc, v9, v3
	s_and_saveexec_b64 s[10:11], vcc
	s_xor_b64 s[10:11], exec, s[10:11]
	s_cbranch_execz .LBB16_40
; %bb.33:                               ;   in Loop: Header=BB16_32 Depth=2
	v_cmp_ne_u32_e32 vcc, s33, v9
                                        ; implicit-def: $sgpr12_sgpr13
	s_and_saveexec_b64 s[14:15], vcc
	s_xor_b64 s[14:15], exec, s[14:15]
; %bb.34:                               ;   in Loop: Header=BB16_32 Depth=2
	v_add_u32_e32 v7, 1, v7
	v_and_b32_e32 v7, 0x1fff, v7
	s_mov_b64 s[12:13], -1
                                        ; implicit-def: $vgpr8
; %bb.35:                               ;   in Loop: Header=BB16_32 Depth=2
	s_andn2_saveexec_b64 s[14:15], s[14:15]
	s_cbranch_execz .LBB16_39
; %bb.36:                               ;   in Loop: Header=BB16_32 Depth=2
	v_mov_b32_e32 v9, s33
	ds_cmpst_rtn_b32 v9, v8, v9, v3
	s_mov_b64 s[16:17], -1
	s_waitcnt lgkmcnt(0)
	v_cmp_eq_u32_e32 vcc, s33, v9
	s_and_saveexec_b64 s[18:19], vcc
	s_cbranch_execz .LBB16_38
; %bb.37:                               ;   in Loop: Header=BB16_32 Depth=2
	ds_add_f32 v8, v6 offset:32768
	s_xor_b64 s[16:17], exec, -1
.LBB16_38:                              ;   in Loop: Header=BB16_32 Depth=2
	s_or_b64 exec, exec, s[18:19]
	s_andn2_b64 s[12:13], s[12:13], exec
	s_and_b64 s[16:17], s[16:17], exec
	s_or_b64 s[12:13], s[12:13], s[16:17]
.LBB16_39:                              ;   in Loop: Header=BB16_32 Depth=2
	s_or_b64 exec, exec, s[14:15]
	s_and_b64 s[12:13], s[12:13], exec
                                        ; implicit-def: $vgpr8
.LBB16_40:                              ;   in Loop: Header=BB16_32 Depth=2
	s_andn2_saveexec_b64 s[10:11], s[10:11]
	s_cbranch_execz .LBB16_31
; %bb.41:                               ;   in Loop: Header=BB16_32 Depth=2
	ds_add_f32 v8, v6 offset:32768
	s_andn2_b64 s[12:13], s[12:13], exec
	s_branch .LBB16_31
.LBB16_42:
	s_or_b64 exec, exec, s[6:7]
.LBB16_43:
	v_writelane_b32 v24, s24, 6
	v_writelane_b32 v24, s25, 7
	s_add_i32 s0, 0, 0x10000
	v_writelane_b32 v24, s0, 8
	s_add_i32 s60, 0, 0x10004
	;; [unrolled: 2-line block ×6, first 2 shown]
	v_lshrrev_b32_e32 v4, 3, v0
	v_writelane_b32 v24, s60, 13
	s_add_i32 s60, 0, 0x10018
	v_mbcnt_lo_u32_b32 v2, -1, 0
	v_and_b32_e32 v4, 0x7c, v4
	v_writelane_b32 v24, s60, 14
	s_add_i32 s60, 0, 0x1001c
	v_mbcnt_hi_u32_b32 v2, -1, v2
	v_add_u32_e32 v6, s0, v4
	s_movk_i32 s0, 0x3ff
	v_writelane_b32 v24, s60, 15
	s_add_i32 s60, 0, 0x10020
	v_sub_u32_e32 v2, 63, v2
	v_cmp_eq_u32_e32 vcc, s0, v0
	s_movk_i32 s0, 0x5f
	s_movk_i32 s2, 0x7f
	;; [unrolled: 1-line block ×29, first 2 shown]
	v_writelane_b32 v24, s60, 16
	s_add_i32 s60, 0, 0x10024
	v_mov_b32_e32 v1, 0
	v_lshrrev_b64 v[2:3], v2, -1
	v_cmp_lt_u32_e64 s[0:1], s0, v0
	v_cmp_lt_u32_e64 s[2:3], s2, v0
	;; [unrolled: 1-line block ×29, first 2 shown]
	v_or_b32_e32 v7, 0xfffffc00, v0
	v_lshl_add_u32 v8, v0, 2, 0
	v_writelane_b32 v24, s60, 17
	s_add_i32 s88, 0, 0x10028
	s_add_i32 s89, 0, 0x1002c
	;; [unrolled: 1-line block ×22, first 2 shown]
	s_movk_i32 s85, 0x1bff
	v_cmp_lt_u32_e64 s[60:61], 31, v0
	v_cmp_lt_u32_e64 s[62:63], 63, v0
	s_mov_b64 s[76:77], 0
	s_waitcnt lgkmcnt(0)
	s_barrier
	s_branch .LBB16_45
.LBB16_44:                              ;   in Loop: Header=BB16_45 Depth=1
	s_or_b64 exec, exec, s[64:65]
	v_mov_b32_e32 v4, s84
	s_waitcnt lgkmcnt(0)
	s_barrier
	ds_read_b32 v4, v4
	v_add_u32_e32 v7, 0x400, v7
	v_cmp_lt_u32_e64 s[64:65], s85, v7
	s_or_b64 s[76:77], s[64:65], s[76:77]
	v_add_u32_e32 v8, 0x1000, v8
	s_waitcnt lgkmcnt(0)
	v_add_u32_e32 v1, v4, v1
	s_andn2_b64 exec, exec, s[76:77]
	s_cbranch_execz .LBB16_111
.LBB16_45:                              ; =>This Inner Loop Header: Depth=1
	ds_read2st64_b32 v[4:5], v8 offset1:128
	s_waitcnt lgkmcnt(0)
	s_barrier
	v_cmp_gt_i32_e64 s[64:65], s33, v4
	v_and_b32_e32 v10, s64, v2
	s_bcnt1_i32_b64 s78, s[64:65]
	v_and_b32_e32 v9, s65, v3
	v_bcnt_u32_b32 v10, v10, 0
	v_bcnt_u32_b32 v9, v9, v10
	v_mov_b32_e32 v10, s78
	ds_write_b32 v6, v10
	s_waitcnt lgkmcnt(0)
	s_barrier
	s_and_saveexec_b64 s[78:79], s[60:61]
	s_cbranch_execnz .LBB16_78
; %bb.46:                               ;   in Loop: Header=BB16_45 Depth=1
	s_or_b64 exec, exec, s[78:79]
	s_and_saveexec_b64 s[78:79], s[62:63]
	s_cbranch_execnz .LBB16_79
.LBB16_47:                              ;   in Loop: Header=BB16_45 Depth=1
	s_or_b64 exec, exec, s[78:79]
	s_and_saveexec_b64 s[78:79], s[0:1]
	s_cbranch_execnz .LBB16_80
.LBB16_48:                              ;   in Loop: Header=BB16_45 Depth=1
	s_or_b64 exec, exec, s[78:79]
	s_and_saveexec_b64 s[78:79], s[2:3]
	s_cbranch_execnz .LBB16_81
.LBB16_49:                              ;   in Loop: Header=BB16_45 Depth=1
	s_or_b64 exec, exec, s[78:79]
	s_and_saveexec_b64 s[78:79], s[4:5]
	s_cbranch_execnz .LBB16_82
.LBB16_50:                              ;   in Loop: Header=BB16_45 Depth=1
	s_or_b64 exec, exec, s[78:79]
	s_and_saveexec_b64 s[78:79], s[6:7]
	s_cbranch_execnz .LBB16_83
.LBB16_51:                              ;   in Loop: Header=BB16_45 Depth=1
	s_or_b64 exec, exec, s[78:79]
	s_and_saveexec_b64 s[78:79], s[8:9]
	s_cbranch_execnz .LBB16_84
.LBB16_52:                              ;   in Loop: Header=BB16_45 Depth=1
	s_or_b64 exec, exec, s[78:79]
	s_and_saveexec_b64 s[78:79], s[10:11]
	s_cbranch_execnz .LBB16_85
.LBB16_53:                              ;   in Loop: Header=BB16_45 Depth=1
	s_or_b64 exec, exec, s[78:79]
	s_and_saveexec_b64 s[78:79], s[12:13]
	s_cbranch_execnz .LBB16_86
.LBB16_54:                              ;   in Loop: Header=BB16_45 Depth=1
	s_or_b64 exec, exec, s[78:79]
	s_and_saveexec_b64 s[78:79], s[14:15]
	s_cbranch_execnz .LBB16_87
.LBB16_55:                              ;   in Loop: Header=BB16_45 Depth=1
	s_or_b64 exec, exec, s[78:79]
	s_and_saveexec_b64 s[78:79], s[16:17]
	s_cbranch_execnz .LBB16_88
.LBB16_56:                              ;   in Loop: Header=BB16_45 Depth=1
	s_or_b64 exec, exec, s[78:79]
	s_and_saveexec_b64 s[78:79], s[18:19]
	s_cbranch_execnz .LBB16_89
.LBB16_57:                              ;   in Loop: Header=BB16_45 Depth=1
	s_or_b64 exec, exec, s[78:79]
	s_and_saveexec_b64 s[78:79], s[20:21]
	s_cbranch_execnz .LBB16_90
.LBB16_58:                              ;   in Loop: Header=BB16_45 Depth=1
	s_or_b64 exec, exec, s[78:79]
	s_and_saveexec_b64 s[78:79], s[22:23]
	s_cbranch_execnz .LBB16_91
.LBB16_59:                              ;   in Loop: Header=BB16_45 Depth=1
	s_or_b64 exec, exec, s[78:79]
	s_and_saveexec_b64 s[78:79], s[24:25]
	s_cbranch_execnz .LBB16_92
.LBB16_60:                              ;   in Loop: Header=BB16_45 Depth=1
	s_or_b64 exec, exec, s[78:79]
	s_and_saveexec_b64 s[78:79], s[26:27]
	s_cbranch_execnz .LBB16_93
.LBB16_61:                              ;   in Loop: Header=BB16_45 Depth=1
	s_or_b64 exec, exec, s[78:79]
	s_and_saveexec_b64 s[78:79], s[28:29]
	s_cbranch_execnz .LBB16_94
.LBB16_62:                              ;   in Loop: Header=BB16_45 Depth=1
	s_or_b64 exec, exec, s[78:79]
	s_and_saveexec_b64 s[78:79], s[30:31]
	s_cbranch_execnz .LBB16_95
.LBB16_63:                              ;   in Loop: Header=BB16_45 Depth=1
	s_or_b64 exec, exec, s[78:79]
	s_and_saveexec_b64 s[78:79], s[34:35]
	s_cbranch_execnz .LBB16_96
.LBB16_64:                              ;   in Loop: Header=BB16_45 Depth=1
	s_or_b64 exec, exec, s[78:79]
	s_and_saveexec_b64 s[78:79], s[36:37]
	s_cbranch_execnz .LBB16_97
.LBB16_65:                              ;   in Loop: Header=BB16_45 Depth=1
	s_or_b64 exec, exec, s[78:79]
	s_and_saveexec_b64 s[78:79], s[38:39]
	s_cbranch_execnz .LBB16_98
.LBB16_66:                              ;   in Loop: Header=BB16_45 Depth=1
	s_or_b64 exec, exec, s[78:79]
	s_and_saveexec_b64 s[78:79], s[40:41]
	s_cbranch_execnz .LBB16_99
.LBB16_67:                              ;   in Loop: Header=BB16_45 Depth=1
	s_or_b64 exec, exec, s[78:79]
	s_and_saveexec_b64 s[78:79], s[42:43]
	s_cbranch_execnz .LBB16_100
.LBB16_68:                              ;   in Loop: Header=BB16_45 Depth=1
	s_or_b64 exec, exec, s[78:79]
	s_and_saveexec_b64 s[78:79], s[44:45]
	s_cbranch_execnz .LBB16_101
.LBB16_69:                              ;   in Loop: Header=BB16_45 Depth=1
	s_or_b64 exec, exec, s[78:79]
	s_and_saveexec_b64 s[78:79], s[46:47]
	s_cbranch_execnz .LBB16_102
.LBB16_70:                              ;   in Loop: Header=BB16_45 Depth=1
	s_or_b64 exec, exec, s[78:79]
	s_and_saveexec_b64 s[78:79], s[48:49]
	s_cbranch_execnz .LBB16_103
.LBB16_71:                              ;   in Loop: Header=BB16_45 Depth=1
	s_or_b64 exec, exec, s[78:79]
	s_and_saveexec_b64 s[78:79], s[50:51]
	s_cbranch_execnz .LBB16_104
.LBB16_72:                              ;   in Loop: Header=BB16_45 Depth=1
	s_or_b64 exec, exec, s[78:79]
	s_and_saveexec_b64 s[78:79], s[52:53]
	s_cbranch_execnz .LBB16_105
.LBB16_73:                              ;   in Loop: Header=BB16_45 Depth=1
	s_or_b64 exec, exec, s[78:79]
	s_and_saveexec_b64 s[78:79], s[54:55]
	s_cbranch_execnz .LBB16_106
.LBB16_74:                              ;   in Loop: Header=BB16_45 Depth=1
	s_or_b64 exec, exec, s[78:79]
	s_and_saveexec_b64 s[78:79], s[56:57]
	s_cbranch_execnz .LBB16_107
.LBB16_75:                              ;   in Loop: Header=BB16_45 Depth=1
	s_or_b64 exec, exec, s[78:79]
	s_and_saveexec_b64 s[78:79], s[58:59]
	s_cbranch_execnz .LBB16_108
.LBB16_76:                              ;   in Loop: Header=BB16_45 Depth=1
	s_or_b64 exec, exec, s[78:79]
	s_and_saveexec_b64 s[78:79], s[64:65]
	s_cbranch_execnz .LBB16_109
.LBB16_77:                              ;   in Loop: Header=BB16_45 Depth=1
	s_or_b64 exec, exec, s[78:79]
	s_and_saveexec_b64 s[64:65], vcc
	s_cbranch_execz .LBB16_44
	s_branch .LBB16_110
.LBB16_78:                              ;   in Loop: Header=BB16_45 Depth=1
	v_readlane_b32 s86, v24, 8
	v_mov_b32_e32 v10, s86
	ds_read_b32 v10, v10
	s_waitcnt lgkmcnt(0)
	v_add_u32_e32 v9, v10, v9
	s_or_b64 exec, exec, s[78:79]
	s_and_saveexec_b64 s[78:79], s[62:63]
	s_cbranch_execz .LBB16_47
.LBB16_79:                              ;   in Loop: Header=BB16_45 Depth=1
	v_readlane_b32 s86, v24, 9
	v_mov_b32_e32 v10, s86
	ds_read_b32 v10, v10
	s_waitcnt lgkmcnt(0)
	v_add_u32_e32 v9, v10, v9
	s_or_b64 exec, exec, s[78:79]
	s_and_saveexec_b64 s[78:79], s[0:1]
	s_cbranch_execz .LBB16_48
.LBB16_80:                              ;   in Loop: Header=BB16_45 Depth=1
	v_readlane_b32 s86, v24, 10
	v_mov_b32_e32 v10, s86
	ds_read_b32 v10, v10
	s_waitcnt lgkmcnt(0)
	v_add_u32_e32 v9, v10, v9
	s_or_b64 exec, exec, s[78:79]
	s_and_saveexec_b64 s[78:79], s[2:3]
	s_cbranch_execz .LBB16_49
.LBB16_81:                              ;   in Loop: Header=BB16_45 Depth=1
	v_readlane_b32 s86, v24, 11
	v_mov_b32_e32 v10, s86
	ds_read_b32 v10, v10
	s_waitcnt lgkmcnt(0)
	v_add_u32_e32 v9, v10, v9
	s_or_b64 exec, exec, s[78:79]
	s_and_saveexec_b64 s[78:79], s[4:5]
	s_cbranch_execz .LBB16_50
.LBB16_82:                              ;   in Loop: Header=BB16_45 Depth=1
	v_readlane_b32 s86, v24, 12
	v_mov_b32_e32 v10, s86
	ds_read_b32 v10, v10
	s_waitcnt lgkmcnt(0)
	v_add_u32_e32 v9, v10, v9
	s_or_b64 exec, exec, s[78:79]
	s_and_saveexec_b64 s[78:79], s[6:7]
	s_cbranch_execz .LBB16_51
.LBB16_83:                              ;   in Loop: Header=BB16_45 Depth=1
	v_readlane_b32 s86, v24, 13
	v_mov_b32_e32 v10, s86
	ds_read_b32 v10, v10
	s_waitcnt lgkmcnt(0)
	v_add_u32_e32 v9, v10, v9
	s_or_b64 exec, exec, s[78:79]
	s_and_saveexec_b64 s[78:79], s[8:9]
	s_cbranch_execz .LBB16_52
.LBB16_84:                              ;   in Loop: Header=BB16_45 Depth=1
	v_readlane_b32 s86, v24, 14
	v_mov_b32_e32 v10, s86
	ds_read_b32 v10, v10
	s_waitcnt lgkmcnt(0)
	v_add_u32_e32 v9, v10, v9
	s_or_b64 exec, exec, s[78:79]
	s_and_saveexec_b64 s[78:79], s[10:11]
	s_cbranch_execz .LBB16_53
.LBB16_85:                              ;   in Loop: Header=BB16_45 Depth=1
	v_readlane_b32 s86, v24, 15
	v_mov_b32_e32 v10, s86
	ds_read_b32 v10, v10
	s_waitcnt lgkmcnt(0)
	v_add_u32_e32 v9, v10, v9
	s_or_b64 exec, exec, s[78:79]
	s_and_saveexec_b64 s[78:79], s[12:13]
	s_cbranch_execz .LBB16_54
.LBB16_86:                              ;   in Loop: Header=BB16_45 Depth=1
	v_readlane_b32 s86, v24, 16
	v_mov_b32_e32 v10, s86
	ds_read_b32 v10, v10
	s_waitcnt lgkmcnt(0)
	v_add_u32_e32 v9, v10, v9
	s_or_b64 exec, exec, s[78:79]
	s_and_saveexec_b64 s[78:79], s[14:15]
	s_cbranch_execz .LBB16_55
.LBB16_87:                              ;   in Loop: Header=BB16_45 Depth=1
	v_readlane_b32 s86, v24, 17
	v_mov_b32_e32 v10, s86
	ds_read_b32 v10, v10
	s_waitcnt lgkmcnt(0)
	v_add_u32_e32 v9, v10, v9
	s_or_b64 exec, exec, s[78:79]
	s_and_saveexec_b64 s[78:79], s[16:17]
	s_cbranch_execz .LBB16_56
.LBB16_88:                              ;   in Loop: Header=BB16_45 Depth=1
	v_mov_b32_e32 v10, s88
	ds_read_b32 v10, v10
	s_waitcnt lgkmcnt(0)
	v_add_u32_e32 v9, v10, v9
	s_or_b64 exec, exec, s[78:79]
	s_and_saveexec_b64 s[78:79], s[18:19]
	s_cbranch_execz .LBB16_57
.LBB16_89:                              ;   in Loop: Header=BB16_45 Depth=1
	v_mov_b32_e32 v10, s89
	ds_read_b32 v10, v10
	s_waitcnt lgkmcnt(0)
	v_add_u32_e32 v9, v10, v9
	s_or_b64 exec, exec, s[78:79]
	s_and_saveexec_b64 s[78:79], s[20:21]
	s_cbranch_execz .LBB16_58
.LBB16_90:                              ;   in Loop: Header=BB16_45 Depth=1
	v_mov_b32_e32 v10, s90
	ds_read_b32 v10, v10
	s_waitcnt lgkmcnt(0)
	v_add_u32_e32 v9, v10, v9
	s_or_b64 exec, exec, s[78:79]
	s_and_saveexec_b64 s[78:79], s[22:23]
	s_cbranch_execz .LBB16_59
.LBB16_91:                              ;   in Loop: Header=BB16_45 Depth=1
	v_mov_b32_e32 v10, s91
	ds_read_b32 v10, v10
	s_waitcnt lgkmcnt(0)
	v_add_u32_e32 v9, v10, v9
	s_or_b64 exec, exec, s[78:79]
	s_and_saveexec_b64 s[78:79], s[24:25]
	s_cbranch_execz .LBB16_60
.LBB16_92:                              ;   in Loop: Header=BB16_45 Depth=1
	v_mov_b32_e32 v10, s92
	ds_read_b32 v10, v10
	s_waitcnt lgkmcnt(0)
	v_add_u32_e32 v9, v10, v9
	s_or_b64 exec, exec, s[78:79]
	s_and_saveexec_b64 s[78:79], s[26:27]
	s_cbranch_execz .LBB16_61
.LBB16_93:                              ;   in Loop: Header=BB16_45 Depth=1
	v_mov_b32_e32 v10, s93
	ds_read_b32 v10, v10
	s_waitcnt lgkmcnt(0)
	v_add_u32_e32 v9, v10, v9
	s_or_b64 exec, exec, s[78:79]
	s_and_saveexec_b64 s[78:79], s[28:29]
	s_cbranch_execz .LBB16_62
.LBB16_94:                              ;   in Loop: Header=BB16_45 Depth=1
	v_mov_b32_e32 v10, s94
	ds_read_b32 v10, v10
	s_waitcnt lgkmcnt(0)
	v_add_u32_e32 v9, v10, v9
	s_or_b64 exec, exec, s[78:79]
	s_and_saveexec_b64 s[78:79], s[30:31]
	s_cbranch_execz .LBB16_63
.LBB16_95:                              ;   in Loop: Header=BB16_45 Depth=1
	v_mov_b32_e32 v10, s95
	ds_read_b32 v10, v10
	s_waitcnt lgkmcnt(0)
	v_add_u32_e32 v9, v10, v9
	s_or_b64 exec, exec, s[78:79]
	s_and_saveexec_b64 s[78:79], s[34:35]
	s_cbranch_execz .LBB16_64
.LBB16_96:                              ;   in Loop: Header=BB16_45 Depth=1
	v_mov_b32_e32 v10, s74
	ds_read_b32 v10, v10
	s_waitcnt lgkmcnt(0)
	v_add_u32_e32 v9, v10, v9
	s_or_b64 exec, exec, s[78:79]
	s_and_saveexec_b64 s[78:79], s[36:37]
	s_cbranch_execz .LBB16_65
.LBB16_97:                              ;   in Loop: Header=BB16_45 Depth=1
	v_mov_b32_e32 v10, s72
	ds_read_b32 v10, v10
	s_waitcnt lgkmcnt(0)
	v_add_u32_e32 v9, v10, v9
	s_or_b64 exec, exec, s[78:79]
	s_and_saveexec_b64 s[78:79], s[38:39]
	s_cbranch_execz .LBB16_66
.LBB16_98:                              ;   in Loop: Header=BB16_45 Depth=1
	v_mov_b32_e32 v10, s73
	ds_read_b32 v10, v10
	s_waitcnt lgkmcnt(0)
	v_add_u32_e32 v9, v10, v9
	s_or_b64 exec, exec, s[78:79]
	s_and_saveexec_b64 s[78:79], s[40:41]
	s_cbranch_execz .LBB16_67
.LBB16_99:                              ;   in Loop: Header=BB16_45 Depth=1
	v_mov_b32_e32 v10, s68
	ds_read_b32 v10, v10
	s_waitcnt lgkmcnt(0)
	v_add_u32_e32 v9, v10, v9
	s_or_b64 exec, exec, s[78:79]
	s_and_saveexec_b64 s[78:79], s[42:43]
	s_cbranch_execz .LBB16_68
.LBB16_100:                             ;   in Loop: Header=BB16_45 Depth=1
	v_mov_b32_e32 v10, s69
	ds_read_b32 v10, v10
	s_waitcnt lgkmcnt(0)
	v_add_u32_e32 v9, v10, v9
	s_or_b64 exec, exec, s[78:79]
	s_and_saveexec_b64 s[78:79], s[44:45]
	s_cbranch_execz .LBB16_69
.LBB16_101:                             ;   in Loop: Header=BB16_45 Depth=1
	v_mov_b32_e32 v10, s70
	ds_read_b32 v10, v10
	s_waitcnt lgkmcnt(0)
	v_add_u32_e32 v9, v10, v9
	s_or_b64 exec, exec, s[78:79]
	s_and_saveexec_b64 s[78:79], s[46:47]
	s_cbranch_execz .LBB16_70
.LBB16_102:                             ;   in Loop: Header=BB16_45 Depth=1
	v_mov_b32_e32 v10, s71
	ds_read_b32 v10, v10
	s_waitcnt lgkmcnt(0)
	v_add_u32_e32 v9, v10, v9
	s_or_b64 exec, exec, s[78:79]
	s_and_saveexec_b64 s[78:79], s[48:49]
	s_cbranch_execz .LBB16_71
.LBB16_103:                             ;   in Loop: Header=BB16_45 Depth=1
	v_mov_b32_e32 v10, s67
	ds_read_b32 v10, v10
	s_waitcnt lgkmcnt(0)
	v_add_u32_e32 v9, v10, v9
	s_or_b64 exec, exec, s[78:79]
	s_and_saveexec_b64 s[78:79], s[50:51]
	s_cbranch_execz .LBB16_72
.LBB16_104:                             ;   in Loop: Header=BB16_45 Depth=1
	v_mov_b32_e32 v10, s75
	ds_read_b32 v10, v10
	s_waitcnt lgkmcnt(0)
	v_add_u32_e32 v9, v10, v9
	s_or_b64 exec, exec, s[78:79]
	s_and_saveexec_b64 s[78:79], s[52:53]
	s_cbranch_execz .LBB16_73
.LBB16_105:                             ;   in Loop: Header=BB16_45 Depth=1
	v_mov_b32_e32 v10, s80
	ds_read_b32 v10, v10
	s_waitcnt lgkmcnt(0)
	v_add_u32_e32 v9, v10, v9
	s_or_b64 exec, exec, s[78:79]
	s_and_saveexec_b64 s[78:79], s[54:55]
	s_cbranch_execz .LBB16_74
.LBB16_106:                             ;   in Loop: Header=BB16_45 Depth=1
	v_mov_b32_e32 v10, s81
	ds_read_b32 v10, v10
	s_waitcnt lgkmcnt(0)
	v_add_u32_e32 v9, v10, v9
	s_or_b64 exec, exec, s[78:79]
	s_and_saveexec_b64 s[78:79], s[56:57]
	s_cbranch_execz .LBB16_75
.LBB16_107:                             ;   in Loop: Header=BB16_45 Depth=1
	v_mov_b32_e32 v10, s82
	ds_read_b32 v10, v10
	s_waitcnt lgkmcnt(0)
	v_add_u32_e32 v9, v10, v9
	s_or_b64 exec, exec, s[78:79]
	s_and_saveexec_b64 s[78:79], s[58:59]
	s_cbranch_execz .LBB16_76
.LBB16_108:                             ;   in Loop: Header=BB16_45 Depth=1
	v_mov_b32_e32 v10, s83
	ds_read_b32 v10, v10
	s_waitcnt lgkmcnt(0)
	v_add_u32_e32 v9, v10, v9
	s_or_b64 exec, exec, s[78:79]
	s_and_saveexec_b64 s[78:79], s[64:65]
	s_cbranch_execz .LBB16_77
.LBB16_109:                             ;   in Loop: Header=BB16_45 Depth=1
	v_add3_u32 v10, v1, -1, v9
	v_lshl_add_u32 v10, v10, 2, 0
	ds_write2st64_b32 v10, v4, v5 offset1:128
	s_or_b64 exec, exec, s[78:79]
	s_and_saveexec_b64 s[64:65], vcc
	s_cbranch_execz .LBB16_44
.LBB16_110:                             ;   in Loop: Header=BB16_45 Depth=1
	v_mov_b32_e32 v4, s84
	ds_write_b32 v4, v9
	s_branch .LBB16_44
.LBB16_111:
	s_or_b64 exec, exec, s[76:77]
	v_readlane_b32 s0, v24, 0
	v_readlane_b32 s1, v24, 1
	s_ashr_i32 s1, s0, 31
	s_lshl_b64 s[0:1], s[0:1], 2
	v_readlane_b32 s4, v24, 2
	v_readlane_b32 s5, v24, 3
	s_add_u32 s0, s4, s0
	s_addc_u32 s1, s5, s1
	s_load_dwordx2 s[0:1], s[0:1], 0x0
	v_readlane_b32 s6, v24, 4
	v_readlane_b32 s7, v24, 5
	s_waitcnt lgkmcnt(0)
	s_sub_i32 s14, s1, s0
	v_cmp_gt_i32_e32 vcc, s14, v0
	s_and_saveexec_b64 s[2:3], vcc
	v_readlane_b32 s22, v24, 6
	v_readlane_b32 s23, v24, 7
	s_cbranch_execz .LBB16_126
; %bb.112:
	s_sub_i32 s6, s0, s66
	s_add_i32 s0, s14, -2
	s_lshr_b32 s1, s0, 1
	s_add_i32 s2, s1, 1
	s_cmp_gt_u32 s14, 1
	s_cselect_b64 s[8:9], -1, 0
	s_and_b32 s15, s14, -2
	s_and_b32 s4, s2, 7
	s_cmp_gt_u32 s0, 13
	s_cselect_b64 s[0:1], -1, 0
	s_and_b32 s16, s2, -8
	s_cmp_lg_u32 s4, 0
	s_cselect_b64 s[2:3], -1, 0
	v_cndmask_b32_e64 v1, 0, 1, s[0:1]
	v_readlane_b32 s24, v24, 2
	s_cmp_lg_u32 s14, s15
	v_cmp_ne_u32_e64 s[0:1], 1, v1
	v_cndmask_b32_e64 v1, 0, 1, s[2:3]
	v_readlane_b32 s27, v24, 5
	s_mov_b32 s7, 0
	s_cselect_b64 s[10:11], -1, 0
	s_lshl_b32 s17, s4, 3
	s_mov_b64 s[12:13], 0
	v_cmp_ne_u32_e64 s[2:3], 1, v1
	v_mov_b32_e32 v1, s27
	v_mov_b32_e32 v6, s23
	v_readlane_b32 s25, v24, 3
	v_readlane_b32 s26, v24, 4
	s_branch .LBB16_114
.LBB16_113:                             ;   in Loop: Header=BB16_114 Depth=1
	v_ashrrev_i32_e32 v5, 31, v4
	v_readlane_b32 s24, v24, 2
	v_lshlrev_b64 v[4:5], 2, v[4:5]
	v_readlane_b32 s26, v24, 4
	v_add_co_u32_e32 v8, vcc, s26, v4
	v_addc_co_u32_e32 v9, vcc, v1, v5, vcc
	v_add_co_u32_e32 v4, vcc, s22, v4
	v_addc_co_u32_e32 v5, vcc, v6, v5, vcc
	v_add_u32_e32 v0, 0x400, v0
	v_cmp_le_i32_e32 vcc, s14, v0
	s_waitcnt lgkmcnt(0)
	v_add_u32_e32 v2, s66, v2
	s_or_b64 s[12:13], vcc, s[12:13]
	v_readlane_b32 s25, v24, 3
	v_readlane_b32 s27, v24, 5
	global_store_dword v[8:9], v2, off
	global_store_dword v[4:5], v3, off
	s_andn2_b64 exec, exec, s[12:13]
	s_cbranch_execz .LBB16_126
.LBB16_114:                             ; =>This Loop Header: Depth=1
                                        ;     Child Loop BB16_117 Depth 2
                                        ;     Child Loop BB16_122 Depth 2
	;; [unrolled: 1-line block ×3, first 2 shown]
	v_lshl_add_u32 v2, v0, 2, 0
	ds_read2st64_b32 v[2:3], v2 offset1:128
	s_and_b64 vcc, exec, s[8:9]
	s_cbranch_vccz .LBB16_119
; %bb.115:                              ;   in Loop: Header=BB16_114 Depth=1
	s_and_b64 vcc, exec, s[0:1]
	s_cbranch_vccnz .LBB16_120
; %bb.116:                              ;   in Loop: Header=BB16_114 Depth=1
	s_mov_b32 s19, 0
	v_mov_b32_e32 v4, s6
	v_mov_b32_e32 v5, 0
	s_mov_b32 s20, s16
	s_mov_b32 s18, 0
.LBB16_117:                             ;   Parent Loop BB16_114 Depth=1
                                        ; =>  This Inner Loop Header: Depth=2
	v_mov_b32_e32 v7, s19
	ds_read2_b32 v[8:9], v7 offset1:1
	ds_read2_b32 v[10:11], v7 offset0:2 offset1:3
	ds_read2_b32 v[12:13], v7 offset0:4 offset1:5
	ds_read2_b32 v[14:15], v7 offset0:6 offset1:7
	ds_read2_b32 v[16:17], v7 offset0:8 offset1:9
	ds_read2_b32 v[18:19], v7 offset0:10 offset1:11
	ds_read2_b32 v[20:21], v7 offset0:12 offset1:13
	ds_read2_b32 v[22:23], v7 offset0:14 offset1:15
	s_waitcnt lgkmcnt(7)
	v_cmp_gt_i32_e32 vcc, v2, v9
	s_waitcnt lgkmcnt(5)
	v_cmp_gt_i32_e64 s[4:5], v2, v12
	v_cndmask_b32_e64 v7, 0, 1, vcc
	v_cmp_gt_i32_e32 vcc, v2, v8
	v_cndmask_b32_e64 v9, 0, 1, s[4:5]
	v_cmp_gt_i32_e64 s[4:5], v2, v13
	v_cndmask_b32_e64 v8, 0, 1, vcc
	v_cmp_gt_i32_e32 vcc, v2, v11
	v_cndmask_b32_e64 v11, 0, 1, s[4:5]
	s_waitcnt lgkmcnt(3)
	v_cmp_gt_i32_e64 s[4:5], v2, v17
	v_cndmask_b32_e64 v12, 0, 1, s[4:5]
	v_cmp_gt_i32_e64 s[4:5], v2, v16
	v_cndmask_b32_e64 v13, 0, 1, s[4:5]
	s_waitcnt lgkmcnt(1)
	v_cmp_gt_i32_e64 s[4:5], v2, v20
	v_cndmask_b32_e64 v16, 0, 1, s[4:5]
	v_cmp_gt_i32_e64 s[4:5], v2, v21
	v_cndmask_b32_e64 v17, 0, 1, s[4:5]
	v_cmp_gt_i32_e64 s[4:5], v2, v10
	v_addc_co_u32_e64 v4, s[4:5], v4, v8, s[4:5]
	v_addc_co_u32_e32 v5, vcc, v5, v7, vcc
	v_cmp_gt_i32_e32 vcc, v2, v14
	v_cmp_gt_i32_e64 s[4:5], v2, v15
	v_addc_co_u32_e64 v5, s[4:5], v5, v11, s[4:5]
	v_addc_co_u32_e32 v4, vcc, v4, v9, vcc
	v_cmp_gt_i32_e32 vcc, v2, v19
	v_cmp_gt_i32_e64 s[4:5], v2, v18
	v_addc_co_u32_e64 v4, s[4:5], v4, v13, s[4:5]
	v_addc_co_u32_e32 v5, vcc, v5, v12, vcc
	s_add_i32 s18, s18, 16
	s_add_i32 s19, s19, 64
	s_add_i32 s20, s20, -8
	s_waitcnt lgkmcnt(0)
	v_cmp_gt_i32_e32 vcc, v2, v22
	v_cmp_gt_i32_e64 s[4:5], v2, v23
	s_cmp_lg_u32 s20, 0
	v_addc_co_u32_e64 v5, s[4:5], v5, v17, s[4:5]
	v_addc_co_u32_e32 v4, vcc, v4, v16, vcc
	s_cbranch_scc1 .LBB16_117
; %bb.118:                              ;   in Loop: Header=BB16_114 Depth=1
	s_and_b64 vcc, exec, s[2:3]
	s_cbranch_vccz .LBB16_121
	s_branch .LBB16_123
.LBB16_119:                             ;   in Loop: Header=BB16_114 Depth=1
	v_mov_b32_e32 v4, s6
	s_mov_b32 s18, 0
	s_cbranch_execz .LBB16_113
	s_branch .LBB16_124
.LBB16_120:                             ;   in Loop: Header=BB16_114 Depth=1
	v_pk_mov_b32 v[4:5], s[6:7], s[6:7] op_sel:[0,1]
	s_mov_b32 s18, 0
	s_and_b64 vcc, exec, s[2:3]
	s_cbranch_vccnz .LBB16_123
.LBB16_121:                             ;   in Loop: Header=BB16_114 Depth=1
	s_lshl_b32 s4, s18, 2
	s_add_i32 s4, s4, 0
	s_mov_b32 s5, s17
.LBB16_122:                             ;   Parent Loop BB16_114 Depth=1
                                        ; =>  This Inner Loop Header: Depth=2
	v_mov_b32_e32 v7, s4
	ds_read2_b32 v[8:9], v7 offset1:1
	s_add_i32 s4, s4, 8
	s_add_i32 s5, s5, -8
	s_cmp_lg_u32 s5, 0
	s_waitcnt lgkmcnt(0)
	v_cmp_gt_i32_e32 vcc, v2, v9
	v_addc_co_u32_e32 v5, vcc, 0, v5, vcc
	v_cmp_gt_i32_e32 vcc, v2, v8
	v_addc_co_u32_e32 v4, vcc, 0, v4, vcc
	s_cbranch_scc1 .LBB16_122
.LBB16_123:                             ;   in Loop: Header=BB16_114 Depth=1
	v_add_u32_e32 v4, v4, v5
	s_mov_b32 s18, s15
	s_mov_b64 s[4:5], s[10:11]
	s_and_b64 vcc, exec, s[4:5]
	s_cbranch_vccz .LBB16_113
.LBB16_124:                             ;   in Loop: Header=BB16_114 Depth=1
	s_lshl_b32 s4, s18, 2
	s_add_i32 s4, s4, 0
.LBB16_125:                             ;   Parent Loop BB16_114 Depth=1
                                        ; =>  This Inner Loop Header: Depth=2
	v_mov_b32_e32 v5, s4
	ds_read_b32 v5, v5
	s_add_i32 s18, s18, 1
	s_add_i32 s4, s4, 4
	s_cmp_ge_i32 s18, s14
	s_waitcnt lgkmcnt(0)
	v_cmp_gt_i32_e32 vcc, v2, v5
	v_addc_co_u32_e32 v4, vcc, 0, v4, vcc
	s_cbranch_scc0 .LBB16_125
	s_branch .LBB16_113
.LBB16_126:
	s_endpgm
	.section	.rodata,"a",@progbits
	.p2align	6, 0x0
	.amdhsa_kernel _ZN9rocsparseL26csrgemm_fill_block_per_rowILj1024ELj64ELj8192ELj137ELj32EiifEEvT5_PKS1_S3_NS_24const_host_device_scalarIT6_EEPKT4_S3_PKS5_S9_S3_SB_S6_S9_S3_SB_S9_PS1_PS5_21rocsparse_index_base_SE_SE_SE_bbb
		.amdhsa_group_segment_fixed_size 0
		.amdhsa_private_segment_fixed_size 0
		.amdhsa_kernarg_size 156
		.amdhsa_user_sgpr_count 6
		.amdhsa_user_sgpr_private_segment_buffer 1
		.amdhsa_user_sgpr_dispatch_ptr 0
		.amdhsa_user_sgpr_queue_ptr 0
		.amdhsa_user_sgpr_kernarg_segment_ptr 1
		.amdhsa_user_sgpr_dispatch_id 0
		.amdhsa_user_sgpr_flat_scratch_init 0
		.amdhsa_user_sgpr_kernarg_preload_length 0
		.amdhsa_user_sgpr_kernarg_preload_offset 0
		.amdhsa_user_sgpr_private_segment_size 0
		.amdhsa_uses_dynamic_stack 0
		.amdhsa_system_sgpr_private_segment_wavefront_offset 0
		.amdhsa_system_sgpr_workgroup_id_x 1
		.amdhsa_system_sgpr_workgroup_id_y 0
		.amdhsa_system_sgpr_workgroup_id_z 0
		.amdhsa_system_sgpr_workgroup_info 0
		.amdhsa_system_vgpr_workitem_id 0
		.amdhsa_next_free_vgpr 25
		.amdhsa_next_free_sgpr 96
		.amdhsa_accum_offset 28
		.amdhsa_reserve_vcc 1
		.amdhsa_reserve_flat_scratch 0
		.amdhsa_float_round_mode_32 0
		.amdhsa_float_round_mode_16_64 0
		.amdhsa_float_denorm_mode_32 3
		.amdhsa_float_denorm_mode_16_64 3
		.amdhsa_dx10_clamp 1
		.amdhsa_ieee_mode 1
		.amdhsa_fp16_overflow 0
		.amdhsa_tg_split 0
		.amdhsa_exception_fp_ieee_invalid_op 0
		.amdhsa_exception_fp_denorm_src 0
		.amdhsa_exception_fp_ieee_div_zero 0
		.amdhsa_exception_fp_ieee_overflow 0
		.amdhsa_exception_fp_ieee_underflow 0
		.amdhsa_exception_fp_ieee_inexact 0
		.amdhsa_exception_int_div_zero 0
	.end_amdhsa_kernel
	.section	.text._ZN9rocsparseL26csrgemm_fill_block_per_rowILj1024ELj64ELj8192ELj137ELj32EiifEEvT5_PKS1_S3_NS_24const_host_device_scalarIT6_EEPKT4_S3_PKS5_S9_S3_SB_S6_S9_S3_SB_S9_PS1_PS5_21rocsparse_index_base_SE_SE_SE_bbb,"axG",@progbits,_ZN9rocsparseL26csrgemm_fill_block_per_rowILj1024ELj64ELj8192ELj137ELj32EiifEEvT5_PKS1_S3_NS_24const_host_device_scalarIT6_EEPKT4_S3_PKS5_S9_S3_SB_S6_S9_S3_SB_S9_PS1_PS5_21rocsparse_index_base_SE_SE_SE_bbb,comdat
.Lfunc_end16:
	.size	_ZN9rocsparseL26csrgemm_fill_block_per_rowILj1024ELj64ELj8192ELj137ELj32EiifEEvT5_PKS1_S3_NS_24const_host_device_scalarIT6_EEPKT4_S3_PKS5_S9_S3_SB_S6_S9_S3_SB_S9_PS1_PS5_21rocsparse_index_base_SE_SE_SE_bbb, .Lfunc_end16-_ZN9rocsparseL26csrgemm_fill_block_per_rowILj1024ELj64ELj8192ELj137ELj32EiifEEvT5_PKS1_S3_NS_24const_host_device_scalarIT6_EEPKT4_S3_PKS5_S9_S3_SB_S6_S9_S3_SB_S9_PS1_PS5_21rocsparse_index_base_SE_SE_SE_bbb
                                        ; -- End function
	.section	.AMDGPU.csdata,"",@progbits
; Kernel info:
; codeLenInByte = 4856
; NumSgprs: 100
; NumVgprs: 25
; NumAgprs: 0
; TotalNumVgprs: 25
; ScratchSize: 0
; MemoryBound: 0
; FloatMode: 240
; IeeeMode: 1
; LDSByteSize: 0 bytes/workgroup (compile time only)
; SGPRBlocks: 12
; VGPRBlocks: 3
; NumSGPRsForWavesPerEU: 100
; NumVGPRsForWavesPerEU: 25
; AccumOffset: 28
; Occupancy: 8
; WaveLimiterHint : 1
; COMPUTE_PGM_RSRC2:SCRATCH_EN: 0
; COMPUTE_PGM_RSRC2:USER_SGPR: 6
; COMPUTE_PGM_RSRC2:TRAP_HANDLER: 0
; COMPUTE_PGM_RSRC2:TGID_X_EN: 1
; COMPUTE_PGM_RSRC2:TGID_Y_EN: 0
; COMPUTE_PGM_RSRC2:TGID_Z_EN: 0
; COMPUTE_PGM_RSRC2:TIDIG_COMP_CNT: 0
; COMPUTE_PGM_RSRC3_GFX90A:ACCUM_OFFSET: 6
; COMPUTE_PGM_RSRC3_GFX90A:TG_SPLIT: 0
	.section	.text._ZN9rocsparseL26csrgemm_fill_block_per_rowILj1024ELj64ELj8192ELj137ELj64EiifEEvT5_PKS1_S3_NS_24const_host_device_scalarIT6_EEPKT4_S3_PKS5_S9_S3_SB_S6_S9_S3_SB_S9_PS1_PS5_21rocsparse_index_base_SE_SE_SE_bbb,"axG",@progbits,_ZN9rocsparseL26csrgemm_fill_block_per_rowILj1024ELj64ELj8192ELj137ELj64EiifEEvT5_PKS1_S3_NS_24const_host_device_scalarIT6_EEPKT4_S3_PKS5_S9_S3_SB_S6_S9_S3_SB_S9_PS1_PS5_21rocsparse_index_base_SE_SE_SE_bbb,comdat
	.globl	_ZN9rocsparseL26csrgemm_fill_block_per_rowILj1024ELj64ELj8192ELj137ELj64EiifEEvT5_PKS1_S3_NS_24const_host_device_scalarIT6_EEPKT4_S3_PKS5_S9_S3_SB_S6_S9_S3_SB_S9_PS1_PS5_21rocsparse_index_base_SE_SE_SE_bbb ; -- Begin function _ZN9rocsparseL26csrgemm_fill_block_per_rowILj1024ELj64ELj8192ELj137ELj64EiifEEvT5_PKS1_S3_NS_24const_host_device_scalarIT6_EEPKT4_S3_PKS5_S9_S3_SB_S6_S9_S3_SB_S9_PS1_PS5_21rocsparse_index_base_SE_SE_SE_bbb
	.p2align	8
	.type	_ZN9rocsparseL26csrgemm_fill_block_per_rowILj1024ELj64ELj8192ELj137ELj64EiifEEvT5_PKS1_S3_NS_24const_host_device_scalarIT6_EEPKT4_S3_PKS5_S9_S3_SB_S6_S9_S3_SB_S9_PS1_PS5_21rocsparse_index_base_SE_SE_SE_bbb,@function
_ZN9rocsparseL26csrgemm_fill_block_per_rowILj1024ELj64ELj8192ELj137ELj64EiifEEvT5_PKS1_S3_NS_24const_host_device_scalarIT6_EEPKT4_S3_PKS5_S9_S3_SB_S6_S9_S3_SB_S9_PS1_PS5_21rocsparse_index_base_SE_SE_SE_bbb: ; @_ZN9rocsparseL26csrgemm_fill_block_per_rowILj1024ELj64ELj8192ELj137ELj64EiifEEvT5_PKS1_S3_NS_24const_host_device_scalarIT6_EEPKT4_S3_PKS5_S9_S3_SB_S6_S9_S3_SB_S9_PS1_PS5_21rocsparse_index_base_SE_SE_SE_bbb
; %bb.0:
	s_load_dword s7, s[4:5], 0x98
	s_load_dwordx4 s[8:11], s[4:5], 0x8
	s_load_dwordx2 s[0:1], s[4:5], 0x18
	s_load_dwordx4 s[36:39], s[4:5], 0x88
	s_load_dwordx2 s[12:13], s[4:5], 0x50
	s_waitcnt lgkmcnt(0)
	s_bitcmp1_b32 s7, 0
	s_cselect_b64 s[2:3], -1, 0
	s_bitcmp1_b32 s7, 16
	s_cselect_b64 s[14:15], -1, 0
	s_xor_b64 s[16:17], s[2:3], -1
	s_or_b64 s[16:17], s[16:17], s[14:15]
	s_and_b64 vcc, exec, s[16:17]
	s_cbranch_vccnz .LBB17_2
; %bb.1:
	s_load_dword s0, s[0:1], 0x0
	s_waitcnt lgkmcnt(0)
	v_mov_b32_e32 v9, s0
	s_branch .LBB17_3
.LBB17_2:
	v_mov_b32_e32 v1, s0
	v_cndmask_b32_e64 v9, 0, v1, s[2:3]
.LBB17_3:
	s_bitcmp1_b32 s7, 8
	s_cselect_b64 s[0:1], -1, 0
	s_xor_b64 s[16:17], s[0:1], -1
	s_or_b64 s[14:15], s[16:17], s[14:15]
	s_mov_b32 s7, 0
	s_and_b64 vcc, exec, s[14:15]
	s_cbranch_vccnz .LBB17_5
; %bb.4:
	s_load_dword s12, s[12:13], 0x0
	s_waitcnt lgkmcnt(0)
	v_mov_b32_e32 v1, s12
	s_branch .LBB17_6
.LBB17_5:
	v_mov_b32_e32 v1, s12
	v_cndmask_b32_e64 v1, 0, v1, s[0:1]
.LBB17_6:
	s_load_dword s33, s[4:5], 0x0
	v_lshlrev_b32_e32 v2, 2, v0
	s_add_i32 s12, 0, 0x8000
	v_mov_b32_e32 v3, 0
	v_add_u32_e32 v4, 0, v2
	s_waitcnt lgkmcnt(0)
	v_mov_b32_e32 v5, s33
	v_mov_b32_e32 v6, s33
	v_add_u32_e32 v2, s12, v2
	ds_write_b32 v4, v3 offset:32768
	ds_write2st64_b32 v4, v5, v6 offset1:16
	ds_write2st64_b32 v2, v3, v3 offset0:16 offset1:32
	ds_write2st64_b32 v4, v5, v6 offset0:32 offset1:48
	;; [unrolled: 1-line block ×6, first 2 shown]
	ds_write_b32 v2, v3 offset:28672
	s_waitcnt lgkmcnt(0)
	s_barrier
	s_load_dword s8, s[8:9], 0x0
	v_lshrrev_b32_e32 v8, 6, v0
	s_waitcnt lgkmcnt(0)
	s_add_i32 s6, s8, s6
	s_lshl_b64 s[6:7], s[6:7], 2
	s_add_u32 s6, s10, s6
	s_addc_u32 s7, s11, s7
	s_load_dword s44, s[6:7], 0x0
	s_andn2_b64 vcc, exec, s[2:3]
	s_cbranch_vccnz .LBB17_26
; %bb.7:
	s_load_dwordx2 s[2:3], s[4:5], 0x20
	s_waitcnt lgkmcnt(0)
	s_ashr_i32 s45, s44, 31
	s_lshl_b64 s[6:7], s[44:45], 2
	v_subrev_u32_e32 v2, s36, v8
	s_add_u32 s2, s2, s6
	s_addc_u32 s3, s3, s7
	s_load_dwordx2 s[2:3], s[2:3], 0x0
	s_waitcnt lgkmcnt(0)
	s_sub_i32 s40, s3, s36
	v_add_u32_e32 v2, s2, v2
	v_cmp_gt_i32_e32 vcc, s40, v2
	s_and_saveexec_b64 s[2:3], vcc
	s_cbranch_execz .LBB17_25
; %bb.8:
	s_load_dwordx8 s[8:15], s[4:5], 0x28
	s_load_dwordx2 s[6:7], s[4:5], 0x48
	v_and_b32_e32 v3, 63, v0
	s_mov_b64 s[16:17], 0
	v_subrev_u32_e32 v10, s37, v3
	s_waitcnt lgkmcnt(0)
	v_mov_b32_e32 v11, s9
	v_mov_b32_e32 v12, s13
	s_movk_i32 s9, 0x89
	s_branch .LBB17_10
.LBB17_9:                               ;   in Loop: Header=BB17_10 Depth=1
	s_or_b64 exec, exec, s[18:19]
	v_add_u32_e32 v2, 16, v2
	v_cmp_le_i32_e32 vcc, s40, v2
	s_or_b64 s[16:17], vcc, s[16:17]
	s_andn2_b64 exec, exec, s[16:17]
	s_cbranch_execz .LBB17_25
.LBB17_10:                              ; =>This Loop Header: Depth=1
                                        ;     Child Loop BB17_13 Depth 2
                                        ;       Child Loop BB17_15 Depth 3
	v_ashrrev_i32_e32 v3, 31, v2
	v_lshlrev_b64 v[6:7], 2, v[2:3]
	v_add_co_u32_e32 v4, vcc, s8, v6
	v_addc_co_u32_e32 v5, vcc, v11, v7, vcc
	global_load_dword v3, v[4:5], off
	s_waitcnt vmcnt(0)
	v_subrev_u32_e32 v4, s36, v3
	v_ashrrev_i32_e32 v5, 31, v4
	v_lshlrev_b64 v[4:5], 2, v[4:5]
	v_add_co_u32_e32 v4, vcc, s12, v4
	v_addc_co_u32_e32 v5, vcc, v12, v5, vcc
	global_load_dwordx2 v[4:5], v[4:5], off
	s_waitcnt vmcnt(0)
	v_subrev_u32_e32 v3, s37, v5
	v_add_u32_e32 v4, v4, v10
	v_cmp_lt_i32_e32 vcc, v4, v3
	s_and_saveexec_b64 s[18:19], vcc
	s_cbranch_execz .LBB17_9
; %bb.11:                               ;   in Loop: Header=BB17_10 Depth=1
	v_mov_b32_e32 v5, s11
	v_add_co_u32_e32 v6, vcc, s10, v6
	v_addc_co_u32_e32 v7, vcc, v5, v7, vcc
	global_load_dword v5, v[6:7], off
	s_mov_b64 s[20:21], 0
	s_waitcnt vmcnt(0)
	v_mul_f32_e32 v6, v9, v5
	s_branch .LBB17_13
.LBB17_12:                              ;   in Loop: Header=BB17_13 Depth=2
	s_or_b64 exec, exec, s[22:23]
	v_add_u32_e32 v4, 64, v4
	v_cmp_ge_i32_e32 vcc, v4, v3
	s_or_b64 s[20:21], vcc, s[20:21]
	s_andn2_b64 exec, exec, s[20:21]
	s_cbranch_execz .LBB17_9
.LBB17_13:                              ;   Parent Loop BB17_10 Depth=1
                                        ; =>  This Loop Header: Depth=2
                                        ;       Child Loop BB17_15 Depth 3
	v_ashrrev_i32_e32 v5, 31, v4
	v_lshlrev_b64 v[14:15], 2, v[4:5]
	v_mov_b32_e32 v5, s15
	v_add_co_u32_e32 v16, vcc, s14, v14
	v_addc_co_u32_e32 v17, vcc, v5, v15, vcc
	global_load_dword v5, v[16:17], off
	v_mov_b32_e32 v7, s7
	v_add_co_u32_e32 v14, vcc, s6, v14
	v_addc_co_u32_e32 v15, vcc, v7, v15, vcc
	global_load_dword v7, v[14:15], off
	s_mov_b64 s[22:23], 0
	s_waitcnt vmcnt(1)
	v_subrev_u32_e32 v5, s37, v5
	v_mul_lo_u32 v13, v5, s9
	v_and_b32_e32 v13, 0x1fff, v13
	s_waitcnt vmcnt(0)
	v_mul_f32_e32 v7, v6, v7
	s_branch .LBB17_15
.LBB17_14:                              ;   in Loop: Header=BB17_15 Depth=3
	s_or_b64 exec, exec, s[24:25]
	s_xor_b64 s[24:25], s[26:27], -1
	s_and_b64 s[24:25], exec, s[24:25]
	s_or_b64 s[22:23], s[24:25], s[22:23]
	s_andn2_b64 exec, exec, s[22:23]
	s_cbranch_execz .LBB17_12
.LBB17_15:                              ;   Parent Loop BB17_10 Depth=1
                                        ;     Parent Loop BB17_13 Depth=2
                                        ; =>    This Inner Loop Header: Depth=3
	v_lshl_add_u32 v14, v13, 2, 0
	ds_read_b32 v15, v14
                                        ; implicit-def: $sgpr26_sgpr27
	s_waitcnt lgkmcnt(0)
	v_cmp_ne_u32_e32 vcc, v15, v5
	s_and_saveexec_b64 s[24:25], vcc
	s_xor_b64 s[24:25], exec, s[24:25]
	s_cbranch_execz .LBB17_23
; %bb.16:                               ;   in Loop: Header=BB17_15 Depth=3
	v_cmp_ne_u32_e32 vcc, s33, v15
                                        ; implicit-def: $sgpr26_sgpr27
	s_and_saveexec_b64 s[28:29], vcc
	s_xor_b64 s[28:29], exec, s[28:29]
; %bb.17:                               ;   in Loop: Header=BB17_15 Depth=3
	v_add_u32_e32 v13, 1, v13
	v_and_b32_e32 v13, 0x1fff, v13
	s_mov_b64 s[26:27], -1
                                        ; implicit-def: $vgpr14
; %bb.18:                               ;   in Loop: Header=BB17_15 Depth=3
	s_andn2_saveexec_b64 s[28:29], s[28:29]
	s_cbranch_execz .LBB17_22
; %bb.19:                               ;   in Loop: Header=BB17_15 Depth=3
	v_mov_b32_e32 v15, s33
	ds_cmpst_rtn_b32 v15, v14, v15, v5
	s_mov_b64 s[30:31], -1
	s_waitcnt lgkmcnt(0)
	v_cmp_eq_u32_e32 vcc, s33, v15
	s_and_saveexec_b64 s[34:35], vcc
	s_cbranch_execz .LBB17_21
; %bb.20:                               ;   in Loop: Header=BB17_15 Depth=3
	ds_add_f32 v14, v7 offset:32768
	s_xor_b64 s[30:31], exec, -1
.LBB17_21:                              ;   in Loop: Header=BB17_15 Depth=3
	s_or_b64 exec, exec, s[34:35]
	s_andn2_b64 s[26:27], s[26:27], exec
	s_and_b64 s[30:31], s[30:31], exec
	s_or_b64 s[26:27], s[26:27], s[30:31]
.LBB17_22:                              ;   in Loop: Header=BB17_15 Depth=3
	s_or_b64 exec, exec, s[28:29]
	s_and_b64 s[26:27], s[26:27], exec
                                        ; implicit-def: $vgpr14
.LBB17_23:                              ;   in Loop: Header=BB17_15 Depth=3
	s_andn2_saveexec_b64 s[24:25], s[24:25]
	s_cbranch_execz .LBB17_14
; %bb.24:                               ;   in Loop: Header=BB17_15 Depth=3
	ds_add_f32 v14, v7 offset:32768
	s_andn2_b64 s[26:27], s[26:27], exec
	s_branch .LBB17_14
.LBB17_25:
	s_or_b64 exec, exec, s[2:3]
.LBB17_26:
	s_load_dwordx2 s[34:35], s[4:5], 0x80
	s_load_dwordx4 s[40:43], s[4:5], 0x70
	s_andn2_b64 vcc, exec, s[0:1]
	s_cbranch_vccnz .LBB17_43
; %bb.27:
	s_load_dwordx2 s[0:1], s[4:5], 0x58
	s_waitcnt lgkmcnt(0)
	s_ashr_i32 s45, s44, 31
	s_lshl_b64 s[2:3], s[44:45], 2
	v_subrev_u32_e32 v2, s39, v0
	s_add_u32 s0, s0, s2
	s_addc_u32 s1, s1, s3
	s_load_dwordx2 s[0:1], s[0:1], 0x0
	s_waitcnt lgkmcnt(0)
	s_sub_i32 s20, s1, s39
	v_add_u32_e32 v2, s0, v2
	v_cmp_gt_i32_e32 vcc, s20, v2
	s_and_saveexec_b64 s[6:7], vcc
	s_cbranch_execz .LBB17_42
; %bb.28:
	s_load_dwordx4 s[0:3], s[4:5], 0x60
	s_mov_b64 s[4:5], 0
	s_waitcnt lgkmcnt(0)
	v_mov_b32_e32 v4, s1
	v_mov_b32_e32 v5, s3
	s_movk_i32 s1, 0x89
	s_branch .LBB17_30
.LBB17_29:                              ;   in Loop: Header=BB17_30 Depth=1
	s_or_b64 exec, exec, s[8:9]
	v_add_u32_e32 v2, 0x400, v2
	v_cmp_le_i32_e32 vcc, s20, v2
	s_or_b64 s[4:5], vcc, s[4:5]
	s_andn2_b64 exec, exec, s[4:5]
	s_cbranch_execz .LBB17_42
.LBB17_30:                              ; =>This Loop Header: Depth=1
                                        ;     Child Loop BB17_32 Depth 2
	v_ashrrev_i32_e32 v3, 31, v2
	v_lshlrev_b64 v[6:7], 2, v[2:3]
	v_add_co_u32_e32 v10, vcc, s0, v6
	v_addc_co_u32_e32 v11, vcc, v4, v7, vcc
	global_load_dword v3, v[10:11], off
	v_add_co_u32_e32 v6, vcc, s2, v6
	v_addc_co_u32_e32 v7, vcc, v5, v7, vcc
	global_load_dword v6, v[6:7], off
	s_mov_b64 s[8:9], 0
	s_waitcnt vmcnt(1)
	v_subrev_u32_e32 v3, s39, v3
	v_mul_lo_u32 v7, v3, s1
	v_and_b32_e32 v7, 0x1fff, v7
	s_waitcnt vmcnt(0)
	v_mul_f32_e32 v6, v1, v6
	s_branch .LBB17_32
.LBB17_31:                              ;   in Loop: Header=BB17_32 Depth=2
	s_or_b64 exec, exec, s[10:11]
	s_xor_b64 s[10:11], s[12:13], -1
	s_and_b64 s[10:11], exec, s[10:11]
	s_or_b64 s[8:9], s[10:11], s[8:9]
	s_andn2_b64 exec, exec, s[8:9]
	s_cbranch_execz .LBB17_29
.LBB17_32:                              ;   Parent Loop BB17_30 Depth=1
                                        ; =>  This Inner Loop Header: Depth=2
	v_lshl_add_u32 v9, v7, 2, 0
	ds_read_b32 v10, v9
                                        ; implicit-def: $sgpr12_sgpr13
	s_waitcnt lgkmcnt(0)
	v_cmp_ne_u32_e32 vcc, v10, v3
	s_and_saveexec_b64 s[10:11], vcc
	s_xor_b64 s[10:11], exec, s[10:11]
	s_cbranch_execz .LBB17_40
; %bb.33:                               ;   in Loop: Header=BB17_32 Depth=2
	v_cmp_ne_u32_e32 vcc, s33, v10
                                        ; implicit-def: $sgpr12_sgpr13
	s_and_saveexec_b64 s[14:15], vcc
	s_xor_b64 s[14:15], exec, s[14:15]
; %bb.34:                               ;   in Loop: Header=BB17_32 Depth=2
	v_add_u32_e32 v7, 1, v7
	v_and_b32_e32 v7, 0x1fff, v7
	s_mov_b64 s[12:13], -1
                                        ; implicit-def: $vgpr9
; %bb.35:                               ;   in Loop: Header=BB17_32 Depth=2
	s_andn2_saveexec_b64 s[14:15], s[14:15]
	s_cbranch_execz .LBB17_39
; %bb.36:                               ;   in Loop: Header=BB17_32 Depth=2
	v_mov_b32_e32 v10, s33
	ds_cmpst_rtn_b32 v10, v9, v10, v3
	s_mov_b64 s[16:17], -1
	s_waitcnt lgkmcnt(0)
	v_cmp_eq_u32_e32 vcc, s33, v10
	s_and_saveexec_b64 s[18:19], vcc
	s_cbranch_execz .LBB17_38
; %bb.37:                               ;   in Loop: Header=BB17_32 Depth=2
	ds_add_f32 v9, v6 offset:32768
	s_xor_b64 s[16:17], exec, -1
.LBB17_38:                              ;   in Loop: Header=BB17_32 Depth=2
	s_or_b64 exec, exec, s[18:19]
	s_andn2_b64 s[12:13], s[12:13], exec
	s_and_b64 s[16:17], s[16:17], exec
	s_or_b64 s[12:13], s[12:13], s[16:17]
.LBB17_39:                              ;   in Loop: Header=BB17_32 Depth=2
	s_or_b64 exec, exec, s[14:15]
	s_and_b64 s[12:13], s[12:13], exec
                                        ; implicit-def: $vgpr9
.LBB17_40:                              ;   in Loop: Header=BB17_32 Depth=2
	s_andn2_saveexec_b64 s[10:11], s[10:11]
	s_cbranch_execz .LBB17_31
; %bb.41:                               ;   in Loop: Header=BB17_32 Depth=2
	ds_add_f32 v9, v6 offset:32768
	s_andn2_b64 s[12:13], s[12:13], exec
	s_branch .LBB17_31
.LBB17_42:
	s_or_b64 exec, exec, s[6:7]
.LBB17_43:
	v_mbcnt_lo_u32_b32 v2, -1, 0
	v_mbcnt_hi_u32_b32 v2, -1, v2
	v_sub_u32_e32 v2, 63, v2
	s_add_i32 s39, 0, 0x10000
	s_movk_i32 s0, 0x3ff
	s_movk_i32 s2, 0x7f
	;; [unrolled: 1-line block ×15, first 2 shown]
	s_add_i32 s61, 0, 0x1003c
	v_mov_b32_e32 v1, 0
	v_lshrrev_b64 v[2:3], v2, -1
	v_lshl_add_u32 v6, v8, 2, s39
	v_cmp_eq_u32_e32 vcc, s0, v0
	v_cmp_lt_u32_e64 s[0:1], 63, v0
	v_cmp_lt_u32_e64 s[2:3], s2, v0
	;; [unrolled: 1-line block ×15, first 2 shown]
	v_or_b32_e32 v7, 0xfffffc00, v0
	v_lshl_add_u32 v8, v0, 2, 0
	s_mov_b64 s[36:37], 0
	s_add_i32 s45, 0, 0x10004
	s_add_i32 s48, 0, 0x10008
	;; [unrolled: 1-line block ×14, first 2 shown]
	v_mov_b32_e32 v9, s61
	s_movk_i32 s62, 0x1bff
	s_waitcnt lgkmcnt(0)
	s_barrier
	s_branch .LBB17_45
.LBB17_44:                              ;   in Loop: Header=BB17_45 Depth=1
	s_or_b64 exec, exec, s[30:31]
	s_waitcnt lgkmcnt(0)
	s_barrier
	ds_read_b32 v4, v9
	v_add_u32_e32 v7, 0x400, v7
	v_cmp_lt_u32_e64 s[30:31], s62, v7
	s_or_b64 s[36:37], s[30:31], s[36:37]
	v_add_u32_e32 v8, 0x1000, v8
	s_waitcnt lgkmcnt(0)
	v_add_u32_e32 v1, v4, v1
	s_andn2_b64 exec, exec, s[36:37]
	s_cbranch_execz .LBB17_79
.LBB17_45:                              ; =>This Inner Loop Header: Depth=1
	ds_read2st64_b32 v[4:5], v8 offset1:128
	s_waitcnt lgkmcnt(0)
	s_barrier
	v_cmp_gt_i32_e64 s[30:31], s33, v4
	v_and_b32_e32 v11, s30, v2
	s_bcnt1_i32_b64 s46, s[30:31]
	v_and_b32_e32 v10, s31, v3
	v_bcnt_u32_b32 v11, v11, 0
	v_bcnt_u32_b32 v10, v10, v11
	v_mov_b32_e32 v11, s46
	ds_write_b32 v6, v11
	s_waitcnt lgkmcnt(0)
	s_barrier
	s_and_saveexec_b64 s[46:47], s[0:1]
	s_cbranch_execnz .LBB17_62
; %bb.46:                               ;   in Loop: Header=BB17_45 Depth=1
	s_or_b64 exec, exec, s[46:47]
	s_and_saveexec_b64 s[46:47], s[2:3]
	s_cbranch_execnz .LBB17_63
.LBB17_47:                              ;   in Loop: Header=BB17_45 Depth=1
	s_or_b64 exec, exec, s[46:47]
	s_and_saveexec_b64 s[46:47], s[4:5]
	s_cbranch_execnz .LBB17_64
.LBB17_48:                              ;   in Loop: Header=BB17_45 Depth=1
	s_or_b64 exec, exec, s[46:47]
	s_and_saveexec_b64 s[46:47], s[6:7]
	s_cbranch_execnz .LBB17_65
.LBB17_49:                              ;   in Loop: Header=BB17_45 Depth=1
	s_or_b64 exec, exec, s[46:47]
	s_and_saveexec_b64 s[46:47], s[8:9]
	s_cbranch_execnz .LBB17_66
.LBB17_50:                              ;   in Loop: Header=BB17_45 Depth=1
	s_or_b64 exec, exec, s[46:47]
	s_and_saveexec_b64 s[46:47], s[10:11]
	s_cbranch_execnz .LBB17_67
.LBB17_51:                              ;   in Loop: Header=BB17_45 Depth=1
	s_or_b64 exec, exec, s[46:47]
	s_and_saveexec_b64 s[46:47], s[12:13]
	s_cbranch_execnz .LBB17_68
.LBB17_52:                              ;   in Loop: Header=BB17_45 Depth=1
	s_or_b64 exec, exec, s[46:47]
	s_and_saveexec_b64 s[46:47], s[14:15]
	s_cbranch_execnz .LBB17_69
.LBB17_53:                              ;   in Loop: Header=BB17_45 Depth=1
	s_or_b64 exec, exec, s[46:47]
	s_and_saveexec_b64 s[46:47], s[16:17]
	s_cbranch_execnz .LBB17_70
.LBB17_54:                              ;   in Loop: Header=BB17_45 Depth=1
	s_or_b64 exec, exec, s[46:47]
	s_and_saveexec_b64 s[46:47], s[18:19]
	s_cbranch_execnz .LBB17_71
.LBB17_55:                              ;   in Loop: Header=BB17_45 Depth=1
	s_or_b64 exec, exec, s[46:47]
	s_and_saveexec_b64 s[46:47], s[20:21]
	s_cbranch_execnz .LBB17_72
.LBB17_56:                              ;   in Loop: Header=BB17_45 Depth=1
	s_or_b64 exec, exec, s[46:47]
	s_and_saveexec_b64 s[46:47], s[22:23]
	s_cbranch_execnz .LBB17_73
.LBB17_57:                              ;   in Loop: Header=BB17_45 Depth=1
	s_or_b64 exec, exec, s[46:47]
	s_and_saveexec_b64 s[46:47], s[24:25]
	s_cbranch_execnz .LBB17_74
.LBB17_58:                              ;   in Loop: Header=BB17_45 Depth=1
	s_or_b64 exec, exec, s[46:47]
	s_and_saveexec_b64 s[46:47], s[26:27]
	s_cbranch_execnz .LBB17_75
.LBB17_59:                              ;   in Loop: Header=BB17_45 Depth=1
	s_or_b64 exec, exec, s[46:47]
	s_and_saveexec_b64 s[46:47], s[28:29]
	s_cbranch_execnz .LBB17_76
.LBB17_60:                              ;   in Loop: Header=BB17_45 Depth=1
	s_or_b64 exec, exec, s[46:47]
	s_and_saveexec_b64 s[46:47], s[30:31]
	s_cbranch_execnz .LBB17_77
.LBB17_61:                              ;   in Loop: Header=BB17_45 Depth=1
	s_or_b64 exec, exec, s[46:47]
	s_and_saveexec_b64 s[30:31], vcc
	s_cbranch_execz .LBB17_44
	s_branch .LBB17_78
.LBB17_62:                              ;   in Loop: Header=BB17_45 Depth=1
	v_mov_b32_e32 v11, s39
	ds_read_b32 v11, v11
	s_waitcnt lgkmcnt(0)
	v_add_u32_e32 v10, v11, v10
	s_or_b64 exec, exec, s[46:47]
	s_and_saveexec_b64 s[46:47], s[2:3]
	s_cbranch_execz .LBB17_47
.LBB17_63:                              ;   in Loop: Header=BB17_45 Depth=1
	v_mov_b32_e32 v11, s45
	ds_read_b32 v11, v11
	s_waitcnt lgkmcnt(0)
	v_add_u32_e32 v10, v11, v10
	s_or_b64 exec, exec, s[46:47]
	s_and_saveexec_b64 s[46:47], s[4:5]
	s_cbranch_execz .LBB17_48
.LBB17_64:                              ;   in Loop: Header=BB17_45 Depth=1
	v_mov_b32_e32 v11, s48
	ds_read_b32 v11, v11
	s_waitcnt lgkmcnt(0)
	v_add_u32_e32 v10, v11, v10
	s_or_b64 exec, exec, s[46:47]
	s_and_saveexec_b64 s[46:47], s[6:7]
	s_cbranch_execz .LBB17_49
.LBB17_65:                              ;   in Loop: Header=BB17_45 Depth=1
	v_mov_b32_e32 v11, s49
	ds_read_b32 v11, v11
	s_waitcnt lgkmcnt(0)
	v_add_u32_e32 v10, v11, v10
	s_or_b64 exec, exec, s[46:47]
	s_and_saveexec_b64 s[46:47], s[8:9]
	s_cbranch_execz .LBB17_50
.LBB17_66:                              ;   in Loop: Header=BB17_45 Depth=1
	v_mov_b32_e32 v11, s50
	ds_read_b32 v11, v11
	s_waitcnt lgkmcnt(0)
	v_add_u32_e32 v10, v11, v10
	s_or_b64 exec, exec, s[46:47]
	s_and_saveexec_b64 s[46:47], s[10:11]
	s_cbranch_execz .LBB17_51
.LBB17_67:                              ;   in Loop: Header=BB17_45 Depth=1
	v_mov_b32_e32 v11, s51
	ds_read_b32 v11, v11
	s_waitcnt lgkmcnt(0)
	v_add_u32_e32 v10, v11, v10
	s_or_b64 exec, exec, s[46:47]
	s_and_saveexec_b64 s[46:47], s[12:13]
	s_cbranch_execz .LBB17_52
.LBB17_68:                              ;   in Loop: Header=BB17_45 Depth=1
	v_mov_b32_e32 v11, s52
	ds_read_b32 v11, v11
	s_waitcnt lgkmcnt(0)
	v_add_u32_e32 v10, v11, v10
	s_or_b64 exec, exec, s[46:47]
	s_and_saveexec_b64 s[46:47], s[14:15]
	s_cbranch_execz .LBB17_53
.LBB17_69:                              ;   in Loop: Header=BB17_45 Depth=1
	v_mov_b32_e32 v11, s53
	ds_read_b32 v11, v11
	s_waitcnt lgkmcnt(0)
	v_add_u32_e32 v10, v11, v10
	s_or_b64 exec, exec, s[46:47]
	s_and_saveexec_b64 s[46:47], s[16:17]
	s_cbranch_execz .LBB17_54
.LBB17_70:                              ;   in Loop: Header=BB17_45 Depth=1
	v_mov_b32_e32 v11, s54
	ds_read_b32 v11, v11
	s_waitcnt lgkmcnt(0)
	v_add_u32_e32 v10, v11, v10
	s_or_b64 exec, exec, s[46:47]
	s_and_saveexec_b64 s[46:47], s[18:19]
	s_cbranch_execz .LBB17_55
.LBB17_71:                              ;   in Loop: Header=BB17_45 Depth=1
	v_mov_b32_e32 v11, s55
	ds_read_b32 v11, v11
	s_waitcnt lgkmcnt(0)
	v_add_u32_e32 v10, v11, v10
	s_or_b64 exec, exec, s[46:47]
	s_and_saveexec_b64 s[46:47], s[20:21]
	s_cbranch_execz .LBB17_56
.LBB17_72:                              ;   in Loop: Header=BB17_45 Depth=1
	v_mov_b32_e32 v11, s56
	ds_read_b32 v11, v11
	s_waitcnt lgkmcnt(0)
	v_add_u32_e32 v10, v11, v10
	s_or_b64 exec, exec, s[46:47]
	s_and_saveexec_b64 s[46:47], s[22:23]
	s_cbranch_execz .LBB17_57
.LBB17_73:                              ;   in Loop: Header=BB17_45 Depth=1
	v_mov_b32_e32 v11, s57
	ds_read_b32 v11, v11
	s_waitcnt lgkmcnt(0)
	v_add_u32_e32 v10, v11, v10
	s_or_b64 exec, exec, s[46:47]
	s_and_saveexec_b64 s[46:47], s[24:25]
	s_cbranch_execz .LBB17_58
.LBB17_74:                              ;   in Loop: Header=BB17_45 Depth=1
	v_mov_b32_e32 v11, s58
	ds_read_b32 v11, v11
	s_waitcnt lgkmcnt(0)
	v_add_u32_e32 v10, v11, v10
	s_or_b64 exec, exec, s[46:47]
	s_and_saveexec_b64 s[46:47], s[26:27]
	s_cbranch_execz .LBB17_59
.LBB17_75:                              ;   in Loop: Header=BB17_45 Depth=1
	v_mov_b32_e32 v11, s59
	ds_read_b32 v11, v11
	s_waitcnt lgkmcnt(0)
	v_add_u32_e32 v10, v11, v10
	s_or_b64 exec, exec, s[46:47]
	s_and_saveexec_b64 s[46:47], s[28:29]
	s_cbranch_execz .LBB17_60
.LBB17_76:                              ;   in Loop: Header=BB17_45 Depth=1
	v_mov_b32_e32 v11, s60
	ds_read_b32 v11, v11
	s_waitcnt lgkmcnt(0)
	v_add_u32_e32 v10, v11, v10
	s_or_b64 exec, exec, s[46:47]
	s_and_saveexec_b64 s[46:47], s[30:31]
	s_cbranch_execz .LBB17_61
.LBB17_77:                              ;   in Loop: Header=BB17_45 Depth=1
	v_add3_u32 v11, v1, -1, v10
	v_lshl_add_u32 v11, v11, 2, 0
	ds_write2st64_b32 v11, v4, v5 offset1:128
	s_or_b64 exec, exec, s[46:47]
	s_and_saveexec_b64 s[30:31], vcc
	s_cbranch_execz .LBB17_44
.LBB17_78:                              ;   in Loop: Header=BB17_45 Depth=1
	v_mov_b32_e32 v4, s61
	ds_write_b32 v4, v10
	s_branch .LBB17_44
.LBB17_79:
	s_or_b64 exec, exec, s[36:37]
	s_ashr_i32 s45, s44, 31
	s_lshl_b64 s[0:1], s[44:45], 2
	s_add_u32 s0, s40, s0
	s_addc_u32 s1, s41, s1
	s_load_dwordx2 s[0:1], s[0:1], 0x0
	s_waitcnt lgkmcnt(0)
	s_sub_i32 s14, s1, s0
	v_cmp_gt_i32_e32 vcc, s14, v0
	s_and_saveexec_b64 s[2:3], vcc
	s_cbranch_execz .LBB17_94
; %bb.80:
	s_sub_i32 s6, s0, s38
	s_add_i32 s0, s14, -2
	s_lshr_b32 s1, s0, 1
	s_add_i32 s2, s1, 1
	s_cmp_gt_u32 s14, 1
	s_cselect_b64 s[8:9], -1, 0
	s_and_b32 s15, s14, -2
	s_and_b32 s4, s2, 7
	s_cmp_gt_u32 s0, 13
	s_cselect_b64 s[0:1], -1, 0
	s_and_b32 s16, s2, -8
	s_cmp_lg_u32 s4, 0
	s_cselect_b64 s[2:3], -1, 0
	v_cndmask_b32_e64 v1, 0, 1, s[0:1]
	s_cmp_lg_u32 s14, s15
	v_cmp_ne_u32_e64 s[0:1], 1, v1
	v_cndmask_b32_e64 v1, 0, 1, s[2:3]
	s_mov_b32 s7, 0
	s_cselect_b64 s[10:11], -1, 0
	s_lshl_b32 s17, s4, 3
	s_mov_b64 s[12:13], 0
	v_cmp_ne_u32_e64 s[2:3], 1, v1
	v_mov_b32_e32 v1, s43
	v_mov_b32_e32 v6, s35
	s_branch .LBB17_82
.LBB17_81:                              ;   in Loop: Header=BB17_82 Depth=1
	v_ashrrev_i32_e32 v5, 31, v4
	v_lshlrev_b64 v[4:5], 2, v[4:5]
	v_add_co_u32_e32 v8, vcc, s42, v4
	v_addc_co_u32_e32 v9, vcc, v1, v5, vcc
	v_add_co_u32_e32 v4, vcc, s34, v4
	v_addc_co_u32_e32 v5, vcc, v6, v5, vcc
	v_add_u32_e32 v0, 0x400, v0
	v_cmp_le_i32_e32 vcc, s14, v0
	s_waitcnt lgkmcnt(0)
	v_add_u32_e32 v2, s38, v2
	s_or_b64 s[12:13], vcc, s[12:13]
	global_store_dword v[8:9], v2, off
	global_store_dword v[4:5], v3, off
	s_andn2_b64 exec, exec, s[12:13]
	s_cbranch_execz .LBB17_94
.LBB17_82:                              ; =>This Loop Header: Depth=1
                                        ;     Child Loop BB17_85 Depth 2
                                        ;     Child Loop BB17_90 Depth 2
	;; [unrolled: 1-line block ×3, first 2 shown]
	v_lshl_add_u32 v2, v0, 2, 0
	ds_read2st64_b32 v[2:3], v2 offset1:128
	s_and_b64 vcc, exec, s[8:9]
	s_cbranch_vccz .LBB17_87
; %bb.83:                               ;   in Loop: Header=BB17_82 Depth=1
	s_and_b64 vcc, exec, s[0:1]
	s_cbranch_vccnz .LBB17_88
; %bb.84:                               ;   in Loop: Header=BB17_82 Depth=1
	s_mov_b32 s19, 0
	v_mov_b32_e32 v4, s6
	v_mov_b32_e32 v5, 0
	s_mov_b32 s20, s16
	s_mov_b32 s18, 0
.LBB17_85:                              ;   Parent Loop BB17_82 Depth=1
                                        ; =>  This Inner Loop Header: Depth=2
	v_mov_b32_e32 v7, s19
	ds_read2_b32 v[8:9], v7 offset1:1
	ds_read2_b32 v[10:11], v7 offset0:2 offset1:3
	ds_read2_b32 v[12:13], v7 offset0:4 offset1:5
	;; [unrolled: 1-line block ×7, first 2 shown]
	s_waitcnt lgkmcnt(7)
	v_cmp_gt_i32_e32 vcc, v2, v9
	s_waitcnt lgkmcnt(5)
	v_cmp_gt_i32_e64 s[4:5], v2, v12
	v_cndmask_b32_e64 v7, 0, 1, vcc
	v_cmp_gt_i32_e32 vcc, v2, v8
	v_cndmask_b32_e64 v9, 0, 1, s[4:5]
	v_cmp_gt_i32_e64 s[4:5], v2, v13
	v_cndmask_b32_e64 v8, 0, 1, vcc
	v_cmp_gt_i32_e32 vcc, v2, v11
	v_cndmask_b32_e64 v11, 0, 1, s[4:5]
	s_waitcnt lgkmcnt(3)
	v_cmp_gt_i32_e64 s[4:5], v2, v17
	v_cndmask_b32_e64 v12, 0, 1, s[4:5]
	v_cmp_gt_i32_e64 s[4:5], v2, v16
	v_cndmask_b32_e64 v13, 0, 1, s[4:5]
	s_waitcnt lgkmcnt(1)
	v_cmp_gt_i32_e64 s[4:5], v2, v20
	v_cndmask_b32_e64 v16, 0, 1, s[4:5]
	v_cmp_gt_i32_e64 s[4:5], v2, v21
	v_cndmask_b32_e64 v17, 0, 1, s[4:5]
	v_cmp_gt_i32_e64 s[4:5], v2, v10
	v_addc_co_u32_e64 v4, s[4:5], v4, v8, s[4:5]
	v_addc_co_u32_e32 v5, vcc, v5, v7, vcc
	v_cmp_gt_i32_e32 vcc, v2, v14
	v_cmp_gt_i32_e64 s[4:5], v2, v15
	v_addc_co_u32_e64 v5, s[4:5], v5, v11, s[4:5]
	v_addc_co_u32_e32 v4, vcc, v4, v9, vcc
	v_cmp_gt_i32_e32 vcc, v2, v19
	v_cmp_gt_i32_e64 s[4:5], v2, v18
	v_addc_co_u32_e64 v4, s[4:5], v4, v13, s[4:5]
	v_addc_co_u32_e32 v5, vcc, v5, v12, vcc
	s_add_i32 s18, s18, 16
	s_add_i32 s19, s19, 64
	s_add_i32 s20, s20, -8
	s_waitcnt lgkmcnt(0)
	v_cmp_gt_i32_e32 vcc, v2, v22
	v_cmp_gt_i32_e64 s[4:5], v2, v23
	s_cmp_lg_u32 s20, 0
	v_addc_co_u32_e64 v5, s[4:5], v5, v17, s[4:5]
	v_addc_co_u32_e32 v4, vcc, v4, v16, vcc
	s_cbranch_scc1 .LBB17_85
; %bb.86:                               ;   in Loop: Header=BB17_82 Depth=1
	s_and_b64 vcc, exec, s[2:3]
	s_cbranch_vccz .LBB17_89
	s_branch .LBB17_91
.LBB17_87:                              ;   in Loop: Header=BB17_82 Depth=1
	v_mov_b32_e32 v4, s6
	s_mov_b32 s18, 0
	s_cbranch_execz .LBB17_81
	s_branch .LBB17_92
.LBB17_88:                              ;   in Loop: Header=BB17_82 Depth=1
	v_pk_mov_b32 v[4:5], s[6:7], s[6:7] op_sel:[0,1]
	s_mov_b32 s18, 0
	s_and_b64 vcc, exec, s[2:3]
	s_cbranch_vccnz .LBB17_91
.LBB17_89:                              ;   in Loop: Header=BB17_82 Depth=1
	s_lshl_b32 s4, s18, 2
	s_add_i32 s4, s4, 0
	s_mov_b32 s5, s17
.LBB17_90:                              ;   Parent Loop BB17_82 Depth=1
                                        ; =>  This Inner Loop Header: Depth=2
	v_mov_b32_e32 v7, s4
	ds_read2_b32 v[8:9], v7 offset1:1
	s_add_i32 s4, s4, 8
	s_add_i32 s5, s5, -8
	s_cmp_lg_u32 s5, 0
	s_waitcnt lgkmcnt(0)
	v_cmp_gt_i32_e32 vcc, v2, v9
	v_addc_co_u32_e32 v5, vcc, 0, v5, vcc
	v_cmp_gt_i32_e32 vcc, v2, v8
	v_addc_co_u32_e32 v4, vcc, 0, v4, vcc
	s_cbranch_scc1 .LBB17_90
.LBB17_91:                              ;   in Loop: Header=BB17_82 Depth=1
	v_add_u32_e32 v4, v4, v5
	s_mov_b32 s18, s15
	s_mov_b64 s[4:5], s[10:11]
	s_and_b64 vcc, exec, s[4:5]
	s_cbranch_vccz .LBB17_81
.LBB17_92:                              ;   in Loop: Header=BB17_82 Depth=1
	s_lshl_b32 s4, s18, 2
	s_add_i32 s4, s4, 0
.LBB17_93:                              ;   Parent Loop BB17_82 Depth=1
                                        ; =>  This Inner Loop Header: Depth=2
	v_mov_b32_e32 v5, s4
	ds_read_b32 v5, v5
	s_add_i32 s18, s18, 1
	s_add_i32 s4, s4, 4
	s_cmp_ge_i32 s18, s14
	s_waitcnt lgkmcnt(0)
	v_cmp_gt_i32_e32 vcc, v2, v5
	v_addc_co_u32_e32 v4, vcc, 0, v4, vcc
	s_cbranch_scc0 .LBB17_93
	s_branch .LBB17_81
.LBB17_94:
	s_endpgm
	.section	.rodata,"a",@progbits
	.p2align	6, 0x0
	.amdhsa_kernel _ZN9rocsparseL26csrgemm_fill_block_per_rowILj1024ELj64ELj8192ELj137ELj64EiifEEvT5_PKS1_S3_NS_24const_host_device_scalarIT6_EEPKT4_S3_PKS5_S9_S3_SB_S6_S9_S3_SB_S9_PS1_PS5_21rocsparse_index_base_SE_SE_SE_bbb
		.amdhsa_group_segment_fixed_size 0
		.amdhsa_private_segment_fixed_size 0
		.amdhsa_kernarg_size 156
		.amdhsa_user_sgpr_count 6
		.amdhsa_user_sgpr_private_segment_buffer 1
		.amdhsa_user_sgpr_dispatch_ptr 0
		.amdhsa_user_sgpr_queue_ptr 0
		.amdhsa_user_sgpr_kernarg_segment_ptr 1
		.amdhsa_user_sgpr_dispatch_id 0
		.amdhsa_user_sgpr_flat_scratch_init 0
		.amdhsa_user_sgpr_kernarg_preload_length 0
		.amdhsa_user_sgpr_kernarg_preload_offset 0
		.amdhsa_user_sgpr_private_segment_size 0
		.amdhsa_uses_dynamic_stack 0
		.amdhsa_system_sgpr_private_segment_wavefront_offset 0
		.amdhsa_system_sgpr_workgroup_id_x 1
		.amdhsa_system_sgpr_workgroup_id_y 0
		.amdhsa_system_sgpr_workgroup_id_z 0
		.amdhsa_system_sgpr_workgroup_info 0
		.amdhsa_system_vgpr_workitem_id 0
		.amdhsa_next_free_vgpr 24
		.amdhsa_next_free_sgpr 63
		.amdhsa_accum_offset 24
		.amdhsa_reserve_vcc 1
		.amdhsa_reserve_flat_scratch 0
		.amdhsa_float_round_mode_32 0
		.amdhsa_float_round_mode_16_64 0
		.amdhsa_float_denorm_mode_32 3
		.amdhsa_float_denorm_mode_16_64 3
		.amdhsa_dx10_clamp 1
		.amdhsa_ieee_mode 1
		.amdhsa_fp16_overflow 0
		.amdhsa_tg_split 0
		.amdhsa_exception_fp_ieee_invalid_op 0
		.amdhsa_exception_fp_denorm_src 0
		.amdhsa_exception_fp_ieee_div_zero 0
		.amdhsa_exception_fp_ieee_overflow 0
		.amdhsa_exception_fp_ieee_underflow 0
		.amdhsa_exception_fp_ieee_inexact 0
		.amdhsa_exception_int_div_zero 0
	.end_amdhsa_kernel
	.section	.text._ZN9rocsparseL26csrgemm_fill_block_per_rowILj1024ELj64ELj8192ELj137ELj64EiifEEvT5_PKS1_S3_NS_24const_host_device_scalarIT6_EEPKT4_S3_PKS5_S9_S3_SB_S6_S9_S3_SB_S9_PS1_PS5_21rocsparse_index_base_SE_SE_SE_bbb,"axG",@progbits,_ZN9rocsparseL26csrgemm_fill_block_per_rowILj1024ELj64ELj8192ELj137ELj64EiifEEvT5_PKS1_S3_NS_24const_host_device_scalarIT6_EEPKT4_S3_PKS5_S9_S3_SB_S6_S9_S3_SB_S9_PS1_PS5_21rocsparse_index_base_SE_SE_SE_bbb,comdat
.Lfunc_end17:
	.size	_ZN9rocsparseL26csrgemm_fill_block_per_rowILj1024ELj64ELj8192ELj137ELj64EiifEEvT5_PKS1_S3_NS_24const_host_device_scalarIT6_EEPKT4_S3_PKS5_S9_S3_SB_S6_S9_S3_SB_S9_PS1_PS5_21rocsparse_index_base_SE_SE_SE_bbb, .Lfunc_end17-_ZN9rocsparseL26csrgemm_fill_block_per_rowILj1024ELj64ELj8192ELj137ELj64EiifEEvT5_PKS1_S3_NS_24const_host_device_scalarIT6_EEPKT4_S3_PKS5_S9_S3_SB_S6_S9_S3_SB_S9_PS1_PS5_21rocsparse_index_base_SE_SE_SE_bbb
                                        ; -- End function
	.section	.AMDGPU.csdata,"",@progbits
; Kernel info:
; codeLenInByte = 3396
; NumSgprs: 67
; NumVgprs: 24
; NumAgprs: 0
; TotalNumVgprs: 24
; ScratchSize: 0
; MemoryBound: 0
; FloatMode: 240
; IeeeMode: 1
; LDSByteSize: 0 bytes/workgroup (compile time only)
; SGPRBlocks: 8
; VGPRBlocks: 2
; NumSGPRsForWavesPerEU: 67
; NumVGPRsForWavesPerEU: 24
; AccumOffset: 24
; Occupancy: 8
; WaveLimiterHint : 1
; COMPUTE_PGM_RSRC2:SCRATCH_EN: 0
; COMPUTE_PGM_RSRC2:USER_SGPR: 6
; COMPUTE_PGM_RSRC2:TRAP_HANDLER: 0
; COMPUTE_PGM_RSRC2:TGID_X_EN: 1
; COMPUTE_PGM_RSRC2:TGID_Y_EN: 0
; COMPUTE_PGM_RSRC2:TGID_Z_EN: 0
; COMPUTE_PGM_RSRC2:TIDIG_COMP_CNT: 0
; COMPUTE_PGM_RSRC3_GFX90A:ACCUM_OFFSET: 5
; COMPUTE_PGM_RSRC3_GFX90A:TG_SPLIT: 0
	.section	.text._ZN9rocsparseL26csrgemm_fill_block_per_rowILj1024ELj64ELj16384ELj137ELj32EiifEEvT5_PKS1_S3_NS_24const_host_device_scalarIT6_EEPKT4_S3_PKS5_S9_S3_SB_S6_S9_S3_SB_S9_PS1_PS5_21rocsparse_index_base_SE_SE_SE_bbb,"axG",@progbits,_ZN9rocsparseL26csrgemm_fill_block_per_rowILj1024ELj64ELj16384ELj137ELj32EiifEEvT5_PKS1_S3_NS_24const_host_device_scalarIT6_EEPKT4_S3_PKS5_S9_S3_SB_S6_S9_S3_SB_S9_PS1_PS5_21rocsparse_index_base_SE_SE_SE_bbb,comdat
	.globl	_ZN9rocsparseL26csrgemm_fill_block_per_rowILj1024ELj64ELj16384ELj137ELj32EiifEEvT5_PKS1_S3_NS_24const_host_device_scalarIT6_EEPKT4_S3_PKS5_S9_S3_SB_S6_S9_S3_SB_S9_PS1_PS5_21rocsparse_index_base_SE_SE_SE_bbb ; -- Begin function _ZN9rocsparseL26csrgemm_fill_block_per_rowILj1024ELj64ELj16384ELj137ELj32EiifEEvT5_PKS1_S3_NS_24const_host_device_scalarIT6_EEPKT4_S3_PKS5_S9_S3_SB_S6_S9_S3_SB_S9_PS1_PS5_21rocsparse_index_base_SE_SE_SE_bbb
	.p2align	8
	.type	_ZN9rocsparseL26csrgemm_fill_block_per_rowILj1024ELj64ELj16384ELj137ELj32EiifEEvT5_PKS1_S3_NS_24const_host_device_scalarIT6_EEPKT4_S3_PKS5_S9_S3_SB_S6_S9_S3_SB_S9_PS1_PS5_21rocsparse_index_base_SE_SE_SE_bbb,@function
_ZN9rocsparseL26csrgemm_fill_block_per_rowILj1024ELj64ELj16384ELj137ELj32EiifEEvT5_PKS1_S3_NS_24const_host_device_scalarIT6_EEPKT4_S3_PKS5_S9_S3_SB_S6_S9_S3_SB_S9_PS1_PS5_21rocsparse_index_base_SE_SE_SE_bbb: ; @_ZN9rocsparseL26csrgemm_fill_block_per_rowILj1024ELj64ELj16384ELj137ELj32EiifEEvT5_PKS1_S3_NS_24const_host_device_scalarIT6_EEPKT4_S3_PKS5_S9_S3_SB_S6_S9_S3_SB_S9_PS1_PS5_21rocsparse_index_base_SE_SE_SE_bbb
; %bb.0:
	s_load_dword s7, s[4:5], 0x98
	s_load_dwordx4 s[68:71], s[4:5], 0x88
	s_load_dwordx2 s[0:1], s[4:5], 0x18
	s_load_dwordx2 s[24:25], s[4:5], 0x50
	s_waitcnt lgkmcnt(0)
	s_bitcmp1_b32 s7, 0
	s_cselect_b64 s[2:3], -1, 0
	s_bitcmp1_b32 s7, 16
	s_cselect_b64 s[26:27], -1, 0
	s_xor_b64 s[8:9], s[2:3], -1
	s_or_b64 s[8:9], s[8:9], s[26:27]
	s_and_b64 vcc, exec, s[8:9]
	s_cbranch_vccnz .LBB18_2
; %bb.1:
	s_load_dword s0, s[0:1], 0x0
	s_waitcnt lgkmcnt(0)
	v_mov_b32_e32 v10, s0
	s_branch .LBB18_3
.LBB18_2:
	v_mov_b32_e32 v1, s0
	v_cndmask_b32_e64 v10, 0, v1, s[2:3]
.LBB18_3:
	s_load_dwordx4 s[8:11], s[4:5], 0x78
                                        ; implicit-def: $vgpr24 : SGPR spill to VGPR lane
	s_bitcmp1_b32 s7, 8
	s_cselect_b64 s[0:1], -1, 0
	s_xor_b64 s[28:29], s[0:1], -1
	s_or_b64 s[26:27], s[28:29], s[26:27]
	s_waitcnt lgkmcnt(0)
	v_writelane_b32 v24, s8, 0
	v_writelane_b32 v24, s9, 1
	;; [unrolled: 1-line block ×4, first 2 shown]
	s_load_dwordx8 s[8:15], s[4:5], 0x58
	s_and_b64 vcc, exec, s[26:27]
	s_waitcnt lgkmcnt(0)
	v_writelane_b32 v24, s8, 4
	v_writelane_b32 v24, s9, 5
	;; [unrolled: 1-line block ×8, first 2 shown]
	s_load_dwordx4 s[16:19], s[4:5], 0x40
	s_load_dwordx4 s[20:23], s[4:5], 0x8
	s_load_dwordx8 s[8:15], s[4:5], 0x20
	s_cbranch_vccnz .LBB18_5
; %bb.4:
	s_load_dword s7, s[24:25], 0x0
	s_waitcnt lgkmcnt(0)
	v_mov_b32_e32 v9, s7
	s_branch .LBB18_6
.LBB18_5:
	v_mov_b32_e32 v1, s24
	v_cndmask_b32_e64 v9, 0, v1, s[0:1]
.LBB18_6:
	s_load_dword s33, s[4:5], 0x0
	v_or_b32_e32 v1, 0xfffffc00, v0
	v_lshl_add_u32 v8, v0, 2, 0
	s_mov_b64 s[4:5], 0
	v_mov_b32_e32 v2, 0
	s_waitcnt lgkmcnt(0)
	v_mov_b32_e32 v3, s33
	s_movk_i32 s7, 0x3bff
	v_mov_b32_e32 v4, v8
	v_mov_b32_e32 v5, v1
.LBB18_7:                               ; =>This Inner Loop Header: Depth=1
	v_add_u32_e32 v5, 0x400, v5
	v_cmp_lt_u32_e32 vcc, s7, v5
	ds_write_b32 v4, v3
	v_add_u32_e32 v6, 0x10000, v4
	v_add_u32_e32 v4, 0x1000, v4
	s_or_b64 s[4:5], vcc, s[4:5]
	ds_write_b32 v6, v2
	s_andn2_b64 exec, exec, s[4:5]
	s_cbranch_execnz .LBB18_7
; %bb.8:
	s_or_b64 exec, exec, s[4:5]
	s_waitcnt lgkmcnt(0)
	s_barrier
	s_load_dword s4, s[20:21], 0x0
	s_mov_b32 s5, 0
	s_waitcnt lgkmcnt(0)
	s_add_i32 s4, s4, s6
	s_lshl_b64 s[4:5], s[4:5], 2
	s_add_u32 s4, s22, s4
	s_addc_u32 s5, s23, s5
	s_load_dword s4, s[4:5], 0x0
	s_and_b64 vcc, exec, s[2:3]
	s_waitcnt lgkmcnt(0)
	v_writelane_b32 v24, s4, 12
	v_writelane_b32 v24, s5, 13
	s_cbranch_vccz .LBB18_28
; %bb.9:
	v_readlane_b32 s2, v24, 12
	v_readlane_b32 s3, v24, 13
	s_mov_b32 s4, s2
	s_ashr_i32 s5, s2, 31
	v_writelane_b32 v24, s2, 12
	v_writelane_b32 v24, s3, 13
	s_lshl_b64 s[2:3], s[4:5], 2
	s_add_u32 s2, s8, s2
	s_addc_u32 s3, s9, s3
	s_load_dwordx2 s[2:3], s[2:3], 0x0
	v_lshrrev_b32_e32 v2, 6, v0
	v_subrev_u32_e32 v2, s68, v2
	s_waitcnt lgkmcnt(0)
	s_sub_i32 s34, s3, s68
	v_add_u32_e32 v2, s2, v2
	v_cmp_gt_i32_e32 vcc, s34, v2
	s_and_saveexec_b64 s[2:3], vcc
	s_cbranch_execz .LBB18_27
; %bb.10:
	v_and_b32_e32 v3, 63, v0
	v_subrev_u32_e32 v11, s69, v3
	s_mov_b64 s[4:5], 0
	v_mov_b32_e32 v12, s11
	v_mov_b32_e32 v13, s15
	s_movk_i32 s11, 0x89
	s_branch .LBB18_12
.LBB18_11:                              ;   in Loop: Header=BB18_12 Depth=1
	s_or_b64 exec, exec, s[6:7]
	v_add_u32_e32 v2, 16, v2
	v_cmp_le_i32_e32 vcc, s34, v2
	s_or_b64 s[4:5], vcc, s[4:5]
	s_andn2_b64 exec, exec, s[4:5]
	s_cbranch_execz .LBB18_27
.LBB18_12:                              ; =>This Loop Header: Depth=1
                                        ;     Child Loop BB18_15 Depth 2
                                        ;       Child Loop BB18_17 Depth 3
	v_ashrrev_i32_e32 v3, 31, v2
	v_lshlrev_b64 v[6:7], 2, v[2:3]
	v_add_co_u32_e32 v4, vcc, s10, v6
	v_addc_co_u32_e32 v5, vcc, v12, v7, vcc
	global_load_dword v3, v[4:5], off
	s_waitcnt vmcnt(0)
	v_subrev_u32_e32 v4, s68, v3
	v_ashrrev_i32_e32 v5, 31, v4
	v_lshlrev_b64 v[4:5], 2, v[4:5]
	v_add_co_u32_e32 v4, vcc, s14, v4
	v_addc_co_u32_e32 v5, vcc, v13, v5, vcc
	global_load_dwordx2 v[4:5], v[4:5], off
	s_waitcnt vmcnt(0)
	v_subrev_u32_e32 v3, s69, v5
	v_add_u32_e32 v4, v4, v11
	v_cmp_lt_i32_e32 vcc, v4, v3
	s_and_saveexec_b64 s[6:7], vcc
	s_cbranch_execz .LBB18_11
; %bb.13:                               ;   in Loop: Header=BB18_12 Depth=1
	v_mov_b32_e32 v5, s13
	v_add_co_u32_e32 v6, vcc, s12, v6
	v_addc_co_u32_e32 v7, vcc, v5, v7, vcc
	global_load_dword v5, v[6:7], off
	s_mov_b64 s[8:9], 0
	s_waitcnt vmcnt(0)
	v_mul_f32_e32 v6, v10, v5
	s_branch .LBB18_15
.LBB18_14:                              ;   in Loop: Header=BB18_15 Depth=2
	s_or_b64 exec, exec, s[20:21]
	v_add_u32_e32 v4, 64, v4
	v_cmp_ge_i32_e32 vcc, v4, v3
	s_or_b64 s[8:9], vcc, s[8:9]
	s_andn2_b64 exec, exec, s[8:9]
	s_cbranch_execz .LBB18_11
.LBB18_15:                              ;   Parent Loop BB18_12 Depth=1
                                        ; =>  This Loop Header: Depth=2
                                        ;       Child Loop BB18_17 Depth 3
	v_ashrrev_i32_e32 v5, 31, v4
	v_lshlrev_b64 v[14:15], 2, v[4:5]
	v_mov_b32_e32 v5, s17
	v_add_co_u32_e32 v16, vcc, s16, v14
	v_addc_co_u32_e32 v17, vcc, v5, v15, vcc
	global_load_dword v5, v[16:17], off
	v_mov_b32_e32 v7, s19
	v_add_co_u32_e32 v14, vcc, s18, v14
	v_addc_co_u32_e32 v15, vcc, v7, v15, vcc
	global_load_dword v7, v[14:15], off
	s_mov_b64 s[20:21], 0
	s_waitcnt vmcnt(1)
	v_subrev_u32_e32 v5, s69, v5
	v_mul_lo_u32 v14, v5, s11
	v_and_b32_e32 v14, 0x3fff, v14
	s_waitcnt vmcnt(0)
	v_mul_f32_e32 v7, v6, v7
	s_branch .LBB18_17
.LBB18_16:                              ;   in Loop: Header=BB18_17 Depth=3
	s_or_b64 exec, exec, s[22:23]
	s_xor_b64 s[22:23], s[24:25], -1
	s_and_b64 s[22:23], exec, s[22:23]
	s_or_b64 s[20:21], s[22:23], s[20:21]
	s_andn2_b64 exec, exec, s[20:21]
	s_cbranch_execz .LBB18_14
.LBB18_17:                              ;   Parent Loop BB18_12 Depth=1
                                        ;     Parent Loop BB18_15 Depth=2
                                        ; =>    This Inner Loop Header: Depth=3
	v_lshl_add_u32 v15, v14, 2, 0
	ds_read_b32 v16, v15
                                        ; implicit-def: $sgpr24_sgpr25
	s_waitcnt lgkmcnt(0)
	v_cmp_ne_u32_e32 vcc, v16, v5
	s_and_saveexec_b64 s[22:23], vcc
	s_xor_b64 s[22:23], exec, s[22:23]
	s_cbranch_execz .LBB18_25
; %bb.18:                               ;   in Loop: Header=BB18_17 Depth=3
	v_cmp_ne_u32_e32 vcc, s33, v16
                                        ; implicit-def: $sgpr24_sgpr25
	s_and_saveexec_b64 s[26:27], vcc
	s_xor_b64 s[26:27], exec, s[26:27]
; %bb.19:                               ;   in Loop: Header=BB18_17 Depth=3
	v_add_u32_e32 v14, 1, v14
	v_and_b32_e32 v14, 0x3fff, v14
	s_mov_b64 s[24:25], -1
                                        ; implicit-def: $vgpr15
; %bb.20:                               ;   in Loop: Header=BB18_17 Depth=3
	s_andn2_saveexec_b64 s[26:27], s[26:27]
	s_cbranch_execz .LBB18_24
; %bb.21:                               ;   in Loop: Header=BB18_17 Depth=3
	v_mov_b32_e32 v16, s33
	ds_cmpst_rtn_b32 v16, v15, v16, v5
	s_mov_b64 s[28:29], -1
	s_waitcnt lgkmcnt(0)
	v_cmp_eq_u32_e32 vcc, s33, v16
	s_and_saveexec_b64 s[30:31], vcc
	s_cbranch_execz .LBB18_23
; %bb.22:                               ;   in Loop: Header=BB18_17 Depth=3
	v_add_u32_e32 v15, 0x10000, v15
	ds_add_f32 v15, v7
	s_xor_b64 s[28:29], exec, -1
.LBB18_23:                              ;   in Loop: Header=BB18_17 Depth=3
	s_or_b64 exec, exec, s[30:31]
	s_andn2_b64 s[24:25], s[24:25], exec
	s_and_b64 s[28:29], s[28:29], exec
	s_or_b64 s[24:25], s[24:25], s[28:29]
.LBB18_24:                              ;   in Loop: Header=BB18_17 Depth=3
	s_or_b64 exec, exec, s[26:27]
	s_and_b64 s[24:25], s[24:25], exec
                                        ; implicit-def: $vgpr15
.LBB18_25:                              ;   in Loop: Header=BB18_17 Depth=3
	s_andn2_saveexec_b64 s[22:23], s[22:23]
	s_cbranch_execz .LBB18_16
; %bb.26:                               ;   in Loop: Header=BB18_17 Depth=3
	v_add_u32_e32 v15, 0x10000, v15
	ds_add_f32 v15, v7
	s_andn2_b64 s[24:25], s[24:25], exec
	s_branch .LBB18_16
.LBB18_27:
	s_or_b64 exec, exec, s[2:3]
.LBB18_28:
	s_andn2_b64 vcc, exec, s[0:1]
	s_cbranch_vccnz .LBB18_45
; %bb.29:
	v_readlane_b32 s0, v24, 12
	v_readlane_b32 s1, v24, 13
	s_mov_b32 s2, s0
	s_ashr_i32 s3, s0, 31
	v_writelane_b32 v24, s0, 12
	v_writelane_b32 v24, s1, 13
	s_lshl_b64 s[0:1], s[2:3], 2
	v_readlane_b32 s4, v24, 4
	v_readlane_b32 s5, v24, 5
	s_add_u32 s0, s4, s0
	s_addc_u32 s1, s5, s1
	s_load_dwordx2 s[0:1], s[0:1], 0x0
	v_subrev_u32_e32 v2, s71, v0
	v_readlane_b32 s6, v24, 6
	v_readlane_b32 s7, v24, 7
	;; [unrolled: 1-line block ×3, first 2 shown]
	s_waitcnt lgkmcnt(0)
	s_sub_i32 s16, s1, s71
	v_add_u32_e32 v2, s0, v2
	v_cmp_gt_i32_e32 vcc, s16, v2
	v_readlane_b32 s9, v24, 9
	v_readlane_b32 s10, v24, 10
	;; [unrolled: 1-line block ×3, first 2 shown]
	s_and_saveexec_b64 s[0:1], vcc
	s_cbranch_execz .LBB18_44
; %bb.30:
	v_readlane_b32 s4, v24, 4
	v_readlane_b32 s7, v24, 7
	v_readlane_b32 s9, v24, 9
	s_mov_b64 s[2:3], 0
	v_mov_b32_e32 v4, s7
	v_mov_b32_e32 v5, s9
	s_movk_i32 s17, 0x89
	v_readlane_b32 s5, v24, 5
	v_readlane_b32 s6, v24, 6
	;; [unrolled: 1-line block ×5, first 2 shown]
	s_branch .LBB18_32
.LBB18_31:                              ;   in Loop: Header=BB18_32 Depth=1
	s_or_b64 exec, exec, s[4:5]
	v_add_u32_e32 v2, 0x400, v2
	v_cmp_le_i32_e32 vcc, s16, v2
	s_or_b64 s[2:3], vcc, s[2:3]
	s_andn2_b64 exec, exec, s[2:3]
	s_cbranch_execz .LBB18_44
.LBB18_32:                              ; =>This Loop Header: Depth=1
                                        ;     Child Loop BB18_34 Depth 2
	v_ashrrev_i32_e32 v3, 31, v2
	v_readlane_b32 s4, v24, 4
	v_lshlrev_b64 v[6:7], 2, v[2:3]
	v_readlane_b32 s6, v24, 6
	v_add_co_u32_e32 v10, vcc, s6, v6
	v_readlane_b32 s8, v24, 8
	v_addc_co_u32_e32 v11, vcc, v4, v7, vcc
	global_load_dword v3, v[10:11], off
	v_add_co_u32_e32 v6, vcc, s8, v6
	v_addc_co_u32_e32 v7, vcc, v5, v7, vcc
	global_load_dword v6, v[6:7], off
	v_readlane_b32 s5, v24, 5
	s_mov_b64 s[4:5], 0
	v_readlane_b32 s7, v24, 7
	v_readlane_b32 s9, v24, 9
	v_readlane_b32 s10, v24, 10
	v_readlane_b32 s11, v24, 11
	s_waitcnt vmcnt(1)
	v_subrev_u32_e32 v3, s71, v3
	v_mul_lo_u32 v7, v3, s17
	v_and_b32_e32 v7, 0x3fff, v7
	s_waitcnt vmcnt(0)
	v_mul_f32_e32 v6, v9, v6
	s_branch .LBB18_34
.LBB18_33:                              ;   in Loop: Header=BB18_34 Depth=2
	s_or_b64 exec, exec, s[6:7]
	s_xor_b64 s[6:7], s[8:9], -1
	s_and_b64 s[6:7], exec, s[6:7]
	s_or_b64 s[4:5], s[6:7], s[4:5]
	s_andn2_b64 exec, exec, s[4:5]
	s_cbranch_execz .LBB18_31
.LBB18_34:                              ;   Parent Loop BB18_32 Depth=1
                                        ; =>  This Inner Loop Header: Depth=2
	v_lshl_add_u32 v10, v7, 2, 0
	ds_read_b32 v11, v10
                                        ; implicit-def: $sgpr8_sgpr9
	s_waitcnt lgkmcnt(0)
	v_cmp_ne_u32_e32 vcc, v11, v3
	s_and_saveexec_b64 s[6:7], vcc
	s_xor_b64 s[6:7], exec, s[6:7]
	s_cbranch_execz .LBB18_42
; %bb.35:                               ;   in Loop: Header=BB18_34 Depth=2
	v_cmp_ne_u32_e32 vcc, s33, v11
                                        ; implicit-def: $sgpr8_sgpr9
	s_and_saveexec_b64 s[10:11], vcc
	s_xor_b64 s[10:11], exec, s[10:11]
; %bb.36:                               ;   in Loop: Header=BB18_34 Depth=2
	v_add_u32_e32 v7, 1, v7
	v_and_b32_e32 v7, 0x3fff, v7
	s_mov_b64 s[8:9], -1
                                        ; implicit-def: $vgpr10
; %bb.37:                               ;   in Loop: Header=BB18_34 Depth=2
	s_andn2_saveexec_b64 s[10:11], s[10:11]
	s_cbranch_execz .LBB18_41
; %bb.38:                               ;   in Loop: Header=BB18_34 Depth=2
	v_mov_b32_e32 v11, s33
	ds_cmpst_rtn_b32 v11, v10, v11, v3
	s_mov_b64 s[12:13], -1
	s_waitcnt lgkmcnt(0)
	v_cmp_eq_u32_e32 vcc, s33, v11
	s_and_saveexec_b64 s[14:15], vcc
	s_cbranch_execz .LBB18_40
; %bb.39:                               ;   in Loop: Header=BB18_34 Depth=2
	v_add_u32_e32 v10, 0x10000, v10
	ds_add_f32 v10, v6
	s_xor_b64 s[12:13], exec, -1
.LBB18_40:                              ;   in Loop: Header=BB18_34 Depth=2
	s_or_b64 exec, exec, s[14:15]
	s_andn2_b64 s[8:9], s[8:9], exec
	s_and_b64 s[12:13], s[12:13], exec
	s_or_b64 s[8:9], s[8:9], s[12:13]
.LBB18_41:                              ;   in Loop: Header=BB18_34 Depth=2
	s_or_b64 exec, exec, s[10:11]
	s_and_b64 s[8:9], s[8:9], exec
                                        ; implicit-def: $vgpr10
.LBB18_42:                              ;   in Loop: Header=BB18_34 Depth=2
	s_andn2_saveexec_b64 s[6:7], s[6:7]
	s_cbranch_execz .LBB18_33
; %bb.43:                               ;   in Loop: Header=BB18_34 Depth=2
	v_add_u32_e32 v10, 0x10000, v10
	ds_add_f32 v10, v6
	s_andn2_b64 s[8:9], s[8:9], exec
	s_branch .LBB18_33
.LBB18_44:
	s_or_b64 exec, exec, s[0:1]
.LBB18_45:
	s_add_i32 s0, 0, 0x20000
	v_writelane_b32 v24, s0, 14
	s_add_i32 s60, 0, 0x20004
	v_writelane_b32 v24, s60, 15
	;; [unrolled: 2-line block ×5, first 2 shown]
	s_add_i32 s60, 0, 0x20014
	v_lshrrev_b32_e32 v5, 3, v0
	v_writelane_b32 v24, s60, 19
	s_add_i32 s60, 0, 0x20018
	v_mbcnt_lo_u32_b32 v2, -1, 0
	v_and_b32_e32 v5, 0x7c, v5
	v_writelane_b32 v24, s60, 20
	s_add_i32 s60, 0, 0x2001c
	v_mbcnt_hi_u32_b32 v2, -1, v2
	v_add_u32_e32 v5, s0, v5
	s_movk_i32 s0, 0x3ff
	v_writelane_b32 v24, s60, 21
	s_add_i32 s60, 0, 0x20020
	v_sub_u32_e32 v2, 63, v2
	v_cmp_eq_u32_e32 vcc, s0, v0
	s_movk_i32 s0, 0x5f
	s_movk_i32 s2, 0x7f
	;; [unrolled: 1-line block ×29, first 2 shown]
	v_writelane_b32 v24, s60, 22
	s_add_i32 s60, 0, 0x20024
	v_mov_b32_e32 v4, 0
	v_lshrrev_b64 v[2:3], v2, -1
	v_cmp_lt_u32_e64 s[0:1], s0, v0
	v_cmp_lt_u32_e64 s[2:3], s2, v0
	;; [unrolled: 1-line block ×29, first 2 shown]
	v_writelane_b32 v24, s60, 23
	s_add_i32 s88, 0, 0x20028
	s_add_i32 s89, 0, 0x2002c
	;; [unrolled: 1-line block ×22, first 2 shown]
	s_movk_i32 s85, 0x3bff
	v_cmp_lt_u32_e64 s[60:61], 31, v0
	v_cmp_lt_u32_e64 s[62:63], 63, v0
	s_mov_b64 s[68:69], 0
	s_waitcnt lgkmcnt(0)
	s_barrier
	s_branch .LBB18_47
.LBB18_46:                              ;   in Loop: Header=BB18_47 Depth=1
	s_or_b64 exec, exec, s[64:65]
	v_mov_b32_e32 v6, s84
	s_waitcnt lgkmcnt(0)
	s_barrier
	ds_read_b32 v6, v6
	v_add_u32_e32 v1, 0x400, v1
	v_cmp_lt_u32_e64 s[64:65], s85, v1
	s_or_b64 s[68:69], s[64:65], s[68:69]
	v_add_u32_e32 v8, 0x1000, v8
	s_waitcnt lgkmcnt(0)
	v_add_u32_e32 v4, v6, v4
	s_andn2_b64 exec, exec, s[68:69]
	s_cbranch_execz .LBB18_113
.LBB18_47:                              ; =>This Inner Loop Header: Depth=1
	ds_read_b32 v7, v8
	v_add_u32_e32 v6, 0x10000, v8
	ds_read_b32 v9, v6
	s_waitcnt lgkmcnt(0)
	s_barrier
	v_cmp_gt_i32_e64 s[64:65], s33, v7
	v_and_b32_e32 v10, s64, v2
	s_bcnt1_i32_b64 s78, s[64:65]
	v_and_b32_e32 v6, s65, v3
	v_bcnt_u32_b32 v10, v10, 0
	v_bcnt_u32_b32 v6, v6, v10
	v_mov_b32_e32 v10, s78
	ds_write_b32 v5, v10
	s_waitcnt lgkmcnt(0)
	s_barrier
	s_and_saveexec_b64 s[78:79], s[60:61]
	s_cbranch_execnz .LBB18_80
; %bb.48:                               ;   in Loop: Header=BB18_47 Depth=1
	s_or_b64 exec, exec, s[78:79]
	s_and_saveexec_b64 s[78:79], s[62:63]
	s_cbranch_execnz .LBB18_81
.LBB18_49:                              ;   in Loop: Header=BB18_47 Depth=1
	s_or_b64 exec, exec, s[78:79]
	s_and_saveexec_b64 s[78:79], s[0:1]
	s_cbranch_execnz .LBB18_82
.LBB18_50:                              ;   in Loop: Header=BB18_47 Depth=1
	s_or_b64 exec, exec, s[78:79]
	s_and_saveexec_b64 s[78:79], s[2:3]
	s_cbranch_execnz .LBB18_83
.LBB18_51:                              ;   in Loop: Header=BB18_47 Depth=1
	s_or_b64 exec, exec, s[78:79]
	s_and_saveexec_b64 s[78:79], s[4:5]
	s_cbranch_execnz .LBB18_84
.LBB18_52:                              ;   in Loop: Header=BB18_47 Depth=1
	s_or_b64 exec, exec, s[78:79]
	s_and_saveexec_b64 s[78:79], s[6:7]
	s_cbranch_execnz .LBB18_85
.LBB18_53:                              ;   in Loop: Header=BB18_47 Depth=1
	s_or_b64 exec, exec, s[78:79]
	s_and_saveexec_b64 s[78:79], s[8:9]
	s_cbranch_execnz .LBB18_86
.LBB18_54:                              ;   in Loop: Header=BB18_47 Depth=1
	s_or_b64 exec, exec, s[78:79]
	s_and_saveexec_b64 s[78:79], s[10:11]
	s_cbranch_execnz .LBB18_87
.LBB18_55:                              ;   in Loop: Header=BB18_47 Depth=1
	s_or_b64 exec, exec, s[78:79]
	s_and_saveexec_b64 s[78:79], s[12:13]
	s_cbranch_execnz .LBB18_88
.LBB18_56:                              ;   in Loop: Header=BB18_47 Depth=1
	s_or_b64 exec, exec, s[78:79]
	s_and_saveexec_b64 s[78:79], s[14:15]
	s_cbranch_execnz .LBB18_89
.LBB18_57:                              ;   in Loop: Header=BB18_47 Depth=1
	s_or_b64 exec, exec, s[78:79]
	s_and_saveexec_b64 s[78:79], s[16:17]
	s_cbranch_execnz .LBB18_90
.LBB18_58:                              ;   in Loop: Header=BB18_47 Depth=1
	s_or_b64 exec, exec, s[78:79]
	s_and_saveexec_b64 s[78:79], s[18:19]
	s_cbranch_execnz .LBB18_91
.LBB18_59:                              ;   in Loop: Header=BB18_47 Depth=1
	s_or_b64 exec, exec, s[78:79]
	s_and_saveexec_b64 s[78:79], s[20:21]
	s_cbranch_execnz .LBB18_92
.LBB18_60:                              ;   in Loop: Header=BB18_47 Depth=1
	s_or_b64 exec, exec, s[78:79]
	s_and_saveexec_b64 s[78:79], s[22:23]
	s_cbranch_execnz .LBB18_93
.LBB18_61:                              ;   in Loop: Header=BB18_47 Depth=1
	s_or_b64 exec, exec, s[78:79]
	s_and_saveexec_b64 s[78:79], s[24:25]
	s_cbranch_execnz .LBB18_94
.LBB18_62:                              ;   in Loop: Header=BB18_47 Depth=1
	s_or_b64 exec, exec, s[78:79]
	s_and_saveexec_b64 s[78:79], s[26:27]
	s_cbranch_execnz .LBB18_95
.LBB18_63:                              ;   in Loop: Header=BB18_47 Depth=1
	s_or_b64 exec, exec, s[78:79]
	s_and_saveexec_b64 s[78:79], s[28:29]
	s_cbranch_execnz .LBB18_96
.LBB18_64:                              ;   in Loop: Header=BB18_47 Depth=1
	s_or_b64 exec, exec, s[78:79]
	s_and_saveexec_b64 s[78:79], s[30:31]
	s_cbranch_execnz .LBB18_97
.LBB18_65:                              ;   in Loop: Header=BB18_47 Depth=1
	s_or_b64 exec, exec, s[78:79]
	s_and_saveexec_b64 s[78:79], s[34:35]
	s_cbranch_execnz .LBB18_98
.LBB18_66:                              ;   in Loop: Header=BB18_47 Depth=1
	s_or_b64 exec, exec, s[78:79]
	s_and_saveexec_b64 s[78:79], s[36:37]
	s_cbranch_execnz .LBB18_99
.LBB18_67:                              ;   in Loop: Header=BB18_47 Depth=1
	s_or_b64 exec, exec, s[78:79]
	s_and_saveexec_b64 s[78:79], s[38:39]
	s_cbranch_execnz .LBB18_100
.LBB18_68:                              ;   in Loop: Header=BB18_47 Depth=1
	s_or_b64 exec, exec, s[78:79]
	s_and_saveexec_b64 s[78:79], s[40:41]
	s_cbranch_execnz .LBB18_101
.LBB18_69:                              ;   in Loop: Header=BB18_47 Depth=1
	s_or_b64 exec, exec, s[78:79]
	s_and_saveexec_b64 s[78:79], s[42:43]
	s_cbranch_execnz .LBB18_102
.LBB18_70:                              ;   in Loop: Header=BB18_47 Depth=1
	s_or_b64 exec, exec, s[78:79]
	s_and_saveexec_b64 s[78:79], s[44:45]
	s_cbranch_execnz .LBB18_103
.LBB18_71:                              ;   in Loop: Header=BB18_47 Depth=1
	s_or_b64 exec, exec, s[78:79]
	s_and_saveexec_b64 s[78:79], s[46:47]
	s_cbranch_execnz .LBB18_104
.LBB18_72:                              ;   in Loop: Header=BB18_47 Depth=1
	s_or_b64 exec, exec, s[78:79]
	s_and_saveexec_b64 s[78:79], s[48:49]
	s_cbranch_execnz .LBB18_105
.LBB18_73:                              ;   in Loop: Header=BB18_47 Depth=1
	s_or_b64 exec, exec, s[78:79]
	s_and_saveexec_b64 s[78:79], s[50:51]
	s_cbranch_execnz .LBB18_106
.LBB18_74:                              ;   in Loop: Header=BB18_47 Depth=1
	s_or_b64 exec, exec, s[78:79]
	s_and_saveexec_b64 s[78:79], s[52:53]
	s_cbranch_execnz .LBB18_107
.LBB18_75:                              ;   in Loop: Header=BB18_47 Depth=1
	s_or_b64 exec, exec, s[78:79]
	s_and_saveexec_b64 s[78:79], s[54:55]
	s_cbranch_execnz .LBB18_108
.LBB18_76:                              ;   in Loop: Header=BB18_47 Depth=1
	s_or_b64 exec, exec, s[78:79]
	s_and_saveexec_b64 s[78:79], s[56:57]
	s_cbranch_execnz .LBB18_109
.LBB18_77:                              ;   in Loop: Header=BB18_47 Depth=1
	s_or_b64 exec, exec, s[78:79]
	s_and_saveexec_b64 s[78:79], s[58:59]
	s_cbranch_execnz .LBB18_110
.LBB18_78:                              ;   in Loop: Header=BB18_47 Depth=1
	s_or_b64 exec, exec, s[78:79]
	s_and_saveexec_b64 s[78:79], s[64:65]
	s_cbranch_execnz .LBB18_111
.LBB18_79:                              ;   in Loop: Header=BB18_47 Depth=1
	s_or_b64 exec, exec, s[78:79]
	s_and_saveexec_b64 s[64:65], vcc
	s_cbranch_execz .LBB18_46
	s_branch .LBB18_112
.LBB18_80:                              ;   in Loop: Header=BB18_47 Depth=1
	v_readlane_b32 s86, v24, 14
	v_mov_b32_e32 v10, s86
	ds_read_b32 v10, v10
	s_waitcnt lgkmcnt(0)
	v_add_u32_e32 v6, v10, v6
	s_or_b64 exec, exec, s[78:79]
	s_and_saveexec_b64 s[78:79], s[62:63]
	s_cbranch_execz .LBB18_49
.LBB18_81:                              ;   in Loop: Header=BB18_47 Depth=1
	v_readlane_b32 s86, v24, 15
	v_mov_b32_e32 v10, s86
	ds_read_b32 v10, v10
	s_waitcnt lgkmcnt(0)
	v_add_u32_e32 v6, v10, v6
	s_or_b64 exec, exec, s[78:79]
	s_and_saveexec_b64 s[78:79], s[0:1]
	s_cbranch_execz .LBB18_50
.LBB18_82:                              ;   in Loop: Header=BB18_47 Depth=1
	v_readlane_b32 s86, v24, 16
	v_mov_b32_e32 v10, s86
	ds_read_b32 v10, v10
	s_waitcnt lgkmcnt(0)
	v_add_u32_e32 v6, v10, v6
	s_or_b64 exec, exec, s[78:79]
	s_and_saveexec_b64 s[78:79], s[2:3]
	s_cbranch_execz .LBB18_51
.LBB18_83:                              ;   in Loop: Header=BB18_47 Depth=1
	v_readlane_b32 s86, v24, 17
	v_mov_b32_e32 v10, s86
	ds_read_b32 v10, v10
	s_waitcnt lgkmcnt(0)
	v_add_u32_e32 v6, v10, v6
	s_or_b64 exec, exec, s[78:79]
	s_and_saveexec_b64 s[78:79], s[4:5]
	s_cbranch_execz .LBB18_52
.LBB18_84:                              ;   in Loop: Header=BB18_47 Depth=1
	v_readlane_b32 s86, v24, 18
	v_mov_b32_e32 v10, s86
	ds_read_b32 v10, v10
	s_waitcnt lgkmcnt(0)
	v_add_u32_e32 v6, v10, v6
	s_or_b64 exec, exec, s[78:79]
	s_and_saveexec_b64 s[78:79], s[6:7]
	s_cbranch_execz .LBB18_53
.LBB18_85:                              ;   in Loop: Header=BB18_47 Depth=1
	v_readlane_b32 s86, v24, 19
	v_mov_b32_e32 v10, s86
	ds_read_b32 v10, v10
	s_waitcnt lgkmcnt(0)
	v_add_u32_e32 v6, v10, v6
	s_or_b64 exec, exec, s[78:79]
	s_and_saveexec_b64 s[78:79], s[8:9]
	s_cbranch_execz .LBB18_54
.LBB18_86:                              ;   in Loop: Header=BB18_47 Depth=1
	v_readlane_b32 s86, v24, 20
	v_mov_b32_e32 v10, s86
	ds_read_b32 v10, v10
	s_waitcnt lgkmcnt(0)
	v_add_u32_e32 v6, v10, v6
	s_or_b64 exec, exec, s[78:79]
	s_and_saveexec_b64 s[78:79], s[10:11]
	s_cbranch_execz .LBB18_55
.LBB18_87:                              ;   in Loop: Header=BB18_47 Depth=1
	v_readlane_b32 s86, v24, 21
	v_mov_b32_e32 v10, s86
	ds_read_b32 v10, v10
	s_waitcnt lgkmcnt(0)
	v_add_u32_e32 v6, v10, v6
	s_or_b64 exec, exec, s[78:79]
	s_and_saveexec_b64 s[78:79], s[12:13]
	s_cbranch_execz .LBB18_56
.LBB18_88:                              ;   in Loop: Header=BB18_47 Depth=1
	v_readlane_b32 s86, v24, 22
	v_mov_b32_e32 v10, s86
	ds_read_b32 v10, v10
	s_waitcnt lgkmcnt(0)
	v_add_u32_e32 v6, v10, v6
	s_or_b64 exec, exec, s[78:79]
	s_and_saveexec_b64 s[78:79], s[14:15]
	s_cbranch_execz .LBB18_57
.LBB18_89:                              ;   in Loop: Header=BB18_47 Depth=1
	v_readlane_b32 s86, v24, 23
	v_mov_b32_e32 v10, s86
	ds_read_b32 v10, v10
	s_waitcnt lgkmcnt(0)
	v_add_u32_e32 v6, v10, v6
	s_or_b64 exec, exec, s[78:79]
	s_and_saveexec_b64 s[78:79], s[16:17]
	s_cbranch_execz .LBB18_58
.LBB18_90:                              ;   in Loop: Header=BB18_47 Depth=1
	v_mov_b32_e32 v10, s88
	ds_read_b32 v10, v10
	s_waitcnt lgkmcnt(0)
	v_add_u32_e32 v6, v10, v6
	s_or_b64 exec, exec, s[78:79]
	s_and_saveexec_b64 s[78:79], s[18:19]
	s_cbranch_execz .LBB18_59
.LBB18_91:                              ;   in Loop: Header=BB18_47 Depth=1
	v_mov_b32_e32 v10, s89
	ds_read_b32 v10, v10
	s_waitcnt lgkmcnt(0)
	v_add_u32_e32 v6, v10, v6
	s_or_b64 exec, exec, s[78:79]
	s_and_saveexec_b64 s[78:79], s[20:21]
	s_cbranch_execz .LBB18_60
.LBB18_92:                              ;   in Loop: Header=BB18_47 Depth=1
	v_mov_b32_e32 v10, s90
	ds_read_b32 v10, v10
	s_waitcnt lgkmcnt(0)
	v_add_u32_e32 v6, v10, v6
	s_or_b64 exec, exec, s[78:79]
	s_and_saveexec_b64 s[78:79], s[22:23]
	s_cbranch_execz .LBB18_61
.LBB18_93:                              ;   in Loop: Header=BB18_47 Depth=1
	v_mov_b32_e32 v10, s91
	ds_read_b32 v10, v10
	s_waitcnt lgkmcnt(0)
	v_add_u32_e32 v6, v10, v6
	s_or_b64 exec, exec, s[78:79]
	s_and_saveexec_b64 s[78:79], s[24:25]
	s_cbranch_execz .LBB18_62
.LBB18_94:                              ;   in Loop: Header=BB18_47 Depth=1
	v_mov_b32_e32 v10, s92
	ds_read_b32 v10, v10
	s_waitcnt lgkmcnt(0)
	v_add_u32_e32 v6, v10, v6
	s_or_b64 exec, exec, s[78:79]
	s_and_saveexec_b64 s[78:79], s[26:27]
	s_cbranch_execz .LBB18_63
.LBB18_95:                              ;   in Loop: Header=BB18_47 Depth=1
	v_mov_b32_e32 v10, s93
	ds_read_b32 v10, v10
	s_waitcnt lgkmcnt(0)
	v_add_u32_e32 v6, v10, v6
	s_or_b64 exec, exec, s[78:79]
	s_and_saveexec_b64 s[78:79], s[28:29]
	s_cbranch_execz .LBB18_64
.LBB18_96:                              ;   in Loop: Header=BB18_47 Depth=1
	v_mov_b32_e32 v10, s94
	ds_read_b32 v10, v10
	s_waitcnt lgkmcnt(0)
	v_add_u32_e32 v6, v10, v6
	s_or_b64 exec, exec, s[78:79]
	s_and_saveexec_b64 s[78:79], s[30:31]
	s_cbranch_execz .LBB18_65
.LBB18_97:                              ;   in Loop: Header=BB18_47 Depth=1
	v_mov_b32_e32 v10, s95
	ds_read_b32 v10, v10
	s_waitcnt lgkmcnt(0)
	v_add_u32_e32 v6, v10, v6
	s_or_b64 exec, exec, s[78:79]
	s_and_saveexec_b64 s[78:79], s[34:35]
	s_cbranch_execz .LBB18_66
.LBB18_98:                              ;   in Loop: Header=BB18_47 Depth=1
	v_mov_b32_e32 v10, s76
	ds_read_b32 v10, v10
	s_waitcnt lgkmcnt(0)
	v_add_u32_e32 v6, v10, v6
	s_or_b64 exec, exec, s[78:79]
	s_and_saveexec_b64 s[78:79], s[36:37]
	s_cbranch_execz .LBB18_67
.LBB18_99:                              ;   in Loop: Header=BB18_47 Depth=1
	v_mov_b32_e32 v10, s66
	ds_read_b32 v10, v10
	s_waitcnt lgkmcnt(0)
	v_add_u32_e32 v6, v10, v6
	s_or_b64 exec, exec, s[78:79]
	s_and_saveexec_b64 s[78:79], s[38:39]
	s_cbranch_execz .LBB18_68
.LBB18_100:                             ;   in Loop: Header=BB18_47 Depth=1
	v_mov_b32_e32 v10, s67
	ds_read_b32 v10, v10
	s_waitcnt lgkmcnt(0)
	v_add_u32_e32 v6, v10, v6
	s_or_b64 exec, exec, s[78:79]
	s_and_saveexec_b64 s[78:79], s[40:41]
	s_cbranch_execz .LBB18_69
.LBB18_101:                             ;   in Loop: Header=BB18_47 Depth=1
	v_mov_b32_e32 v10, s72
	ds_read_b32 v10, v10
	s_waitcnt lgkmcnt(0)
	v_add_u32_e32 v6, v10, v6
	s_or_b64 exec, exec, s[78:79]
	s_and_saveexec_b64 s[78:79], s[42:43]
	s_cbranch_execz .LBB18_70
.LBB18_102:                             ;   in Loop: Header=BB18_47 Depth=1
	v_mov_b32_e32 v10, s73
	ds_read_b32 v10, v10
	s_waitcnt lgkmcnt(0)
	v_add_u32_e32 v6, v10, v6
	s_or_b64 exec, exec, s[78:79]
	s_and_saveexec_b64 s[78:79], s[44:45]
	s_cbranch_execz .LBB18_71
.LBB18_103:                             ;   in Loop: Header=BB18_47 Depth=1
	v_mov_b32_e32 v10, s74
	ds_read_b32 v10, v10
	s_waitcnt lgkmcnt(0)
	v_add_u32_e32 v6, v10, v6
	s_or_b64 exec, exec, s[78:79]
	s_and_saveexec_b64 s[78:79], s[46:47]
	s_cbranch_execz .LBB18_72
.LBB18_104:                             ;   in Loop: Header=BB18_47 Depth=1
	v_mov_b32_e32 v10, s75
	ds_read_b32 v10, v10
	s_waitcnt lgkmcnt(0)
	v_add_u32_e32 v6, v10, v6
	s_or_b64 exec, exec, s[78:79]
	s_and_saveexec_b64 s[78:79], s[48:49]
	s_cbranch_execz .LBB18_73
.LBB18_105:                             ;   in Loop: Header=BB18_47 Depth=1
	v_mov_b32_e32 v10, s71
	ds_read_b32 v10, v10
	s_waitcnt lgkmcnt(0)
	v_add_u32_e32 v6, v10, v6
	s_or_b64 exec, exec, s[78:79]
	s_and_saveexec_b64 s[78:79], s[50:51]
	s_cbranch_execz .LBB18_74
.LBB18_106:                             ;   in Loop: Header=BB18_47 Depth=1
	v_mov_b32_e32 v10, s77
	ds_read_b32 v10, v10
	s_waitcnt lgkmcnt(0)
	v_add_u32_e32 v6, v10, v6
	s_or_b64 exec, exec, s[78:79]
	s_and_saveexec_b64 s[78:79], s[52:53]
	s_cbranch_execz .LBB18_75
.LBB18_107:                             ;   in Loop: Header=BB18_47 Depth=1
	v_mov_b32_e32 v10, s80
	ds_read_b32 v10, v10
	s_waitcnt lgkmcnt(0)
	v_add_u32_e32 v6, v10, v6
	s_or_b64 exec, exec, s[78:79]
	s_and_saveexec_b64 s[78:79], s[54:55]
	s_cbranch_execz .LBB18_76
.LBB18_108:                             ;   in Loop: Header=BB18_47 Depth=1
	v_mov_b32_e32 v10, s81
	ds_read_b32 v10, v10
	s_waitcnt lgkmcnt(0)
	v_add_u32_e32 v6, v10, v6
	s_or_b64 exec, exec, s[78:79]
	s_and_saveexec_b64 s[78:79], s[56:57]
	s_cbranch_execz .LBB18_77
.LBB18_109:                             ;   in Loop: Header=BB18_47 Depth=1
	v_mov_b32_e32 v10, s82
	ds_read_b32 v10, v10
	s_waitcnt lgkmcnt(0)
	v_add_u32_e32 v6, v10, v6
	s_or_b64 exec, exec, s[78:79]
	s_and_saveexec_b64 s[78:79], s[58:59]
	s_cbranch_execz .LBB18_78
.LBB18_110:                             ;   in Loop: Header=BB18_47 Depth=1
	v_mov_b32_e32 v10, s83
	ds_read_b32 v10, v10
	s_waitcnt lgkmcnt(0)
	v_add_u32_e32 v6, v10, v6
	s_or_b64 exec, exec, s[78:79]
	s_and_saveexec_b64 s[78:79], s[64:65]
	s_cbranch_execz .LBB18_79
.LBB18_111:                             ;   in Loop: Header=BB18_47 Depth=1
	v_add3_u32 v10, v4, -1, v6
	v_lshl_add_u32 v10, v10, 2, 0
	v_add_u32_e32 v11, 0x10000, v10
	ds_write_b32 v10, v7
	ds_write_b32 v11, v9
	s_or_b64 exec, exec, s[78:79]
	s_and_saveexec_b64 s[64:65], vcc
	s_cbranch_execz .LBB18_46
.LBB18_112:                             ;   in Loop: Header=BB18_47 Depth=1
	v_mov_b32_e32 v7, s84
	ds_write_b32 v7, v6
	s_branch .LBB18_46
.LBB18_113:
	s_or_b64 exec, exec, s[68:69]
	v_readlane_b32 s0, v24, 12
	v_readlane_b32 s1, v24, 13
	;; [unrolled: 1-line block ×3, first 2 shown]
	s_ashr_i32 s1, s0, 31
	v_readlane_b32 s6, v24, 6
	v_readlane_b32 s7, v24, 7
	v_readlane_b32 s10, v24, 10
	v_readlane_b32 s11, v24, 11
	s_lshl_b64 s[0:1], s[0:1], 2
	s_mov_b64 s[6:7], s[10:11]
	s_add_u32 s0, s6, s0
	s_addc_u32 s1, s7, s1
	s_load_dwordx2 s[0:1], s[0:1], 0x0
	v_readlane_b32 s5, v24, 5
	v_readlane_b32 s8, v24, 8
	;; [unrolled: 1-line block ×3, first 2 shown]
	s_waitcnt lgkmcnt(0)
	s_sub_i32 s14, s1, s0
	v_cmp_gt_i32_e32 vcc, s14, v0
	s_and_saveexec_b64 s[2:3], vcc
	s_cbranch_execz .LBB18_128
; %bb.114:
	s_sub_i32 s6, s0, s70
	s_add_i32 s0, s14, -2
	s_lshr_b32 s1, s0, 1
	s_add_i32 s2, s1, 1
	s_cmp_gt_u32 s14, 1
	s_cselect_b64 s[8:9], -1, 0
	s_and_b32 s15, s14, -2
	s_and_b32 s4, s2, 7
	s_cmp_gt_u32 s0, 13
	s_cselect_b64 s[0:1], -1, 0
	s_and_b32 s16, s2, -8
	s_cmp_lg_u32 s4, 0
	s_cselect_b64 s[2:3], -1, 0
	v_cndmask_b32_e64 v1, 0, 1, s[0:1]
	v_readlane_b32 s20, v24, 0
	s_cmp_lg_u32 s14, s15
	v_cmp_ne_u32_e64 s[0:1], 1, v1
	v_cndmask_b32_e64 v1, 0, 1, s[2:3]
	v_readlane_b32 s21, v24, 1
	v_readlane_b32 s23, v24, 3
	s_mov_b32 s7, 0
	s_cselect_b64 s[10:11], -1, 0
	s_lshl_b32 s17, s4, 3
	s_mov_b64 s[12:13], 0
	v_cmp_ne_u32_e64 s[2:3], 1, v1
	v_mov_b32_e32 v1, s21
	v_mov_b32_e32 v4, s23
	v_readlane_b32 s22, v24, 2
	s_branch .LBB18_116
.LBB18_115:                             ;   in Loop: Header=BB18_116 Depth=1
	v_ashrrev_i32_e32 v3, 31, v2
	v_lshlrev_b64 v[2:3], 2, v[2:3]
	v_readlane_b32 s20, v24, 0
	s_waitcnt lgkmcnt(1)
	v_add_u32_e32 v8, s70, v6
	v_add_co_u32_e32 v6, vcc, s20, v2
	v_readlane_b32 s22, v24, 2
	v_addc_co_u32_e32 v7, vcc, v1, v3, vcc
	v_add_co_u32_e32 v2, vcc, s22, v2
	v_addc_co_u32_e32 v3, vcc, v4, v3, vcc
	v_add_u32_e32 v0, 0x400, v0
	v_cmp_le_i32_e32 vcc, s14, v0
	s_or_b64 s[12:13], vcc, s[12:13]
	v_readlane_b32 s21, v24, 1
	v_readlane_b32 s23, v24, 3
	global_store_dword v[6:7], v8, off
	s_waitcnt lgkmcnt(0)
	global_store_dword v[2:3], v5, off
	s_andn2_b64 exec, exec, s[12:13]
	s_cbranch_execz .LBB18_128
.LBB18_116:                             ; =>This Loop Header: Depth=1
                                        ;     Child Loop BB18_119 Depth 2
                                        ;     Child Loop BB18_124 Depth 2
	;; [unrolled: 1-line block ×3, first 2 shown]
	v_lshl_add_u32 v2, v0, 2, 0
	v_add_u32_e32 v3, 0x10000, v2
	ds_read_b32 v6, v2
	ds_read_b32 v5, v3
	s_and_b64 vcc, exec, s[8:9]
	s_cbranch_vccz .LBB18_121
; %bb.117:                              ;   in Loop: Header=BB18_116 Depth=1
	s_and_b64 vcc, exec, s[0:1]
	s_cbranch_vccnz .LBB18_122
; %bb.118:                              ;   in Loop: Header=BB18_116 Depth=1
	s_mov_b32 s19, 0
	v_mov_b32_e32 v2, s6
	v_mov_b32_e32 v3, 0
	s_mov_b32 s20, s16
	s_mov_b32 s18, 0
.LBB18_119:                             ;   Parent Loop BB18_116 Depth=1
                                        ; =>  This Inner Loop Header: Depth=2
	v_mov_b32_e32 v7, s19
	ds_read2_b32 v[8:9], v7 offset1:1
	ds_read2_b32 v[10:11], v7 offset0:2 offset1:3
	ds_read2_b32 v[12:13], v7 offset0:4 offset1:5
	;; [unrolled: 1-line block ×7, first 2 shown]
	s_waitcnt lgkmcnt(7)
	v_cmp_gt_i32_e32 vcc, v6, v9
	s_waitcnt lgkmcnt(5)
	v_cmp_gt_i32_e64 s[4:5], v6, v12
	v_cndmask_b32_e64 v7, 0, 1, vcc
	v_cmp_gt_i32_e32 vcc, v6, v8
	v_cndmask_b32_e64 v9, 0, 1, s[4:5]
	v_cmp_gt_i32_e64 s[4:5], v6, v13
	v_cndmask_b32_e64 v8, 0, 1, vcc
	v_cmp_gt_i32_e32 vcc, v6, v11
	v_cndmask_b32_e64 v11, 0, 1, s[4:5]
	s_waitcnt lgkmcnt(3)
	v_cmp_gt_i32_e64 s[4:5], v6, v17
	v_cndmask_b32_e64 v12, 0, 1, s[4:5]
	v_cmp_gt_i32_e64 s[4:5], v6, v16
	v_cndmask_b32_e64 v13, 0, 1, s[4:5]
	s_waitcnt lgkmcnt(1)
	v_cmp_gt_i32_e64 s[4:5], v6, v20
	v_cndmask_b32_e64 v16, 0, 1, s[4:5]
	v_cmp_gt_i32_e64 s[4:5], v6, v21
	v_cndmask_b32_e64 v17, 0, 1, s[4:5]
	v_cmp_gt_i32_e64 s[4:5], v6, v10
	v_addc_co_u32_e64 v2, s[4:5], v2, v8, s[4:5]
	v_addc_co_u32_e32 v3, vcc, v3, v7, vcc
	v_cmp_gt_i32_e32 vcc, v6, v14
	v_cmp_gt_i32_e64 s[4:5], v6, v15
	v_addc_co_u32_e64 v3, s[4:5], v3, v11, s[4:5]
	v_addc_co_u32_e32 v2, vcc, v2, v9, vcc
	v_cmp_gt_i32_e32 vcc, v6, v19
	v_cmp_gt_i32_e64 s[4:5], v6, v18
	v_addc_co_u32_e64 v2, s[4:5], v2, v13, s[4:5]
	v_addc_co_u32_e32 v3, vcc, v3, v12, vcc
	s_add_i32 s18, s18, 16
	s_add_i32 s19, s19, 64
	s_add_i32 s20, s20, -8
	s_waitcnt lgkmcnt(0)
	v_cmp_gt_i32_e32 vcc, v6, v22
	v_cmp_gt_i32_e64 s[4:5], v6, v23
	s_cmp_lg_u32 s20, 0
	v_addc_co_u32_e64 v3, s[4:5], v3, v17, s[4:5]
	v_addc_co_u32_e32 v2, vcc, v2, v16, vcc
	s_cbranch_scc1 .LBB18_119
; %bb.120:                              ;   in Loop: Header=BB18_116 Depth=1
	s_and_b64 vcc, exec, s[2:3]
	s_cbranch_vccz .LBB18_123
	s_branch .LBB18_125
.LBB18_121:                             ;   in Loop: Header=BB18_116 Depth=1
	v_mov_b32_e32 v2, s6
	s_mov_b32 s18, 0
	s_cbranch_execz .LBB18_115
	s_branch .LBB18_126
.LBB18_122:                             ;   in Loop: Header=BB18_116 Depth=1
	v_pk_mov_b32 v[2:3], s[6:7], s[6:7] op_sel:[0,1]
	s_mov_b32 s18, 0
	s_and_b64 vcc, exec, s[2:3]
	s_cbranch_vccnz .LBB18_125
.LBB18_123:                             ;   in Loop: Header=BB18_116 Depth=1
	s_lshl_b32 s4, s18, 2
	s_add_i32 s4, s4, 0
	s_mov_b32 s5, s17
.LBB18_124:                             ;   Parent Loop BB18_116 Depth=1
                                        ; =>  This Inner Loop Header: Depth=2
	v_mov_b32_e32 v7, s4
	ds_read2_b32 v[8:9], v7 offset1:1
	s_add_i32 s4, s4, 8
	s_add_i32 s5, s5, -8
	s_cmp_lg_u32 s5, 0
	s_waitcnt lgkmcnt(0)
	v_cmp_gt_i32_e32 vcc, v6, v9
	v_addc_co_u32_e32 v3, vcc, 0, v3, vcc
	v_cmp_gt_i32_e32 vcc, v6, v8
	v_addc_co_u32_e32 v2, vcc, 0, v2, vcc
	s_cbranch_scc1 .LBB18_124
.LBB18_125:                             ;   in Loop: Header=BB18_116 Depth=1
	v_add_u32_e32 v2, v2, v3
	s_mov_b32 s18, s15
	s_mov_b64 s[4:5], s[10:11]
	s_and_b64 vcc, exec, s[4:5]
	s_cbranch_vccz .LBB18_115
.LBB18_126:                             ;   in Loop: Header=BB18_116 Depth=1
	s_lshl_b32 s4, s18, 2
	s_add_i32 s4, s4, 0
.LBB18_127:                             ;   Parent Loop BB18_116 Depth=1
                                        ; =>  This Inner Loop Header: Depth=2
	v_mov_b32_e32 v3, s4
	ds_read_b32 v3, v3
	s_add_i32 s18, s18, 1
	s_add_i32 s4, s4, 4
	s_cmp_ge_i32 s18, s14
	s_waitcnt lgkmcnt(0)
	v_cmp_gt_i32_e32 vcc, v6, v3
	v_addc_co_u32_e32 v2, vcc, 0, v2, vcc
	s_cbranch_scc0 .LBB18_127
	s_branch .LBB18_115
.LBB18_128:
	s_endpgm
	.section	.rodata,"a",@progbits
	.p2align	6, 0x0
	.amdhsa_kernel _ZN9rocsparseL26csrgemm_fill_block_per_rowILj1024ELj64ELj16384ELj137ELj32EiifEEvT5_PKS1_S3_NS_24const_host_device_scalarIT6_EEPKT4_S3_PKS5_S9_S3_SB_S6_S9_S3_SB_S9_PS1_PS5_21rocsparse_index_base_SE_SE_SE_bbb
		.amdhsa_group_segment_fixed_size 0
		.amdhsa_private_segment_fixed_size 0
		.amdhsa_kernarg_size 156
		.amdhsa_user_sgpr_count 6
		.amdhsa_user_sgpr_private_segment_buffer 1
		.amdhsa_user_sgpr_dispatch_ptr 0
		.amdhsa_user_sgpr_queue_ptr 0
		.amdhsa_user_sgpr_kernarg_segment_ptr 1
		.amdhsa_user_sgpr_dispatch_id 0
		.amdhsa_user_sgpr_flat_scratch_init 0
		.amdhsa_user_sgpr_kernarg_preload_length 0
		.amdhsa_user_sgpr_kernarg_preload_offset 0
		.amdhsa_user_sgpr_private_segment_size 0
		.amdhsa_uses_dynamic_stack 0
		.amdhsa_system_sgpr_private_segment_wavefront_offset 0
		.amdhsa_system_sgpr_workgroup_id_x 1
		.amdhsa_system_sgpr_workgroup_id_y 0
		.amdhsa_system_sgpr_workgroup_id_z 0
		.amdhsa_system_sgpr_workgroup_info 0
		.amdhsa_system_vgpr_workitem_id 0
		.amdhsa_next_free_vgpr 25
		.amdhsa_next_free_sgpr 96
		.amdhsa_accum_offset 28
		.amdhsa_reserve_vcc 1
		.amdhsa_reserve_flat_scratch 0
		.amdhsa_float_round_mode_32 0
		.amdhsa_float_round_mode_16_64 0
		.amdhsa_float_denorm_mode_32 3
		.amdhsa_float_denorm_mode_16_64 3
		.amdhsa_dx10_clamp 1
		.amdhsa_ieee_mode 1
		.amdhsa_fp16_overflow 0
		.amdhsa_tg_split 0
		.amdhsa_exception_fp_ieee_invalid_op 0
		.amdhsa_exception_fp_denorm_src 0
		.amdhsa_exception_fp_ieee_div_zero 0
		.amdhsa_exception_fp_ieee_overflow 0
		.amdhsa_exception_fp_ieee_underflow 0
		.amdhsa_exception_fp_ieee_inexact 0
		.amdhsa_exception_int_div_zero 0
	.end_amdhsa_kernel
	.section	.text._ZN9rocsparseL26csrgemm_fill_block_per_rowILj1024ELj64ELj16384ELj137ELj32EiifEEvT5_PKS1_S3_NS_24const_host_device_scalarIT6_EEPKT4_S3_PKS5_S9_S3_SB_S6_S9_S3_SB_S9_PS1_PS5_21rocsparse_index_base_SE_SE_SE_bbb,"axG",@progbits,_ZN9rocsparseL26csrgemm_fill_block_per_rowILj1024ELj64ELj16384ELj137ELj32EiifEEvT5_PKS1_S3_NS_24const_host_device_scalarIT6_EEPKT4_S3_PKS5_S9_S3_SB_S6_S9_S3_SB_S9_PS1_PS5_21rocsparse_index_base_SE_SE_SE_bbb,comdat
.Lfunc_end18:
	.size	_ZN9rocsparseL26csrgemm_fill_block_per_rowILj1024ELj64ELj16384ELj137ELj32EiifEEvT5_PKS1_S3_NS_24const_host_device_scalarIT6_EEPKT4_S3_PKS5_S9_S3_SB_S6_S9_S3_SB_S9_PS1_PS5_21rocsparse_index_base_SE_SE_SE_bbb, .Lfunc_end18-_ZN9rocsparseL26csrgemm_fill_block_per_rowILj1024ELj64ELj16384ELj137ELj32EiifEEvT5_PKS1_S3_NS_24const_host_device_scalarIT6_EEPKT4_S3_PKS5_S9_S3_SB_S6_S9_S3_SB_S9_PS1_PS5_21rocsparse_index_base_SE_SE_SE_bbb
                                        ; -- End function
	.section	.AMDGPU.csdata,"",@progbits
; Kernel info:
; codeLenInByte = 5144
; NumSgprs: 100
; NumVgprs: 25
; NumAgprs: 0
; TotalNumVgprs: 25
; ScratchSize: 0
; MemoryBound: 0
; FloatMode: 240
; IeeeMode: 1
; LDSByteSize: 0 bytes/workgroup (compile time only)
; SGPRBlocks: 12
; VGPRBlocks: 3
; NumSGPRsForWavesPerEU: 100
; NumVGPRsForWavesPerEU: 25
; AccumOffset: 28
; Occupancy: 8
; WaveLimiterHint : 1
; COMPUTE_PGM_RSRC2:SCRATCH_EN: 0
; COMPUTE_PGM_RSRC2:USER_SGPR: 6
; COMPUTE_PGM_RSRC2:TRAP_HANDLER: 0
; COMPUTE_PGM_RSRC2:TGID_X_EN: 1
; COMPUTE_PGM_RSRC2:TGID_Y_EN: 0
; COMPUTE_PGM_RSRC2:TGID_Z_EN: 0
; COMPUTE_PGM_RSRC2:TIDIG_COMP_CNT: 0
; COMPUTE_PGM_RSRC3_GFX90A:ACCUM_OFFSET: 6
; COMPUTE_PGM_RSRC3_GFX90A:TG_SPLIT: 0
	.section	.text._ZN9rocsparseL26csrgemm_fill_block_per_rowILj1024ELj64ELj16384ELj137ELj64EiifEEvT5_PKS1_S3_NS_24const_host_device_scalarIT6_EEPKT4_S3_PKS5_S9_S3_SB_S6_S9_S3_SB_S9_PS1_PS5_21rocsparse_index_base_SE_SE_SE_bbb,"axG",@progbits,_ZN9rocsparseL26csrgemm_fill_block_per_rowILj1024ELj64ELj16384ELj137ELj64EiifEEvT5_PKS1_S3_NS_24const_host_device_scalarIT6_EEPKT4_S3_PKS5_S9_S3_SB_S6_S9_S3_SB_S9_PS1_PS5_21rocsparse_index_base_SE_SE_SE_bbb,comdat
	.globl	_ZN9rocsparseL26csrgemm_fill_block_per_rowILj1024ELj64ELj16384ELj137ELj64EiifEEvT5_PKS1_S3_NS_24const_host_device_scalarIT6_EEPKT4_S3_PKS5_S9_S3_SB_S6_S9_S3_SB_S9_PS1_PS5_21rocsparse_index_base_SE_SE_SE_bbb ; -- Begin function _ZN9rocsparseL26csrgemm_fill_block_per_rowILj1024ELj64ELj16384ELj137ELj64EiifEEvT5_PKS1_S3_NS_24const_host_device_scalarIT6_EEPKT4_S3_PKS5_S9_S3_SB_S6_S9_S3_SB_S9_PS1_PS5_21rocsparse_index_base_SE_SE_SE_bbb
	.p2align	8
	.type	_ZN9rocsparseL26csrgemm_fill_block_per_rowILj1024ELj64ELj16384ELj137ELj64EiifEEvT5_PKS1_S3_NS_24const_host_device_scalarIT6_EEPKT4_S3_PKS5_S9_S3_SB_S6_S9_S3_SB_S9_PS1_PS5_21rocsparse_index_base_SE_SE_SE_bbb,@function
_ZN9rocsparseL26csrgemm_fill_block_per_rowILj1024ELj64ELj16384ELj137ELj64EiifEEvT5_PKS1_S3_NS_24const_host_device_scalarIT6_EEPKT4_S3_PKS5_S9_S3_SB_S6_S9_S3_SB_S9_PS1_PS5_21rocsparse_index_base_SE_SE_SE_bbb: ; @_ZN9rocsparseL26csrgemm_fill_block_per_rowILj1024ELj64ELj16384ELj137ELj64EiifEEvT5_PKS1_S3_NS_24const_host_device_scalarIT6_EEPKT4_S3_PKS5_S9_S3_SB_S6_S9_S3_SB_S9_PS1_PS5_21rocsparse_index_base_SE_SE_SE_bbb
; %bb.0:
	s_load_dword s7, s[4:5], 0x98
	s_load_dwordx4 s[44:47], s[4:5], 0x88
	s_load_dwordx2 s[0:1], s[4:5], 0x18
	s_load_dwordx2 s[24:25], s[4:5], 0x50
	s_waitcnt lgkmcnt(0)
	s_bitcmp1_b32 s7, 0
	s_cselect_b64 s[2:3], -1, 0
	s_bitcmp1_b32 s7, 16
	s_cselect_b64 s[26:27], -1, 0
	s_xor_b64 s[8:9], s[2:3], -1
	s_or_b64 s[8:9], s[8:9], s[26:27]
	s_and_b64 vcc, exec, s[8:9]
	s_cbranch_vccnz .LBB19_2
; %bb.1:
	s_load_dword s0, s[0:1], 0x0
	s_waitcnt lgkmcnt(0)
	v_mov_b32_e32 v11, s0
	s_branch .LBB19_3
.LBB19_2:
	v_mov_b32_e32 v1, s0
	v_cndmask_b32_e64 v11, 0, v1, s[2:3]
.LBB19_3:
	s_load_dwordx4 s[48:51], s[4:5], 0x78
	s_load_dwordx8 s[36:43], s[4:5], 0x58
	s_load_dwordx4 s[16:19], s[4:5], 0x40
	s_load_dwordx4 s[20:23], s[4:5], 0x8
	s_load_dwordx8 s[8:15], s[4:5], 0x20
	s_bitcmp1_b32 s7, 8
	s_cselect_b64 s[0:1], -1, 0
	s_xor_b64 s[28:29], s[0:1], -1
	s_or_b64 s[26:27], s[28:29], s[26:27]
	s_and_b64 vcc, exec, s[26:27]
	s_cbranch_vccnz .LBB19_5
; %bb.4:
	s_load_dword s7, s[24:25], 0x0
	s_waitcnt lgkmcnt(0)
	v_mov_b32_e32 v9, s7
	s_branch .LBB19_6
.LBB19_5:
	v_mov_b32_e32 v1, s24
	v_cndmask_b32_e64 v9, 0, v1, s[0:1]
.LBB19_6:
	s_load_dword s33, s[4:5], 0x0
	v_or_b32_e32 v1, 0xfffffc00, v0
	v_lshl_add_u32 v8, v0, 2, 0
	s_mov_b64 s[4:5], 0
	v_mov_b32_e32 v2, 0
	s_waitcnt lgkmcnt(0)
	v_mov_b32_e32 v3, s33
	s_movk_i32 s7, 0x3bff
	v_mov_b32_e32 v4, v8
	v_mov_b32_e32 v5, v1
.LBB19_7:                               ; =>This Inner Loop Header: Depth=1
	v_add_u32_e32 v5, 0x400, v5
	v_cmp_lt_u32_e32 vcc, s7, v5
	ds_write_b32 v4, v3
	v_add_u32_e32 v6, 0x10000, v4
	v_add_u32_e32 v4, 0x1000, v4
	s_or_b64 s[4:5], vcc, s[4:5]
	ds_write_b32 v6, v2
	s_andn2_b64 exec, exec, s[4:5]
	s_cbranch_execnz .LBB19_7
; %bb.8:
	s_or_b64 exec, exec, s[4:5]
	s_waitcnt lgkmcnt(0)
	s_barrier
	s_load_dword s4, s[20:21], 0x0
	s_mov_b32 s5, 0
	v_lshrrev_b32_e32 v10, 6, v0
	s_waitcnt lgkmcnt(0)
	s_add_i32 s4, s4, s6
	s_lshl_b64 s[4:5], s[4:5], 2
	s_add_u32 s4, s22, s4
	s_addc_u32 s5, s23, s5
	s_load_dword s34, s[4:5], 0x0
	s_and_b64 vcc, exec, s[2:3]
	s_cbranch_vccz .LBB19_28
; %bb.9:
	s_waitcnt lgkmcnt(0)
	s_ashr_i32 s35, s34, 31
	s_lshl_b64 s[2:3], s[34:35], 2
	s_add_u32 s2, s8, s2
	s_addc_u32 s3, s9, s3
	s_load_dwordx2 s[2:3], s[2:3], 0x0
	v_subrev_u32_e32 v2, s44, v10
	s_waitcnt lgkmcnt(0)
	s_sub_i32 s35, s3, s44
	v_add_u32_e32 v2, s2, v2
	v_cmp_gt_i32_e32 vcc, s35, v2
	s_and_saveexec_b64 s[2:3], vcc
	s_cbranch_execz .LBB19_27
; %bb.10:
	v_and_b32_e32 v3, 63, v0
	v_subrev_u32_e32 v12, s45, v3
	s_mov_b64 s[4:5], 0
	v_mov_b32_e32 v13, s11
	v_mov_b32_e32 v14, s15
	s_movk_i32 s11, 0x89
	s_branch .LBB19_12
.LBB19_11:                              ;   in Loop: Header=BB19_12 Depth=1
	s_or_b64 exec, exec, s[6:7]
	v_add_u32_e32 v2, 16, v2
	v_cmp_le_i32_e32 vcc, s35, v2
	s_or_b64 s[4:5], vcc, s[4:5]
	s_andn2_b64 exec, exec, s[4:5]
	s_cbranch_execz .LBB19_27
.LBB19_12:                              ; =>This Loop Header: Depth=1
                                        ;     Child Loop BB19_15 Depth 2
                                        ;       Child Loop BB19_17 Depth 3
	v_ashrrev_i32_e32 v3, 31, v2
	v_lshlrev_b64 v[6:7], 2, v[2:3]
	v_add_co_u32_e32 v4, vcc, s10, v6
	v_addc_co_u32_e32 v5, vcc, v13, v7, vcc
	global_load_dword v3, v[4:5], off
	s_waitcnt vmcnt(0)
	v_subrev_u32_e32 v4, s44, v3
	v_ashrrev_i32_e32 v5, 31, v4
	v_lshlrev_b64 v[4:5], 2, v[4:5]
	v_add_co_u32_e32 v4, vcc, s14, v4
	v_addc_co_u32_e32 v5, vcc, v14, v5, vcc
	global_load_dwordx2 v[4:5], v[4:5], off
	s_waitcnt vmcnt(0)
	v_subrev_u32_e32 v3, s45, v5
	v_add_u32_e32 v4, v4, v12
	v_cmp_lt_i32_e32 vcc, v4, v3
	s_and_saveexec_b64 s[6:7], vcc
	s_cbranch_execz .LBB19_11
; %bb.13:                               ;   in Loop: Header=BB19_12 Depth=1
	v_mov_b32_e32 v5, s13
	v_add_co_u32_e32 v6, vcc, s12, v6
	v_addc_co_u32_e32 v7, vcc, v5, v7, vcc
	global_load_dword v5, v[6:7], off
	s_mov_b64 s[8:9], 0
	s_waitcnt vmcnt(0)
	v_mul_f32_e32 v6, v11, v5
	s_branch .LBB19_15
.LBB19_14:                              ;   in Loop: Header=BB19_15 Depth=2
	s_or_b64 exec, exec, s[20:21]
	v_add_u32_e32 v4, 64, v4
	v_cmp_ge_i32_e32 vcc, v4, v3
	s_or_b64 s[8:9], vcc, s[8:9]
	s_andn2_b64 exec, exec, s[8:9]
	s_cbranch_execz .LBB19_11
.LBB19_15:                              ;   Parent Loop BB19_12 Depth=1
                                        ; =>  This Loop Header: Depth=2
                                        ;       Child Loop BB19_17 Depth 3
	v_ashrrev_i32_e32 v5, 31, v4
	v_lshlrev_b64 v[16:17], 2, v[4:5]
	v_mov_b32_e32 v5, s17
	v_add_co_u32_e32 v18, vcc, s16, v16
	v_addc_co_u32_e32 v19, vcc, v5, v17, vcc
	global_load_dword v5, v[18:19], off
	v_mov_b32_e32 v7, s19
	v_add_co_u32_e32 v16, vcc, s18, v16
	v_addc_co_u32_e32 v17, vcc, v7, v17, vcc
	global_load_dword v7, v[16:17], off
	s_mov_b64 s[20:21], 0
	s_waitcnt vmcnt(1)
	v_subrev_u32_e32 v5, s45, v5
	v_mul_lo_u32 v15, v5, s11
	v_and_b32_e32 v15, 0x3fff, v15
	s_waitcnt vmcnt(0)
	v_mul_f32_e32 v7, v6, v7
	s_branch .LBB19_17
.LBB19_16:                              ;   in Loop: Header=BB19_17 Depth=3
	s_or_b64 exec, exec, s[22:23]
	s_xor_b64 s[22:23], s[24:25], -1
	s_and_b64 s[22:23], exec, s[22:23]
	s_or_b64 s[20:21], s[22:23], s[20:21]
	s_andn2_b64 exec, exec, s[20:21]
	s_cbranch_execz .LBB19_14
.LBB19_17:                              ;   Parent Loop BB19_12 Depth=1
                                        ;     Parent Loop BB19_15 Depth=2
                                        ; =>    This Inner Loop Header: Depth=3
	v_lshl_add_u32 v16, v15, 2, 0
	ds_read_b32 v17, v16
                                        ; implicit-def: $sgpr24_sgpr25
	s_waitcnt lgkmcnt(0)
	v_cmp_ne_u32_e32 vcc, v17, v5
	s_and_saveexec_b64 s[22:23], vcc
	s_xor_b64 s[22:23], exec, s[22:23]
	s_cbranch_execz .LBB19_25
; %bb.18:                               ;   in Loop: Header=BB19_17 Depth=3
	v_cmp_ne_u32_e32 vcc, s33, v17
                                        ; implicit-def: $sgpr24_sgpr25
	s_and_saveexec_b64 s[26:27], vcc
	s_xor_b64 s[26:27], exec, s[26:27]
; %bb.19:                               ;   in Loop: Header=BB19_17 Depth=3
	v_add_u32_e32 v15, 1, v15
	v_and_b32_e32 v15, 0x3fff, v15
	s_mov_b64 s[24:25], -1
                                        ; implicit-def: $vgpr16
; %bb.20:                               ;   in Loop: Header=BB19_17 Depth=3
	s_andn2_saveexec_b64 s[26:27], s[26:27]
	s_cbranch_execz .LBB19_24
; %bb.21:                               ;   in Loop: Header=BB19_17 Depth=3
	v_mov_b32_e32 v17, s33
	ds_cmpst_rtn_b32 v17, v16, v17, v5
	s_mov_b64 s[28:29], -1
	s_waitcnt lgkmcnt(0)
	v_cmp_eq_u32_e32 vcc, s33, v17
	s_and_saveexec_b64 s[30:31], vcc
	s_cbranch_execz .LBB19_23
; %bb.22:                               ;   in Loop: Header=BB19_17 Depth=3
	v_add_u32_e32 v16, 0x10000, v16
	ds_add_f32 v16, v7
	s_xor_b64 s[28:29], exec, -1
.LBB19_23:                              ;   in Loop: Header=BB19_17 Depth=3
	s_or_b64 exec, exec, s[30:31]
	s_andn2_b64 s[24:25], s[24:25], exec
	s_and_b64 s[28:29], s[28:29], exec
	s_or_b64 s[24:25], s[24:25], s[28:29]
.LBB19_24:                              ;   in Loop: Header=BB19_17 Depth=3
	s_or_b64 exec, exec, s[26:27]
	s_and_b64 s[24:25], s[24:25], exec
                                        ; implicit-def: $vgpr16
.LBB19_25:                              ;   in Loop: Header=BB19_17 Depth=3
	s_andn2_saveexec_b64 s[22:23], s[22:23]
	s_cbranch_execz .LBB19_16
; %bb.26:                               ;   in Loop: Header=BB19_17 Depth=3
	v_add_u32_e32 v16, 0x10000, v16
	ds_add_f32 v16, v7
	s_andn2_b64 s[24:25], s[24:25], exec
	s_branch .LBB19_16
.LBB19_27:
	s_or_b64 exec, exec, s[2:3]
.LBB19_28:
	s_andn2_b64 vcc, exec, s[0:1]
	s_cbranch_vccnz .LBB19_45
; %bb.29:
	s_waitcnt lgkmcnt(0)
	s_ashr_i32 s35, s34, 31
	s_lshl_b64 s[0:1], s[34:35], 2
	s_add_u32 s0, s36, s0
	s_addc_u32 s1, s37, s1
	s_load_dwordx2 s[0:1], s[0:1], 0x0
	v_subrev_u32_e32 v2, s47, v0
	s_waitcnt lgkmcnt(0)
	s_sub_i32 s16, s1, s47
	v_add_u32_e32 v2, s0, v2
	v_cmp_gt_i32_e32 vcc, s16, v2
	s_and_saveexec_b64 s[0:1], vcc
	s_cbranch_execz .LBB19_44
; %bb.30:
	s_mov_b64 s[2:3], 0
	v_mov_b32_e32 v4, s39
	v_mov_b32_e32 v5, s41
	s_movk_i32 s17, 0x89
	s_branch .LBB19_32
.LBB19_31:                              ;   in Loop: Header=BB19_32 Depth=1
	s_or_b64 exec, exec, s[4:5]
	v_add_u32_e32 v2, 0x400, v2
	v_cmp_le_i32_e32 vcc, s16, v2
	s_or_b64 s[2:3], vcc, s[2:3]
	s_andn2_b64 exec, exec, s[2:3]
	s_cbranch_execz .LBB19_44
.LBB19_32:                              ; =>This Loop Header: Depth=1
                                        ;     Child Loop BB19_34 Depth 2
	v_ashrrev_i32_e32 v3, 31, v2
	v_lshlrev_b64 v[6:7], 2, v[2:3]
	v_add_co_u32_e32 v12, vcc, s38, v6
	v_addc_co_u32_e32 v13, vcc, v4, v7, vcc
	global_load_dword v3, v[12:13], off
	v_add_co_u32_e32 v6, vcc, s40, v6
	v_addc_co_u32_e32 v7, vcc, v5, v7, vcc
	global_load_dword v6, v[6:7], off
	s_mov_b64 s[4:5], 0
	s_waitcnt vmcnt(1)
	v_subrev_u32_e32 v3, s47, v3
	v_mul_lo_u32 v7, v3, s17
	v_and_b32_e32 v7, 0x3fff, v7
	s_waitcnt vmcnt(0)
	v_mul_f32_e32 v6, v9, v6
	s_branch .LBB19_34
.LBB19_33:                              ;   in Loop: Header=BB19_34 Depth=2
	s_or_b64 exec, exec, s[6:7]
	s_xor_b64 s[6:7], s[8:9], -1
	s_and_b64 s[6:7], exec, s[6:7]
	s_or_b64 s[4:5], s[6:7], s[4:5]
	s_andn2_b64 exec, exec, s[4:5]
	s_cbranch_execz .LBB19_31
.LBB19_34:                              ;   Parent Loop BB19_32 Depth=1
                                        ; =>  This Inner Loop Header: Depth=2
	v_lshl_add_u32 v11, v7, 2, 0
	ds_read_b32 v12, v11
                                        ; implicit-def: $sgpr8_sgpr9
	s_waitcnt lgkmcnt(0)
	v_cmp_ne_u32_e32 vcc, v12, v3
	s_and_saveexec_b64 s[6:7], vcc
	s_xor_b64 s[6:7], exec, s[6:7]
	s_cbranch_execz .LBB19_42
; %bb.35:                               ;   in Loop: Header=BB19_34 Depth=2
	v_cmp_ne_u32_e32 vcc, s33, v12
                                        ; implicit-def: $sgpr8_sgpr9
	s_and_saveexec_b64 s[10:11], vcc
	s_xor_b64 s[10:11], exec, s[10:11]
; %bb.36:                               ;   in Loop: Header=BB19_34 Depth=2
	v_add_u32_e32 v7, 1, v7
	v_and_b32_e32 v7, 0x3fff, v7
	s_mov_b64 s[8:9], -1
                                        ; implicit-def: $vgpr11
; %bb.37:                               ;   in Loop: Header=BB19_34 Depth=2
	s_andn2_saveexec_b64 s[10:11], s[10:11]
	s_cbranch_execz .LBB19_41
; %bb.38:                               ;   in Loop: Header=BB19_34 Depth=2
	v_mov_b32_e32 v12, s33
	ds_cmpst_rtn_b32 v12, v11, v12, v3
	s_mov_b64 s[12:13], -1
	s_waitcnt lgkmcnt(0)
	v_cmp_eq_u32_e32 vcc, s33, v12
	s_and_saveexec_b64 s[14:15], vcc
	s_cbranch_execz .LBB19_40
; %bb.39:                               ;   in Loop: Header=BB19_34 Depth=2
	v_add_u32_e32 v11, 0x10000, v11
	ds_add_f32 v11, v6
	s_xor_b64 s[12:13], exec, -1
.LBB19_40:                              ;   in Loop: Header=BB19_34 Depth=2
	s_or_b64 exec, exec, s[14:15]
	s_andn2_b64 s[8:9], s[8:9], exec
	s_and_b64 s[12:13], s[12:13], exec
	s_or_b64 s[8:9], s[8:9], s[12:13]
.LBB19_41:                              ;   in Loop: Header=BB19_34 Depth=2
	s_or_b64 exec, exec, s[10:11]
	s_and_b64 s[8:9], s[8:9], exec
                                        ; implicit-def: $vgpr11
.LBB19_42:                              ;   in Loop: Header=BB19_34 Depth=2
	s_andn2_saveexec_b64 s[6:7], s[6:7]
	s_cbranch_execz .LBB19_33
; %bb.43:                               ;   in Loop: Header=BB19_34 Depth=2
	v_add_u32_e32 v11, 0x10000, v11
	ds_add_f32 v11, v6
	s_andn2_b64 s[8:9], s[8:9], exec
	s_branch .LBB19_33
.LBB19_44:
	s_or_b64 exec, exec, s[0:1]
.LBB19_45:
	v_mbcnt_lo_u32_b32 v2, -1, 0
	v_mbcnt_hi_u32_b32 v2, -1, v2
	v_sub_u32_e32 v2, 63, v2
	s_add_i32 s35, 0, 0x20000
	s_movk_i32 s0, 0x3ff
	s_movk_i32 s2, 0x7f
	;; [unrolled: 1-line block ×15, first 2 shown]
	s_add_i32 s61, 0, 0x2003c
	v_mov_b32_e32 v4, 0
	v_lshrrev_b64 v[2:3], v2, -1
	v_lshl_add_u32 v5, v10, 2, s35
	v_cmp_eq_u32_e32 vcc, s0, v0
	v_cmp_lt_u32_e64 s[0:1], 63, v0
	v_cmp_lt_u32_e64 s[2:3], s2, v0
	;; [unrolled: 1-line block ×15, first 2 shown]
	s_mov_b64 s[36:37], 0
	s_add_i32 s40, 0, 0x20004
	s_add_i32 s41, 0, 0x20008
	;; [unrolled: 1-line block ×14, first 2 shown]
	v_mov_b32_e32 v6, s61
	s_movk_i32 s62, 0x3bff
	s_waitcnt lgkmcnt(0)
	s_barrier
	s_branch .LBB19_47
.LBB19_46:                              ;   in Loop: Header=BB19_47 Depth=1
	s_or_b64 exec, exec, s[30:31]
	s_waitcnt lgkmcnt(0)
	s_barrier
	ds_read_b32 v7, v6
	v_add_u32_e32 v1, 0x400, v1
	v_cmp_lt_u32_e64 s[30:31], s62, v1
	s_or_b64 s[36:37], s[30:31], s[36:37]
	v_add_u32_e32 v8, 0x1000, v8
	s_waitcnt lgkmcnt(0)
	v_add_u32_e32 v4, v7, v4
	s_andn2_b64 exec, exec, s[36:37]
	s_cbranch_execz .LBB19_81
.LBB19_47:                              ; =>This Inner Loop Header: Depth=1
	ds_read_b32 v9, v8
	v_add_u32_e32 v7, 0x10000, v8
	ds_read_b32 v10, v7
	s_waitcnt lgkmcnt(0)
	s_barrier
	v_cmp_gt_i32_e64 s[30:31], s33, v9
	v_and_b32_e32 v11, s30, v2
	s_bcnt1_i32_b64 s38, s[30:31]
	v_and_b32_e32 v7, s31, v3
	v_bcnt_u32_b32 v11, v11, 0
	v_bcnt_u32_b32 v7, v7, v11
	v_mov_b32_e32 v11, s38
	ds_write_b32 v5, v11
	s_waitcnt lgkmcnt(0)
	s_barrier
	s_and_saveexec_b64 s[38:39], s[0:1]
	s_cbranch_execnz .LBB19_64
; %bb.48:                               ;   in Loop: Header=BB19_47 Depth=1
	s_or_b64 exec, exec, s[38:39]
	s_and_saveexec_b64 s[38:39], s[2:3]
	s_cbranch_execnz .LBB19_65
.LBB19_49:                              ;   in Loop: Header=BB19_47 Depth=1
	s_or_b64 exec, exec, s[38:39]
	s_and_saveexec_b64 s[38:39], s[4:5]
	s_cbranch_execnz .LBB19_66
.LBB19_50:                              ;   in Loop: Header=BB19_47 Depth=1
	s_or_b64 exec, exec, s[38:39]
	s_and_saveexec_b64 s[38:39], s[6:7]
	s_cbranch_execnz .LBB19_67
.LBB19_51:                              ;   in Loop: Header=BB19_47 Depth=1
	s_or_b64 exec, exec, s[38:39]
	s_and_saveexec_b64 s[38:39], s[8:9]
	s_cbranch_execnz .LBB19_68
.LBB19_52:                              ;   in Loop: Header=BB19_47 Depth=1
	s_or_b64 exec, exec, s[38:39]
	s_and_saveexec_b64 s[38:39], s[10:11]
	s_cbranch_execnz .LBB19_69
.LBB19_53:                              ;   in Loop: Header=BB19_47 Depth=1
	s_or_b64 exec, exec, s[38:39]
	s_and_saveexec_b64 s[38:39], s[12:13]
	s_cbranch_execnz .LBB19_70
.LBB19_54:                              ;   in Loop: Header=BB19_47 Depth=1
	s_or_b64 exec, exec, s[38:39]
	s_and_saveexec_b64 s[38:39], s[14:15]
	s_cbranch_execnz .LBB19_71
.LBB19_55:                              ;   in Loop: Header=BB19_47 Depth=1
	s_or_b64 exec, exec, s[38:39]
	s_and_saveexec_b64 s[38:39], s[16:17]
	s_cbranch_execnz .LBB19_72
.LBB19_56:                              ;   in Loop: Header=BB19_47 Depth=1
	s_or_b64 exec, exec, s[38:39]
	s_and_saveexec_b64 s[38:39], s[18:19]
	s_cbranch_execnz .LBB19_73
.LBB19_57:                              ;   in Loop: Header=BB19_47 Depth=1
	s_or_b64 exec, exec, s[38:39]
	s_and_saveexec_b64 s[38:39], s[20:21]
	s_cbranch_execnz .LBB19_74
.LBB19_58:                              ;   in Loop: Header=BB19_47 Depth=1
	s_or_b64 exec, exec, s[38:39]
	s_and_saveexec_b64 s[38:39], s[22:23]
	s_cbranch_execnz .LBB19_75
.LBB19_59:                              ;   in Loop: Header=BB19_47 Depth=1
	s_or_b64 exec, exec, s[38:39]
	s_and_saveexec_b64 s[38:39], s[24:25]
	s_cbranch_execnz .LBB19_76
.LBB19_60:                              ;   in Loop: Header=BB19_47 Depth=1
	s_or_b64 exec, exec, s[38:39]
	s_and_saveexec_b64 s[38:39], s[26:27]
	s_cbranch_execnz .LBB19_77
.LBB19_61:                              ;   in Loop: Header=BB19_47 Depth=1
	s_or_b64 exec, exec, s[38:39]
	s_and_saveexec_b64 s[38:39], s[28:29]
	s_cbranch_execnz .LBB19_78
.LBB19_62:                              ;   in Loop: Header=BB19_47 Depth=1
	s_or_b64 exec, exec, s[38:39]
	s_and_saveexec_b64 s[38:39], s[30:31]
	s_cbranch_execnz .LBB19_79
.LBB19_63:                              ;   in Loop: Header=BB19_47 Depth=1
	s_or_b64 exec, exec, s[38:39]
	s_and_saveexec_b64 s[30:31], vcc
	s_cbranch_execz .LBB19_46
	s_branch .LBB19_80
.LBB19_64:                              ;   in Loop: Header=BB19_47 Depth=1
	v_mov_b32_e32 v11, s35
	ds_read_b32 v11, v11
	s_waitcnt lgkmcnt(0)
	v_add_u32_e32 v7, v11, v7
	s_or_b64 exec, exec, s[38:39]
	s_and_saveexec_b64 s[38:39], s[2:3]
	s_cbranch_execz .LBB19_49
.LBB19_65:                              ;   in Loop: Header=BB19_47 Depth=1
	v_mov_b32_e32 v11, s40
	ds_read_b32 v11, v11
	s_waitcnt lgkmcnt(0)
	v_add_u32_e32 v7, v11, v7
	s_or_b64 exec, exec, s[38:39]
	s_and_saveexec_b64 s[38:39], s[4:5]
	s_cbranch_execz .LBB19_50
.LBB19_66:                              ;   in Loop: Header=BB19_47 Depth=1
	v_mov_b32_e32 v11, s41
	ds_read_b32 v11, v11
	s_waitcnt lgkmcnt(0)
	v_add_u32_e32 v7, v11, v7
	s_or_b64 exec, exec, s[38:39]
	s_and_saveexec_b64 s[38:39], s[6:7]
	s_cbranch_execz .LBB19_51
.LBB19_67:                              ;   in Loop: Header=BB19_47 Depth=1
	v_mov_b32_e32 v11, s44
	ds_read_b32 v11, v11
	s_waitcnt lgkmcnt(0)
	v_add_u32_e32 v7, v11, v7
	s_or_b64 exec, exec, s[38:39]
	s_and_saveexec_b64 s[38:39], s[8:9]
	s_cbranch_execz .LBB19_52
.LBB19_68:                              ;   in Loop: Header=BB19_47 Depth=1
	v_mov_b32_e32 v11, s45
	ds_read_b32 v11, v11
	s_waitcnt lgkmcnt(0)
	v_add_u32_e32 v7, v11, v7
	s_or_b64 exec, exec, s[38:39]
	s_and_saveexec_b64 s[38:39], s[10:11]
	s_cbranch_execz .LBB19_53
.LBB19_69:                              ;   in Loop: Header=BB19_47 Depth=1
	v_mov_b32_e32 v11, s47
	ds_read_b32 v11, v11
	s_waitcnt lgkmcnt(0)
	v_add_u32_e32 v7, v11, v7
	s_or_b64 exec, exec, s[38:39]
	s_and_saveexec_b64 s[38:39], s[12:13]
	s_cbranch_execz .LBB19_54
.LBB19_70:                              ;   in Loop: Header=BB19_47 Depth=1
	v_mov_b32_e32 v11, s52
	ds_read_b32 v11, v11
	s_waitcnt lgkmcnt(0)
	v_add_u32_e32 v7, v11, v7
	s_or_b64 exec, exec, s[38:39]
	s_and_saveexec_b64 s[38:39], s[14:15]
	s_cbranch_execz .LBB19_55
.LBB19_71:                              ;   in Loop: Header=BB19_47 Depth=1
	v_mov_b32_e32 v11, s53
	ds_read_b32 v11, v11
	s_waitcnt lgkmcnt(0)
	v_add_u32_e32 v7, v11, v7
	s_or_b64 exec, exec, s[38:39]
	s_and_saveexec_b64 s[38:39], s[16:17]
	s_cbranch_execz .LBB19_56
.LBB19_72:                              ;   in Loop: Header=BB19_47 Depth=1
	v_mov_b32_e32 v11, s54
	ds_read_b32 v11, v11
	s_waitcnt lgkmcnt(0)
	v_add_u32_e32 v7, v11, v7
	s_or_b64 exec, exec, s[38:39]
	s_and_saveexec_b64 s[38:39], s[18:19]
	s_cbranch_execz .LBB19_57
.LBB19_73:                              ;   in Loop: Header=BB19_47 Depth=1
	v_mov_b32_e32 v11, s55
	ds_read_b32 v11, v11
	s_waitcnt lgkmcnt(0)
	v_add_u32_e32 v7, v11, v7
	s_or_b64 exec, exec, s[38:39]
	s_and_saveexec_b64 s[38:39], s[20:21]
	s_cbranch_execz .LBB19_58
.LBB19_74:                              ;   in Loop: Header=BB19_47 Depth=1
	v_mov_b32_e32 v11, s56
	ds_read_b32 v11, v11
	s_waitcnt lgkmcnt(0)
	v_add_u32_e32 v7, v11, v7
	s_or_b64 exec, exec, s[38:39]
	s_and_saveexec_b64 s[38:39], s[22:23]
	s_cbranch_execz .LBB19_59
.LBB19_75:                              ;   in Loop: Header=BB19_47 Depth=1
	v_mov_b32_e32 v11, s57
	ds_read_b32 v11, v11
	s_waitcnt lgkmcnt(0)
	v_add_u32_e32 v7, v11, v7
	s_or_b64 exec, exec, s[38:39]
	s_and_saveexec_b64 s[38:39], s[24:25]
	s_cbranch_execz .LBB19_60
.LBB19_76:                              ;   in Loop: Header=BB19_47 Depth=1
	v_mov_b32_e32 v11, s58
	ds_read_b32 v11, v11
	s_waitcnt lgkmcnt(0)
	v_add_u32_e32 v7, v11, v7
	s_or_b64 exec, exec, s[38:39]
	s_and_saveexec_b64 s[38:39], s[26:27]
	s_cbranch_execz .LBB19_61
.LBB19_77:                              ;   in Loop: Header=BB19_47 Depth=1
	v_mov_b32_e32 v11, s59
	ds_read_b32 v11, v11
	s_waitcnt lgkmcnt(0)
	v_add_u32_e32 v7, v11, v7
	s_or_b64 exec, exec, s[38:39]
	s_and_saveexec_b64 s[38:39], s[28:29]
	s_cbranch_execz .LBB19_62
.LBB19_78:                              ;   in Loop: Header=BB19_47 Depth=1
	v_mov_b32_e32 v11, s60
	ds_read_b32 v11, v11
	s_waitcnt lgkmcnt(0)
	v_add_u32_e32 v7, v11, v7
	s_or_b64 exec, exec, s[38:39]
	s_and_saveexec_b64 s[38:39], s[30:31]
	s_cbranch_execz .LBB19_63
.LBB19_79:                              ;   in Loop: Header=BB19_47 Depth=1
	v_add3_u32 v11, v4, -1, v7
	v_lshl_add_u32 v11, v11, 2, 0
	v_add_u32_e32 v12, 0x10000, v11
	ds_write_b32 v11, v9
	ds_write_b32 v12, v10
	s_or_b64 exec, exec, s[38:39]
	s_and_saveexec_b64 s[30:31], vcc
	s_cbranch_execz .LBB19_46
.LBB19_80:                              ;   in Loop: Header=BB19_47 Depth=1
	v_mov_b32_e32 v9, s61
	ds_write_b32 v9, v7
	s_branch .LBB19_46
.LBB19_81:
	s_or_b64 exec, exec, s[36:37]
	s_ashr_i32 s35, s34, 31
	s_lshl_b64 s[0:1], s[34:35], 2
	s_add_u32 s0, s42, s0
	s_addc_u32 s1, s43, s1
	s_load_dwordx2 s[0:1], s[0:1], 0x0
	s_waitcnt lgkmcnt(0)
	s_sub_i32 s14, s1, s0
	v_cmp_gt_i32_e32 vcc, s14, v0
	s_and_saveexec_b64 s[2:3], vcc
	s_cbranch_execz .LBB19_96
; %bb.82:
	s_sub_i32 s6, s0, s46
	s_add_i32 s0, s14, -2
	s_lshr_b32 s1, s0, 1
	s_add_i32 s2, s1, 1
	s_cmp_gt_u32 s14, 1
	s_cselect_b64 s[8:9], -1, 0
	s_and_b32 s15, s14, -2
	s_and_b32 s4, s2, 7
	s_cmp_gt_u32 s0, 13
	s_cselect_b64 s[0:1], -1, 0
	s_and_b32 s16, s2, -8
	s_cmp_lg_u32 s4, 0
	s_cselect_b64 s[2:3], -1, 0
	v_cndmask_b32_e64 v1, 0, 1, s[0:1]
	s_cmp_lg_u32 s14, s15
	v_cmp_ne_u32_e64 s[0:1], 1, v1
	v_cndmask_b32_e64 v1, 0, 1, s[2:3]
	s_mov_b32 s7, 0
	s_cselect_b64 s[10:11], -1, 0
	s_lshl_b32 s17, s4, 3
	s_mov_b64 s[12:13], 0
	v_cmp_ne_u32_e64 s[2:3], 1, v1
	v_mov_b32_e32 v1, s49
	v_mov_b32_e32 v4, s51
	s_branch .LBB19_84
.LBB19_83:                              ;   in Loop: Header=BB19_84 Depth=1
	v_ashrrev_i32_e32 v3, 31, v2
	v_lshlrev_b64 v[2:3], 2, v[2:3]
	s_waitcnt lgkmcnt(1)
	v_add_u32_e32 v8, s46, v6
	v_add_co_u32_e32 v6, vcc, s48, v2
	v_addc_co_u32_e32 v7, vcc, v1, v3, vcc
	v_add_co_u32_e32 v2, vcc, s50, v2
	v_addc_co_u32_e32 v3, vcc, v4, v3, vcc
	v_add_u32_e32 v0, 0x400, v0
	v_cmp_le_i32_e32 vcc, s14, v0
	s_or_b64 s[12:13], vcc, s[12:13]
	global_store_dword v[6:7], v8, off
	s_waitcnt lgkmcnt(0)
	global_store_dword v[2:3], v5, off
	s_andn2_b64 exec, exec, s[12:13]
	s_cbranch_execz .LBB19_96
.LBB19_84:                              ; =>This Loop Header: Depth=1
                                        ;     Child Loop BB19_87 Depth 2
                                        ;     Child Loop BB19_92 Depth 2
                                        ;     Child Loop BB19_95 Depth 2
	v_lshl_add_u32 v2, v0, 2, 0
	v_add_u32_e32 v3, 0x10000, v2
	ds_read_b32 v6, v2
	ds_read_b32 v5, v3
	s_and_b64 vcc, exec, s[8:9]
	s_cbranch_vccz .LBB19_89
; %bb.85:                               ;   in Loop: Header=BB19_84 Depth=1
	s_and_b64 vcc, exec, s[0:1]
	s_cbranch_vccnz .LBB19_90
; %bb.86:                               ;   in Loop: Header=BB19_84 Depth=1
	s_mov_b32 s19, 0
	v_mov_b32_e32 v2, s6
	v_mov_b32_e32 v3, 0
	s_mov_b32 s20, s16
	s_mov_b32 s18, 0
.LBB19_87:                              ;   Parent Loop BB19_84 Depth=1
                                        ; =>  This Inner Loop Header: Depth=2
	v_mov_b32_e32 v7, s19
	ds_read2_b32 v[8:9], v7 offset1:1
	ds_read2_b32 v[10:11], v7 offset0:2 offset1:3
	ds_read2_b32 v[12:13], v7 offset0:4 offset1:5
	;; [unrolled: 1-line block ×7, first 2 shown]
	s_waitcnt lgkmcnt(7)
	v_cmp_gt_i32_e32 vcc, v6, v9
	s_waitcnt lgkmcnt(5)
	v_cmp_gt_i32_e64 s[4:5], v6, v12
	v_cndmask_b32_e64 v7, 0, 1, vcc
	v_cmp_gt_i32_e32 vcc, v6, v8
	v_cndmask_b32_e64 v9, 0, 1, s[4:5]
	v_cmp_gt_i32_e64 s[4:5], v6, v13
	v_cndmask_b32_e64 v8, 0, 1, vcc
	v_cmp_gt_i32_e32 vcc, v6, v11
	v_cndmask_b32_e64 v11, 0, 1, s[4:5]
	s_waitcnt lgkmcnt(3)
	v_cmp_gt_i32_e64 s[4:5], v6, v17
	v_cndmask_b32_e64 v12, 0, 1, s[4:5]
	v_cmp_gt_i32_e64 s[4:5], v6, v16
	v_cndmask_b32_e64 v13, 0, 1, s[4:5]
	s_waitcnt lgkmcnt(1)
	v_cmp_gt_i32_e64 s[4:5], v6, v20
	v_cndmask_b32_e64 v16, 0, 1, s[4:5]
	v_cmp_gt_i32_e64 s[4:5], v6, v21
	v_cndmask_b32_e64 v17, 0, 1, s[4:5]
	v_cmp_gt_i32_e64 s[4:5], v6, v10
	v_addc_co_u32_e64 v2, s[4:5], v2, v8, s[4:5]
	v_addc_co_u32_e32 v3, vcc, v3, v7, vcc
	v_cmp_gt_i32_e32 vcc, v6, v14
	v_cmp_gt_i32_e64 s[4:5], v6, v15
	v_addc_co_u32_e64 v3, s[4:5], v3, v11, s[4:5]
	v_addc_co_u32_e32 v2, vcc, v2, v9, vcc
	v_cmp_gt_i32_e32 vcc, v6, v19
	v_cmp_gt_i32_e64 s[4:5], v6, v18
	v_addc_co_u32_e64 v2, s[4:5], v2, v13, s[4:5]
	v_addc_co_u32_e32 v3, vcc, v3, v12, vcc
	s_add_i32 s18, s18, 16
	s_add_i32 s19, s19, 64
	s_add_i32 s20, s20, -8
	s_waitcnt lgkmcnt(0)
	v_cmp_gt_i32_e32 vcc, v6, v22
	v_cmp_gt_i32_e64 s[4:5], v6, v23
	s_cmp_lg_u32 s20, 0
	v_addc_co_u32_e64 v3, s[4:5], v3, v17, s[4:5]
	v_addc_co_u32_e32 v2, vcc, v2, v16, vcc
	s_cbranch_scc1 .LBB19_87
; %bb.88:                               ;   in Loop: Header=BB19_84 Depth=1
	s_and_b64 vcc, exec, s[2:3]
	s_cbranch_vccz .LBB19_91
	s_branch .LBB19_93
.LBB19_89:                              ;   in Loop: Header=BB19_84 Depth=1
	v_mov_b32_e32 v2, s6
	s_mov_b32 s18, 0
	s_cbranch_execz .LBB19_83
	s_branch .LBB19_94
.LBB19_90:                              ;   in Loop: Header=BB19_84 Depth=1
	v_pk_mov_b32 v[2:3], s[6:7], s[6:7] op_sel:[0,1]
	s_mov_b32 s18, 0
	s_and_b64 vcc, exec, s[2:3]
	s_cbranch_vccnz .LBB19_93
.LBB19_91:                              ;   in Loop: Header=BB19_84 Depth=1
	s_lshl_b32 s4, s18, 2
	s_add_i32 s4, s4, 0
	s_mov_b32 s5, s17
.LBB19_92:                              ;   Parent Loop BB19_84 Depth=1
                                        ; =>  This Inner Loop Header: Depth=2
	v_mov_b32_e32 v7, s4
	ds_read2_b32 v[8:9], v7 offset1:1
	s_add_i32 s4, s4, 8
	s_add_i32 s5, s5, -8
	s_cmp_lg_u32 s5, 0
	s_waitcnt lgkmcnt(0)
	v_cmp_gt_i32_e32 vcc, v6, v9
	v_addc_co_u32_e32 v3, vcc, 0, v3, vcc
	v_cmp_gt_i32_e32 vcc, v6, v8
	v_addc_co_u32_e32 v2, vcc, 0, v2, vcc
	s_cbranch_scc1 .LBB19_92
.LBB19_93:                              ;   in Loop: Header=BB19_84 Depth=1
	v_add_u32_e32 v2, v2, v3
	s_mov_b32 s18, s15
	s_mov_b64 s[4:5], s[10:11]
	s_and_b64 vcc, exec, s[4:5]
	s_cbranch_vccz .LBB19_83
.LBB19_94:                              ;   in Loop: Header=BB19_84 Depth=1
	s_lshl_b32 s4, s18, 2
	s_add_i32 s4, s4, 0
.LBB19_95:                              ;   Parent Loop BB19_84 Depth=1
                                        ; =>  This Inner Loop Header: Depth=2
	v_mov_b32_e32 v3, s4
	ds_read_b32 v3, v3
	s_add_i32 s18, s18, 1
	s_add_i32 s4, s4, 4
	s_cmp_ge_i32 s18, s14
	s_waitcnt lgkmcnt(0)
	v_cmp_gt_i32_e32 vcc, v6, v3
	v_addc_co_u32_e32 v2, vcc, 0, v2, vcc
	s_cbranch_scc0 .LBB19_95
	s_branch .LBB19_83
.LBB19_96:
	s_endpgm
	.section	.rodata,"a",@progbits
	.p2align	6, 0x0
	.amdhsa_kernel _ZN9rocsparseL26csrgemm_fill_block_per_rowILj1024ELj64ELj16384ELj137ELj64EiifEEvT5_PKS1_S3_NS_24const_host_device_scalarIT6_EEPKT4_S3_PKS5_S9_S3_SB_S6_S9_S3_SB_S9_PS1_PS5_21rocsparse_index_base_SE_SE_SE_bbb
		.amdhsa_group_segment_fixed_size 0
		.amdhsa_private_segment_fixed_size 0
		.amdhsa_kernarg_size 156
		.amdhsa_user_sgpr_count 6
		.amdhsa_user_sgpr_private_segment_buffer 1
		.amdhsa_user_sgpr_dispatch_ptr 0
		.amdhsa_user_sgpr_queue_ptr 0
		.amdhsa_user_sgpr_kernarg_segment_ptr 1
		.amdhsa_user_sgpr_dispatch_id 0
		.amdhsa_user_sgpr_flat_scratch_init 0
		.amdhsa_user_sgpr_kernarg_preload_length 0
		.amdhsa_user_sgpr_kernarg_preload_offset 0
		.amdhsa_user_sgpr_private_segment_size 0
		.amdhsa_uses_dynamic_stack 0
		.amdhsa_system_sgpr_private_segment_wavefront_offset 0
		.amdhsa_system_sgpr_workgroup_id_x 1
		.amdhsa_system_sgpr_workgroup_id_y 0
		.amdhsa_system_sgpr_workgroup_id_z 0
		.amdhsa_system_sgpr_workgroup_info 0
		.amdhsa_system_vgpr_workitem_id 0
		.amdhsa_next_free_vgpr 24
		.amdhsa_next_free_sgpr 63
		.amdhsa_accum_offset 24
		.amdhsa_reserve_vcc 1
		.amdhsa_reserve_flat_scratch 0
		.amdhsa_float_round_mode_32 0
		.amdhsa_float_round_mode_16_64 0
		.amdhsa_float_denorm_mode_32 3
		.amdhsa_float_denorm_mode_16_64 3
		.amdhsa_dx10_clamp 1
		.amdhsa_ieee_mode 1
		.amdhsa_fp16_overflow 0
		.amdhsa_tg_split 0
		.amdhsa_exception_fp_ieee_invalid_op 0
		.amdhsa_exception_fp_denorm_src 0
		.amdhsa_exception_fp_ieee_div_zero 0
		.amdhsa_exception_fp_ieee_overflow 0
		.amdhsa_exception_fp_ieee_underflow 0
		.amdhsa_exception_fp_ieee_inexact 0
		.amdhsa_exception_int_div_zero 0
	.end_amdhsa_kernel
	.section	.text._ZN9rocsparseL26csrgemm_fill_block_per_rowILj1024ELj64ELj16384ELj137ELj64EiifEEvT5_PKS1_S3_NS_24const_host_device_scalarIT6_EEPKT4_S3_PKS5_S9_S3_SB_S6_S9_S3_SB_S9_PS1_PS5_21rocsparse_index_base_SE_SE_SE_bbb,"axG",@progbits,_ZN9rocsparseL26csrgemm_fill_block_per_rowILj1024ELj64ELj16384ELj137ELj64EiifEEvT5_PKS1_S3_NS_24const_host_device_scalarIT6_EEPKT4_S3_PKS5_S9_S3_SB_S6_S9_S3_SB_S9_PS1_PS5_21rocsparse_index_base_SE_SE_SE_bbb,comdat
.Lfunc_end19:
	.size	_ZN9rocsparseL26csrgemm_fill_block_per_rowILj1024ELj64ELj16384ELj137ELj64EiifEEvT5_PKS1_S3_NS_24const_host_device_scalarIT6_EEPKT4_S3_PKS5_S9_S3_SB_S6_S9_S3_SB_S9_PS1_PS5_21rocsparse_index_base_SE_SE_SE_bbb, .Lfunc_end19-_ZN9rocsparseL26csrgemm_fill_block_per_rowILj1024ELj64ELj16384ELj137ELj64EiifEEvT5_PKS1_S3_NS_24const_host_device_scalarIT6_EEPKT4_S3_PKS5_S9_S3_SB_S6_S9_S3_SB_S9_PS1_PS5_21rocsparse_index_base_SE_SE_SE_bbb
                                        ; -- End function
	.section	.AMDGPU.csdata,"",@progbits
; Kernel info:
; codeLenInByte = 3428
; NumSgprs: 67
; NumVgprs: 24
; NumAgprs: 0
; TotalNumVgprs: 24
; ScratchSize: 0
; MemoryBound: 0
; FloatMode: 240
; IeeeMode: 1
; LDSByteSize: 0 bytes/workgroup (compile time only)
; SGPRBlocks: 8
; VGPRBlocks: 2
; NumSGPRsForWavesPerEU: 67
; NumVGPRsForWavesPerEU: 24
; AccumOffset: 24
; Occupancy: 8
; WaveLimiterHint : 1
; COMPUTE_PGM_RSRC2:SCRATCH_EN: 0
; COMPUTE_PGM_RSRC2:USER_SGPR: 6
; COMPUTE_PGM_RSRC2:TRAP_HANDLER: 0
; COMPUTE_PGM_RSRC2:TGID_X_EN: 1
; COMPUTE_PGM_RSRC2:TGID_Y_EN: 0
; COMPUTE_PGM_RSRC2:TGID_Z_EN: 0
; COMPUTE_PGM_RSRC2:TIDIG_COMP_CNT: 0
; COMPUTE_PGM_RSRC3_GFX90A:ACCUM_OFFSET: 5
; COMPUTE_PGM_RSRC3_GFX90A:TG_SPLIT: 0
	.section	.text._ZN9rocsparseL26csrgemm_fill_block_per_rowILj1024ELj64ELj32768ELj137ELj32EiifEEvT5_PKS1_S3_NS_24const_host_device_scalarIT6_EEPKT4_S3_PKS5_S9_S3_SB_S6_S9_S3_SB_S9_PS1_PS5_21rocsparse_index_base_SE_SE_SE_bbb,"axG",@progbits,_ZN9rocsparseL26csrgemm_fill_block_per_rowILj1024ELj64ELj32768ELj137ELj32EiifEEvT5_PKS1_S3_NS_24const_host_device_scalarIT6_EEPKT4_S3_PKS5_S9_S3_SB_S6_S9_S3_SB_S9_PS1_PS5_21rocsparse_index_base_SE_SE_SE_bbb,comdat
	.globl	_ZN9rocsparseL26csrgemm_fill_block_per_rowILj1024ELj64ELj32768ELj137ELj32EiifEEvT5_PKS1_S3_NS_24const_host_device_scalarIT6_EEPKT4_S3_PKS5_S9_S3_SB_S6_S9_S3_SB_S9_PS1_PS5_21rocsparse_index_base_SE_SE_SE_bbb ; -- Begin function _ZN9rocsparseL26csrgemm_fill_block_per_rowILj1024ELj64ELj32768ELj137ELj32EiifEEvT5_PKS1_S3_NS_24const_host_device_scalarIT6_EEPKT4_S3_PKS5_S9_S3_SB_S6_S9_S3_SB_S9_PS1_PS5_21rocsparse_index_base_SE_SE_SE_bbb
	.p2align	8
	.type	_ZN9rocsparseL26csrgemm_fill_block_per_rowILj1024ELj64ELj32768ELj137ELj32EiifEEvT5_PKS1_S3_NS_24const_host_device_scalarIT6_EEPKT4_S3_PKS5_S9_S3_SB_S6_S9_S3_SB_S9_PS1_PS5_21rocsparse_index_base_SE_SE_SE_bbb,@function
_ZN9rocsparseL26csrgemm_fill_block_per_rowILj1024ELj64ELj32768ELj137ELj32EiifEEvT5_PKS1_S3_NS_24const_host_device_scalarIT6_EEPKT4_S3_PKS5_S9_S3_SB_S6_S9_S3_SB_S9_PS1_PS5_21rocsparse_index_base_SE_SE_SE_bbb: ; @_ZN9rocsparseL26csrgemm_fill_block_per_rowILj1024ELj64ELj32768ELj137ELj32EiifEEvT5_PKS1_S3_NS_24const_host_device_scalarIT6_EEPKT4_S3_PKS5_S9_S3_SB_S6_S9_S3_SB_S9_PS1_PS5_21rocsparse_index_base_SE_SE_SE_bbb
; %bb.0:
	s_load_dword s7, s[4:5], 0x98
	s_load_dwordx4 s[68:71], s[4:5], 0x88
	s_load_dwordx2 s[0:1], s[4:5], 0x18
	s_load_dwordx2 s[24:25], s[4:5], 0x50
	s_waitcnt lgkmcnt(0)
	s_bitcmp1_b32 s7, 0
	s_cselect_b64 s[2:3], -1, 0
	s_bitcmp1_b32 s7, 16
	s_cselect_b64 s[26:27], -1, 0
	s_xor_b64 s[8:9], s[2:3], -1
	s_or_b64 s[8:9], s[8:9], s[26:27]
	s_and_b64 vcc, exec, s[8:9]
	s_cbranch_vccnz .LBB20_2
; %bb.1:
	s_load_dword s0, s[0:1], 0x0
	s_waitcnt lgkmcnt(0)
	v_mov_b32_e32 v10, s0
	s_branch .LBB20_3
.LBB20_2:
	v_mov_b32_e32 v1, s0
	v_cndmask_b32_e64 v10, 0, v1, s[2:3]
.LBB20_3:
	s_load_dwordx4 s[8:11], s[4:5], 0x78
                                        ; implicit-def: $vgpr24 : SGPR spill to VGPR lane
	s_bitcmp1_b32 s7, 8
	s_cselect_b64 s[0:1], -1, 0
	s_xor_b64 s[28:29], s[0:1], -1
	s_or_b64 s[26:27], s[28:29], s[26:27]
	s_waitcnt lgkmcnt(0)
	v_writelane_b32 v24, s8, 0
	v_writelane_b32 v24, s9, 1
	;; [unrolled: 1-line block ×4, first 2 shown]
	s_load_dwordx8 s[8:15], s[4:5], 0x58
	s_and_b64 vcc, exec, s[26:27]
	s_waitcnt lgkmcnt(0)
	v_writelane_b32 v24, s8, 4
	v_writelane_b32 v24, s9, 5
	;; [unrolled: 1-line block ×8, first 2 shown]
	s_load_dwordx4 s[16:19], s[4:5], 0x40
	s_load_dwordx4 s[20:23], s[4:5], 0x8
	s_load_dwordx8 s[8:15], s[4:5], 0x20
	s_cbranch_vccnz .LBB20_5
; %bb.4:
	s_load_dword s7, s[24:25], 0x0
	s_waitcnt lgkmcnt(0)
	v_mov_b32_e32 v9, s7
	s_branch .LBB20_6
.LBB20_5:
	v_mov_b32_e32 v1, s24
	v_cndmask_b32_e64 v9, 0, v1, s[0:1]
.LBB20_6:
	s_load_dword s33, s[4:5], 0x0
	v_or_b32_e32 v1, 0xfffffc00, v0
	v_lshl_add_u32 v8, v0, 2, 0
	s_mov_b64 s[4:5], 0
	v_mov_b32_e32 v2, 0
	s_waitcnt lgkmcnt(0)
	v_mov_b32_e32 v3, s33
	s_movk_i32 s7, 0x7bff
	v_mov_b32_e32 v4, v8
	v_mov_b32_e32 v5, v1
.LBB20_7:                               ; =>This Inner Loop Header: Depth=1
	v_add_u32_e32 v5, 0x400, v5
	v_cmp_lt_u32_e32 vcc, s7, v5
	ds_write_b32 v4, v3
	v_add_u32_e32 v6, 0x20000, v4
	v_add_u32_e32 v4, 0x1000, v4
	s_or_b64 s[4:5], vcc, s[4:5]
	ds_write_b32 v6, v2
	s_andn2_b64 exec, exec, s[4:5]
	s_cbranch_execnz .LBB20_7
; %bb.8:
	s_or_b64 exec, exec, s[4:5]
	s_waitcnt lgkmcnt(0)
	s_barrier
	s_load_dword s4, s[20:21], 0x0
	s_mov_b32 s5, 0
	s_waitcnt lgkmcnt(0)
	s_add_i32 s4, s4, s6
	s_lshl_b64 s[4:5], s[4:5], 2
	s_add_u32 s4, s22, s4
	s_addc_u32 s5, s23, s5
	s_load_dword s4, s[4:5], 0x0
	s_and_b64 vcc, exec, s[2:3]
	s_waitcnt lgkmcnt(0)
	v_writelane_b32 v24, s4, 12
	v_writelane_b32 v24, s5, 13
	s_cbranch_vccz .LBB20_28
; %bb.9:
	v_readlane_b32 s2, v24, 12
	v_readlane_b32 s3, v24, 13
	s_mov_b32 s4, s2
	s_ashr_i32 s5, s2, 31
	v_writelane_b32 v24, s2, 12
	v_writelane_b32 v24, s3, 13
	s_lshl_b64 s[2:3], s[4:5], 2
	s_add_u32 s2, s8, s2
	s_addc_u32 s3, s9, s3
	s_load_dwordx2 s[2:3], s[2:3], 0x0
	v_lshrrev_b32_e32 v2, 6, v0
	v_subrev_u32_e32 v2, s68, v2
	s_waitcnt lgkmcnt(0)
	s_sub_i32 s34, s3, s68
	v_add_u32_e32 v2, s2, v2
	v_cmp_gt_i32_e32 vcc, s34, v2
	s_and_saveexec_b64 s[2:3], vcc
	s_cbranch_execz .LBB20_27
; %bb.10:
	v_and_b32_e32 v3, 63, v0
	v_subrev_u32_e32 v11, s69, v3
	s_mov_b64 s[4:5], 0
	v_mov_b32_e32 v12, s11
	v_mov_b32_e32 v13, s15
	s_movk_i32 s11, 0x89
	s_branch .LBB20_12
.LBB20_11:                              ;   in Loop: Header=BB20_12 Depth=1
	s_or_b64 exec, exec, s[6:7]
	v_add_u32_e32 v2, 16, v2
	v_cmp_le_i32_e32 vcc, s34, v2
	s_or_b64 s[4:5], vcc, s[4:5]
	s_andn2_b64 exec, exec, s[4:5]
	s_cbranch_execz .LBB20_27
.LBB20_12:                              ; =>This Loop Header: Depth=1
                                        ;     Child Loop BB20_15 Depth 2
                                        ;       Child Loop BB20_17 Depth 3
	v_ashrrev_i32_e32 v3, 31, v2
	v_lshlrev_b64 v[6:7], 2, v[2:3]
	v_add_co_u32_e32 v4, vcc, s10, v6
	v_addc_co_u32_e32 v5, vcc, v12, v7, vcc
	global_load_dword v3, v[4:5], off
	s_waitcnt vmcnt(0)
	v_subrev_u32_e32 v4, s68, v3
	v_ashrrev_i32_e32 v5, 31, v4
	v_lshlrev_b64 v[4:5], 2, v[4:5]
	v_add_co_u32_e32 v4, vcc, s14, v4
	v_addc_co_u32_e32 v5, vcc, v13, v5, vcc
	global_load_dwordx2 v[4:5], v[4:5], off
	s_waitcnt vmcnt(0)
	v_subrev_u32_e32 v3, s69, v5
	v_add_u32_e32 v4, v4, v11
	v_cmp_lt_i32_e32 vcc, v4, v3
	s_and_saveexec_b64 s[6:7], vcc
	s_cbranch_execz .LBB20_11
; %bb.13:                               ;   in Loop: Header=BB20_12 Depth=1
	v_mov_b32_e32 v5, s13
	v_add_co_u32_e32 v6, vcc, s12, v6
	v_addc_co_u32_e32 v7, vcc, v5, v7, vcc
	global_load_dword v5, v[6:7], off
	s_mov_b64 s[8:9], 0
	s_waitcnt vmcnt(0)
	v_mul_f32_e32 v6, v10, v5
	s_branch .LBB20_15
.LBB20_14:                              ;   in Loop: Header=BB20_15 Depth=2
	s_or_b64 exec, exec, s[20:21]
	v_add_u32_e32 v4, 64, v4
	v_cmp_ge_i32_e32 vcc, v4, v3
	s_or_b64 s[8:9], vcc, s[8:9]
	s_andn2_b64 exec, exec, s[8:9]
	s_cbranch_execz .LBB20_11
.LBB20_15:                              ;   Parent Loop BB20_12 Depth=1
                                        ; =>  This Loop Header: Depth=2
                                        ;       Child Loop BB20_17 Depth 3
	v_ashrrev_i32_e32 v5, 31, v4
	v_lshlrev_b64 v[14:15], 2, v[4:5]
	v_mov_b32_e32 v5, s17
	v_add_co_u32_e32 v16, vcc, s16, v14
	v_addc_co_u32_e32 v17, vcc, v5, v15, vcc
	global_load_dword v5, v[16:17], off
	v_mov_b32_e32 v7, s19
	v_add_co_u32_e32 v14, vcc, s18, v14
	v_addc_co_u32_e32 v15, vcc, v7, v15, vcc
	global_load_dword v7, v[14:15], off
	s_mov_b64 s[20:21], 0
	s_waitcnt vmcnt(1)
	v_subrev_u32_e32 v5, s69, v5
	v_mul_lo_u32 v14, v5, s11
	v_and_b32_e32 v14, 0x7fff, v14
	s_waitcnt vmcnt(0)
	v_mul_f32_e32 v7, v6, v7
	s_branch .LBB20_17
.LBB20_16:                              ;   in Loop: Header=BB20_17 Depth=3
	s_or_b64 exec, exec, s[22:23]
	s_xor_b64 s[22:23], s[24:25], -1
	s_and_b64 s[22:23], exec, s[22:23]
	s_or_b64 s[20:21], s[22:23], s[20:21]
	s_andn2_b64 exec, exec, s[20:21]
	s_cbranch_execz .LBB20_14
.LBB20_17:                              ;   Parent Loop BB20_12 Depth=1
                                        ;     Parent Loop BB20_15 Depth=2
                                        ; =>    This Inner Loop Header: Depth=3
	v_lshl_add_u32 v15, v14, 2, 0
	ds_read_b32 v16, v15
                                        ; implicit-def: $sgpr24_sgpr25
	s_waitcnt lgkmcnt(0)
	v_cmp_ne_u32_e32 vcc, v16, v5
	s_and_saveexec_b64 s[22:23], vcc
	s_xor_b64 s[22:23], exec, s[22:23]
	s_cbranch_execz .LBB20_25
; %bb.18:                               ;   in Loop: Header=BB20_17 Depth=3
	v_cmp_ne_u32_e32 vcc, s33, v16
                                        ; implicit-def: $sgpr24_sgpr25
	s_and_saveexec_b64 s[26:27], vcc
	s_xor_b64 s[26:27], exec, s[26:27]
; %bb.19:                               ;   in Loop: Header=BB20_17 Depth=3
	v_add_u32_e32 v14, 1, v14
	v_and_b32_e32 v14, 0x7fff, v14
	s_mov_b64 s[24:25], -1
                                        ; implicit-def: $vgpr15
; %bb.20:                               ;   in Loop: Header=BB20_17 Depth=3
	s_andn2_saveexec_b64 s[26:27], s[26:27]
	s_cbranch_execz .LBB20_24
; %bb.21:                               ;   in Loop: Header=BB20_17 Depth=3
	v_mov_b32_e32 v16, s33
	ds_cmpst_rtn_b32 v16, v15, v16, v5
	s_mov_b64 s[28:29], -1
	s_waitcnt lgkmcnt(0)
	v_cmp_eq_u32_e32 vcc, s33, v16
	s_and_saveexec_b64 s[30:31], vcc
	s_cbranch_execz .LBB20_23
; %bb.22:                               ;   in Loop: Header=BB20_17 Depth=3
	v_add_u32_e32 v15, 0x20000, v15
	ds_add_f32 v15, v7
	s_xor_b64 s[28:29], exec, -1
.LBB20_23:                              ;   in Loop: Header=BB20_17 Depth=3
	s_or_b64 exec, exec, s[30:31]
	s_andn2_b64 s[24:25], s[24:25], exec
	s_and_b64 s[28:29], s[28:29], exec
	s_or_b64 s[24:25], s[24:25], s[28:29]
.LBB20_24:                              ;   in Loop: Header=BB20_17 Depth=3
	s_or_b64 exec, exec, s[26:27]
	s_and_b64 s[24:25], s[24:25], exec
                                        ; implicit-def: $vgpr15
.LBB20_25:                              ;   in Loop: Header=BB20_17 Depth=3
	s_andn2_saveexec_b64 s[22:23], s[22:23]
	s_cbranch_execz .LBB20_16
; %bb.26:                               ;   in Loop: Header=BB20_17 Depth=3
	v_add_u32_e32 v15, 0x20000, v15
	ds_add_f32 v15, v7
	s_andn2_b64 s[24:25], s[24:25], exec
	s_branch .LBB20_16
.LBB20_27:
	s_or_b64 exec, exec, s[2:3]
.LBB20_28:
	s_andn2_b64 vcc, exec, s[0:1]
	s_cbranch_vccnz .LBB20_45
; %bb.29:
	v_readlane_b32 s0, v24, 12
	v_readlane_b32 s1, v24, 13
	s_mov_b32 s2, s0
	s_ashr_i32 s3, s0, 31
	v_writelane_b32 v24, s0, 12
	v_writelane_b32 v24, s1, 13
	s_lshl_b64 s[0:1], s[2:3], 2
	v_readlane_b32 s4, v24, 4
	v_readlane_b32 s5, v24, 5
	s_add_u32 s0, s4, s0
	s_addc_u32 s1, s5, s1
	s_load_dwordx2 s[0:1], s[0:1], 0x0
	v_subrev_u32_e32 v2, s71, v0
	v_readlane_b32 s6, v24, 6
	v_readlane_b32 s7, v24, 7
	;; [unrolled: 1-line block ×3, first 2 shown]
	s_waitcnt lgkmcnt(0)
	s_sub_i32 s16, s1, s71
	v_add_u32_e32 v2, s0, v2
	v_cmp_gt_i32_e32 vcc, s16, v2
	v_readlane_b32 s9, v24, 9
	v_readlane_b32 s10, v24, 10
	;; [unrolled: 1-line block ×3, first 2 shown]
	s_and_saveexec_b64 s[0:1], vcc
	s_cbranch_execz .LBB20_44
; %bb.30:
	v_readlane_b32 s4, v24, 4
	v_readlane_b32 s7, v24, 7
	;; [unrolled: 1-line block ×3, first 2 shown]
	s_mov_b64 s[2:3], 0
	v_mov_b32_e32 v4, s7
	v_mov_b32_e32 v5, s9
	s_movk_i32 s17, 0x89
	v_readlane_b32 s5, v24, 5
	v_readlane_b32 s6, v24, 6
	;; [unrolled: 1-line block ×5, first 2 shown]
	s_branch .LBB20_32
.LBB20_31:                              ;   in Loop: Header=BB20_32 Depth=1
	s_or_b64 exec, exec, s[4:5]
	v_add_u32_e32 v2, 0x400, v2
	v_cmp_le_i32_e32 vcc, s16, v2
	s_or_b64 s[2:3], vcc, s[2:3]
	s_andn2_b64 exec, exec, s[2:3]
	s_cbranch_execz .LBB20_44
.LBB20_32:                              ; =>This Loop Header: Depth=1
                                        ;     Child Loop BB20_34 Depth 2
	v_ashrrev_i32_e32 v3, 31, v2
	v_readlane_b32 s4, v24, 4
	v_lshlrev_b64 v[6:7], 2, v[2:3]
	v_readlane_b32 s6, v24, 6
	v_add_co_u32_e32 v10, vcc, s6, v6
	v_readlane_b32 s8, v24, 8
	v_addc_co_u32_e32 v11, vcc, v4, v7, vcc
	global_load_dword v3, v[10:11], off
	v_add_co_u32_e32 v6, vcc, s8, v6
	v_addc_co_u32_e32 v7, vcc, v5, v7, vcc
	global_load_dword v6, v[6:7], off
	v_readlane_b32 s5, v24, 5
	s_mov_b64 s[4:5], 0
	v_readlane_b32 s7, v24, 7
	v_readlane_b32 s9, v24, 9
	;; [unrolled: 1-line block ×4, first 2 shown]
	s_waitcnt vmcnt(1)
	v_subrev_u32_e32 v3, s71, v3
	v_mul_lo_u32 v7, v3, s17
	v_and_b32_e32 v7, 0x7fff, v7
	s_waitcnt vmcnt(0)
	v_mul_f32_e32 v6, v9, v6
	s_branch .LBB20_34
.LBB20_33:                              ;   in Loop: Header=BB20_34 Depth=2
	s_or_b64 exec, exec, s[6:7]
	s_xor_b64 s[6:7], s[8:9], -1
	s_and_b64 s[6:7], exec, s[6:7]
	s_or_b64 s[4:5], s[6:7], s[4:5]
	s_andn2_b64 exec, exec, s[4:5]
	s_cbranch_execz .LBB20_31
.LBB20_34:                              ;   Parent Loop BB20_32 Depth=1
                                        ; =>  This Inner Loop Header: Depth=2
	v_lshl_add_u32 v10, v7, 2, 0
	ds_read_b32 v11, v10
                                        ; implicit-def: $sgpr8_sgpr9
	s_waitcnt lgkmcnt(0)
	v_cmp_ne_u32_e32 vcc, v11, v3
	s_and_saveexec_b64 s[6:7], vcc
	s_xor_b64 s[6:7], exec, s[6:7]
	s_cbranch_execz .LBB20_42
; %bb.35:                               ;   in Loop: Header=BB20_34 Depth=2
	v_cmp_ne_u32_e32 vcc, s33, v11
                                        ; implicit-def: $sgpr8_sgpr9
	s_and_saveexec_b64 s[10:11], vcc
	s_xor_b64 s[10:11], exec, s[10:11]
; %bb.36:                               ;   in Loop: Header=BB20_34 Depth=2
	v_add_u32_e32 v7, 1, v7
	v_and_b32_e32 v7, 0x7fff, v7
	s_mov_b64 s[8:9], -1
                                        ; implicit-def: $vgpr10
; %bb.37:                               ;   in Loop: Header=BB20_34 Depth=2
	s_andn2_saveexec_b64 s[10:11], s[10:11]
	s_cbranch_execz .LBB20_41
; %bb.38:                               ;   in Loop: Header=BB20_34 Depth=2
	v_mov_b32_e32 v11, s33
	ds_cmpst_rtn_b32 v11, v10, v11, v3
	s_mov_b64 s[12:13], -1
	s_waitcnt lgkmcnt(0)
	v_cmp_eq_u32_e32 vcc, s33, v11
	s_and_saveexec_b64 s[14:15], vcc
	s_cbranch_execz .LBB20_40
; %bb.39:                               ;   in Loop: Header=BB20_34 Depth=2
	v_add_u32_e32 v10, 0x20000, v10
	ds_add_f32 v10, v6
	s_xor_b64 s[12:13], exec, -1
.LBB20_40:                              ;   in Loop: Header=BB20_34 Depth=2
	s_or_b64 exec, exec, s[14:15]
	s_andn2_b64 s[8:9], s[8:9], exec
	s_and_b64 s[12:13], s[12:13], exec
	s_or_b64 s[8:9], s[8:9], s[12:13]
.LBB20_41:                              ;   in Loop: Header=BB20_34 Depth=2
	s_or_b64 exec, exec, s[10:11]
	s_and_b64 s[8:9], s[8:9], exec
                                        ; implicit-def: $vgpr10
.LBB20_42:                              ;   in Loop: Header=BB20_34 Depth=2
	s_andn2_saveexec_b64 s[6:7], s[6:7]
	s_cbranch_execz .LBB20_33
; %bb.43:                               ;   in Loop: Header=BB20_34 Depth=2
	v_add_u32_e32 v10, 0x20000, v10
	ds_add_f32 v10, v6
	s_andn2_b64 s[8:9], s[8:9], exec
	s_branch .LBB20_33
.LBB20_44:
	s_or_b64 exec, exec, s[0:1]
.LBB20_45:
	s_add_i32 s0, 0, 0x40000
	v_writelane_b32 v24, s0, 14
	s_add_i32 s60, 0, 0x40004
	v_writelane_b32 v24, s60, 15
	;; [unrolled: 2-line block ×5, first 2 shown]
	s_add_i32 s60, 0, 0x40014
	v_lshrrev_b32_e32 v5, 3, v0
	v_writelane_b32 v24, s60, 19
	s_add_i32 s60, 0, 0x40018
	v_mbcnt_lo_u32_b32 v2, -1, 0
	v_and_b32_e32 v5, 0x7c, v5
	v_writelane_b32 v24, s60, 20
	s_add_i32 s60, 0, 0x4001c
	v_mbcnt_hi_u32_b32 v2, -1, v2
	v_add_u32_e32 v5, s0, v5
	s_movk_i32 s0, 0x3ff
	v_writelane_b32 v24, s60, 21
	s_add_i32 s60, 0, 0x40020
	v_sub_u32_e32 v2, 63, v2
	v_cmp_eq_u32_e32 vcc, s0, v0
	s_movk_i32 s0, 0x5f
	s_movk_i32 s2, 0x7f
	;; [unrolled: 1-line block ×29, first 2 shown]
	v_writelane_b32 v24, s60, 22
	s_add_i32 s60, 0, 0x40024
	v_mov_b32_e32 v4, 0
	v_lshrrev_b64 v[2:3], v2, -1
	v_cmp_lt_u32_e64 s[0:1], s0, v0
	v_cmp_lt_u32_e64 s[2:3], s2, v0
	;; [unrolled: 1-line block ×29, first 2 shown]
	v_writelane_b32 v24, s60, 23
	s_add_i32 s88, 0, 0x40028
	s_add_i32 s89, 0, 0x4002c
	;; [unrolled: 1-line block ×22, first 2 shown]
	s_movk_i32 s85, 0x7bff
	v_cmp_lt_u32_e64 s[60:61], 31, v0
	v_cmp_lt_u32_e64 s[62:63], 63, v0
	s_mov_b64 s[68:69], 0
	s_waitcnt lgkmcnt(0)
	s_barrier
	s_branch .LBB20_47
.LBB20_46:                              ;   in Loop: Header=BB20_47 Depth=1
	s_or_b64 exec, exec, s[64:65]
	v_mov_b32_e32 v6, s84
	s_waitcnt lgkmcnt(0)
	s_barrier
	ds_read_b32 v6, v6
	v_add_u32_e32 v1, 0x400, v1
	v_cmp_lt_u32_e64 s[64:65], s85, v1
	s_or_b64 s[68:69], s[64:65], s[68:69]
	v_add_u32_e32 v8, 0x1000, v8
	s_waitcnt lgkmcnt(0)
	v_add_u32_e32 v4, v6, v4
	s_andn2_b64 exec, exec, s[68:69]
	s_cbranch_execz .LBB20_113
.LBB20_47:                              ; =>This Inner Loop Header: Depth=1
	ds_read_b32 v7, v8
	v_add_u32_e32 v6, 0x20000, v8
	ds_read_b32 v9, v6
	s_waitcnt lgkmcnt(0)
	s_barrier
	v_cmp_gt_i32_e64 s[64:65], s33, v7
	v_and_b32_e32 v10, s64, v2
	s_bcnt1_i32_b64 s78, s[64:65]
	v_and_b32_e32 v6, s65, v3
	v_bcnt_u32_b32 v10, v10, 0
	v_bcnt_u32_b32 v6, v6, v10
	v_mov_b32_e32 v10, s78
	ds_write_b32 v5, v10
	s_waitcnt lgkmcnt(0)
	s_barrier
	s_and_saveexec_b64 s[78:79], s[60:61]
	s_cbranch_execnz .LBB20_80
; %bb.48:                               ;   in Loop: Header=BB20_47 Depth=1
	s_or_b64 exec, exec, s[78:79]
	s_and_saveexec_b64 s[78:79], s[62:63]
	s_cbranch_execnz .LBB20_81
.LBB20_49:                              ;   in Loop: Header=BB20_47 Depth=1
	s_or_b64 exec, exec, s[78:79]
	s_and_saveexec_b64 s[78:79], s[0:1]
	s_cbranch_execnz .LBB20_82
.LBB20_50:                              ;   in Loop: Header=BB20_47 Depth=1
	s_or_b64 exec, exec, s[78:79]
	s_and_saveexec_b64 s[78:79], s[2:3]
	s_cbranch_execnz .LBB20_83
.LBB20_51:                              ;   in Loop: Header=BB20_47 Depth=1
	s_or_b64 exec, exec, s[78:79]
	s_and_saveexec_b64 s[78:79], s[4:5]
	s_cbranch_execnz .LBB20_84
.LBB20_52:                              ;   in Loop: Header=BB20_47 Depth=1
	s_or_b64 exec, exec, s[78:79]
	s_and_saveexec_b64 s[78:79], s[6:7]
	s_cbranch_execnz .LBB20_85
.LBB20_53:                              ;   in Loop: Header=BB20_47 Depth=1
	s_or_b64 exec, exec, s[78:79]
	s_and_saveexec_b64 s[78:79], s[8:9]
	s_cbranch_execnz .LBB20_86
.LBB20_54:                              ;   in Loop: Header=BB20_47 Depth=1
	s_or_b64 exec, exec, s[78:79]
	s_and_saveexec_b64 s[78:79], s[10:11]
	s_cbranch_execnz .LBB20_87
.LBB20_55:                              ;   in Loop: Header=BB20_47 Depth=1
	s_or_b64 exec, exec, s[78:79]
	s_and_saveexec_b64 s[78:79], s[12:13]
	s_cbranch_execnz .LBB20_88
.LBB20_56:                              ;   in Loop: Header=BB20_47 Depth=1
	s_or_b64 exec, exec, s[78:79]
	s_and_saveexec_b64 s[78:79], s[14:15]
	s_cbranch_execnz .LBB20_89
.LBB20_57:                              ;   in Loop: Header=BB20_47 Depth=1
	s_or_b64 exec, exec, s[78:79]
	s_and_saveexec_b64 s[78:79], s[16:17]
	s_cbranch_execnz .LBB20_90
.LBB20_58:                              ;   in Loop: Header=BB20_47 Depth=1
	s_or_b64 exec, exec, s[78:79]
	s_and_saveexec_b64 s[78:79], s[18:19]
	s_cbranch_execnz .LBB20_91
.LBB20_59:                              ;   in Loop: Header=BB20_47 Depth=1
	s_or_b64 exec, exec, s[78:79]
	s_and_saveexec_b64 s[78:79], s[20:21]
	s_cbranch_execnz .LBB20_92
.LBB20_60:                              ;   in Loop: Header=BB20_47 Depth=1
	s_or_b64 exec, exec, s[78:79]
	s_and_saveexec_b64 s[78:79], s[22:23]
	s_cbranch_execnz .LBB20_93
.LBB20_61:                              ;   in Loop: Header=BB20_47 Depth=1
	s_or_b64 exec, exec, s[78:79]
	s_and_saveexec_b64 s[78:79], s[24:25]
	s_cbranch_execnz .LBB20_94
.LBB20_62:                              ;   in Loop: Header=BB20_47 Depth=1
	s_or_b64 exec, exec, s[78:79]
	s_and_saveexec_b64 s[78:79], s[26:27]
	s_cbranch_execnz .LBB20_95
.LBB20_63:                              ;   in Loop: Header=BB20_47 Depth=1
	s_or_b64 exec, exec, s[78:79]
	s_and_saveexec_b64 s[78:79], s[28:29]
	s_cbranch_execnz .LBB20_96
.LBB20_64:                              ;   in Loop: Header=BB20_47 Depth=1
	s_or_b64 exec, exec, s[78:79]
	s_and_saveexec_b64 s[78:79], s[30:31]
	s_cbranch_execnz .LBB20_97
.LBB20_65:                              ;   in Loop: Header=BB20_47 Depth=1
	s_or_b64 exec, exec, s[78:79]
	s_and_saveexec_b64 s[78:79], s[34:35]
	s_cbranch_execnz .LBB20_98
.LBB20_66:                              ;   in Loop: Header=BB20_47 Depth=1
	s_or_b64 exec, exec, s[78:79]
	s_and_saveexec_b64 s[78:79], s[36:37]
	s_cbranch_execnz .LBB20_99
.LBB20_67:                              ;   in Loop: Header=BB20_47 Depth=1
	s_or_b64 exec, exec, s[78:79]
	s_and_saveexec_b64 s[78:79], s[38:39]
	s_cbranch_execnz .LBB20_100
.LBB20_68:                              ;   in Loop: Header=BB20_47 Depth=1
	s_or_b64 exec, exec, s[78:79]
	s_and_saveexec_b64 s[78:79], s[40:41]
	s_cbranch_execnz .LBB20_101
.LBB20_69:                              ;   in Loop: Header=BB20_47 Depth=1
	s_or_b64 exec, exec, s[78:79]
	s_and_saveexec_b64 s[78:79], s[42:43]
	s_cbranch_execnz .LBB20_102
.LBB20_70:                              ;   in Loop: Header=BB20_47 Depth=1
	s_or_b64 exec, exec, s[78:79]
	s_and_saveexec_b64 s[78:79], s[44:45]
	s_cbranch_execnz .LBB20_103
.LBB20_71:                              ;   in Loop: Header=BB20_47 Depth=1
	s_or_b64 exec, exec, s[78:79]
	s_and_saveexec_b64 s[78:79], s[46:47]
	s_cbranch_execnz .LBB20_104
.LBB20_72:                              ;   in Loop: Header=BB20_47 Depth=1
	s_or_b64 exec, exec, s[78:79]
	s_and_saveexec_b64 s[78:79], s[48:49]
	s_cbranch_execnz .LBB20_105
.LBB20_73:                              ;   in Loop: Header=BB20_47 Depth=1
	s_or_b64 exec, exec, s[78:79]
	s_and_saveexec_b64 s[78:79], s[50:51]
	s_cbranch_execnz .LBB20_106
.LBB20_74:                              ;   in Loop: Header=BB20_47 Depth=1
	s_or_b64 exec, exec, s[78:79]
	s_and_saveexec_b64 s[78:79], s[52:53]
	s_cbranch_execnz .LBB20_107
.LBB20_75:                              ;   in Loop: Header=BB20_47 Depth=1
	s_or_b64 exec, exec, s[78:79]
	s_and_saveexec_b64 s[78:79], s[54:55]
	s_cbranch_execnz .LBB20_108
.LBB20_76:                              ;   in Loop: Header=BB20_47 Depth=1
	s_or_b64 exec, exec, s[78:79]
	s_and_saveexec_b64 s[78:79], s[56:57]
	s_cbranch_execnz .LBB20_109
.LBB20_77:                              ;   in Loop: Header=BB20_47 Depth=1
	s_or_b64 exec, exec, s[78:79]
	s_and_saveexec_b64 s[78:79], s[58:59]
	s_cbranch_execnz .LBB20_110
.LBB20_78:                              ;   in Loop: Header=BB20_47 Depth=1
	s_or_b64 exec, exec, s[78:79]
	s_and_saveexec_b64 s[78:79], s[64:65]
	s_cbranch_execnz .LBB20_111
.LBB20_79:                              ;   in Loop: Header=BB20_47 Depth=1
	s_or_b64 exec, exec, s[78:79]
	s_and_saveexec_b64 s[64:65], vcc
	s_cbranch_execz .LBB20_46
	s_branch .LBB20_112
.LBB20_80:                              ;   in Loop: Header=BB20_47 Depth=1
	v_readlane_b32 s86, v24, 14
	v_mov_b32_e32 v10, s86
	ds_read_b32 v10, v10
	s_waitcnt lgkmcnt(0)
	v_add_u32_e32 v6, v10, v6
	s_or_b64 exec, exec, s[78:79]
	s_and_saveexec_b64 s[78:79], s[62:63]
	s_cbranch_execz .LBB20_49
.LBB20_81:                              ;   in Loop: Header=BB20_47 Depth=1
	v_readlane_b32 s86, v24, 15
	v_mov_b32_e32 v10, s86
	ds_read_b32 v10, v10
	s_waitcnt lgkmcnt(0)
	v_add_u32_e32 v6, v10, v6
	s_or_b64 exec, exec, s[78:79]
	s_and_saveexec_b64 s[78:79], s[0:1]
	s_cbranch_execz .LBB20_50
.LBB20_82:                              ;   in Loop: Header=BB20_47 Depth=1
	v_readlane_b32 s86, v24, 16
	v_mov_b32_e32 v10, s86
	ds_read_b32 v10, v10
	s_waitcnt lgkmcnt(0)
	v_add_u32_e32 v6, v10, v6
	s_or_b64 exec, exec, s[78:79]
	s_and_saveexec_b64 s[78:79], s[2:3]
	s_cbranch_execz .LBB20_51
.LBB20_83:                              ;   in Loop: Header=BB20_47 Depth=1
	v_readlane_b32 s86, v24, 17
	v_mov_b32_e32 v10, s86
	ds_read_b32 v10, v10
	s_waitcnt lgkmcnt(0)
	v_add_u32_e32 v6, v10, v6
	s_or_b64 exec, exec, s[78:79]
	s_and_saveexec_b64 s[78:79], s[4:5]
	s_cbranch_execz .LBB20_52
.LBB20_84:                              ;   in Loop: Header=BB20_47 Depth=1
	v_readlane_b32 s86, v24, 18
	v_mov_b32_e32 v10, s86
	ds_read_b32 v10, v10
	s_waitcnt lgkmcnt(0)
	v_add_u32_e32 v6, v10, v6
	s_or_b64 exec, exec, s[78:79]
	s_and_saveexec_b64 s[78:79], s[6:7]
	s_cbranch_execz .LBB20_53
.LBB20_85:                              ;   in Loop: Header=BB20_47 Depth=1
	v_readlane_b32 s86, v24, 19
	v_mov_b32_e32 v10, s86
	ds_read_b32 v10, v10
	s_waitcnt lgkmcnt(0)
	v_add_u32_e32 v6, v10, v6
	s_or_b64 exec, exec, s[78:79]
	s_and_saveexec_b64 s[78:79], s[8:9]
	s_cbranch_execz .LBB20_54
.LBB20_86:                              ;   in Loop: Header=BB20_47 Depth=1
	v_readlane_b32 s86, v24, 20
	v_mov_b32_e32 v10, s86
	ds_read_b32 v10, v10
	s_waitcnt lgkmcnt(0)
	v_add_u32_e32 v6, v10, v6
	s_or_b64 exec, exec, s[78:79]
	s_and_saveexec_b64 s[78:79], s[10:11]
	s_cbranch_execz .LBB20_55
.LBB20_87:                              ;   in Loop: Header=BB20_47 Depth=1
	v_readlane_b32 s86, v24, 21
	v_mov_b32_e32 v10, s86
	ds_read_b32 v10, v10
	s_waitcnt lgkmcnt(0)
	v_add_u32_e32 v6, v10, v6
	s_or_b64 exec, exec, s[78:79]
	s_and_saveexec_b64 s[78:79], s[12:13]
	s_cbranch_execz .LBB20_56
.LBB20_88:                              ;   in Loop: Header=BB20_47 Depth=1
	v_readlane_b32 s86, v24, 22
	v_mov_b32_e32 v10, s86
	ds_read_b32 v10, v10
	s_waitcnt lgkmcnt(0)
	v_add_u32_e32 v6, v10, v6
	s_or_b64 exec, exec, s[78:79]
	s_and_saveexec_b64 s[78:79], s[14:15]
	s_cbranch_execz .LBB20_57
.LBB20_89:                              ;   in Loop: Header=BB20_47 Depth=1
	v_readlane_b32 s86, v24, 23
	v_mov_b32_e32 v10, s86
	ds_read_b32 v10, v10
	s_waitcnt lgkmcnt(0)
	v_add_u32_e32 v6, v10, v6
	s_or_b64 exec, exec, s[78:79]
	s_and_saveexec_b64 s[78:79], s[16:17]
	s_cbranch_execz .LBB20_58
.LBB20_90:                              ;   in Loop: Header=BB20_47 Depth=1
	v_mov_b32_e32 v10, s88
	ds_read_b32 v10, v10
	s_waitcnt lgkmcnt(0)
	v_add_u32_e32 v6, v10, v6
	s_or_b64 exec, exec, s[78:79]
	s_and_saveexec_b64 s[78:79], s[18:19]
	s_cbranch_execz .LBB20_59
.LBB20_91:                              ;   in Loop: Header=BB20_47 Depth=1
	v_mov_b32_e32 v10, s89
	ds_read_b32 v10, v10
	s_waitcnt lgkmcnt(0)
	v_add_u32_e32 v6, v10, v6
	s_or_b64 exec, exec, s[78:79]
	s_and_saveexec_b64 s[78:79], s[20:21]
	s_cbranch_execz .LBB20_60
.LBB20_92:                              ;   in Loop: Header=BB20_47 Depth=1
	v_mov_b32_e32 v10, s90
	ds_read_b32 v10, v10
	s_waitcnt lgkmcnt(0)
	v_add_u32_e32 v6, v10, v6
	s_or_b64 exec, exec, s[78:79]
	s_and_saveexec_b64 s[78:79], s[22:23]
	s_cbranch_execz .LBB20_61
.LBB20_93:                              ;   in Loop: Header=BB20_47 Depth=1
	v_mov_b32_e32 v10, s91
	ds_read_b32 v10, v10
	s_waitcnt lgkmcnt(0)
	v_add_u32_e32 v6, v10, v6
	s_or_b64 exec, exec, s[78:79]
	s_and_saveexec_b64 s[78:79], s[24:25]
	s_cbranch_execz .LBB20_62
.LBB20_94:                              ;   in Loop: Header=BB20_47 Depth=1
	v_mov_b32_e32 v10, s92
	ds_read_b32 v10, v10
	s_waitcnt lgkmcnt(0)
	v_add_u32_e32 v6, v10, v6
	s_or_b64 exec, exec, s[78:79]
	s_and_saveexec_b64 s[78:79], s[26:27]
	s_cbranch_execz .LBB20_63
.LBB20_95:                              ;   in Loop: Header=BB20_47 Depth=1
	v_mov_b32_e32 v10, s93
	ds_read_b32 v10, v10
	s_waitcnt lgkmcnt(0)
	v_add_u32_e32 v6, v10, v6
	s_or_b64 exec, exec, s[78:79]
	s_and_saveexec_b64 s[78:79], s[28:29]
	s_cbranch_execz .LBB20_64
.LBB20_96:                              ;   in Loop: Header=BB20_47 Depth=1
	v_mov_b32_e32 v10, s94
	ds_read_b32 v10, v10
	s_waitcnt lgkmcnt(0)
	v_add_u32_e32 v6, v10, v6
	s_or_b64 exec, exec, s[78:79]
	s_and_saveexec_b64 s[78:79], s[30:31]
	s_cbranch_execz .LBB20_65
.LBB20_97:                              ;   in Loop: Header=BB20_47 Depth=1
	v_mov_b32_e32 v10, s95
	ds_read_b32 v10, v10
	s_waitcnt lgkmcnt(0)
	v_add_u32_e32 v6, v10, v6
	s_or_b64 exec, exec, s[78:79]
	s_and_saveexec_b64 s[78:79], s[34:35]
	s_cbranch_execz .LBB20_66
.LBB20_98:                              ;   in Loop: Header=BB20_47 Depth=1
	v_mov_b32_e32 v10, s76
	ds_read_b32 v10, v10
	s_waitcnt lgkmcnt(0)
	v_add_u32_e32 v6, v10, v6
	s_or_b64 exec, exec, s[78:79]
	s_and_saveexec_b64 s[78:79], s[36:37]
	s_cbranch_execz .LBB20_67
.LBB20_99:                              ;   in Loop: Header=BB20_47 Depth=1
	v_mov_b32_e32 v10, s66
	ds_read_b32 v10, v10
	s_waitcnt lgkmcnt(0)
	v_add_u32_e32 v6, v10, v6
	s_or_b64 exec, exec, s[78:79]
	s_and_saveexec_b64 s[78:79], s[38:39]
	s_cbranch_execz .LBB20_68
.LBB20_100:                             ;   in Loop: Header=BB20_47 Depth=1
	v_mov_b32_e32 v10, s67
	ds_read_b32 v10, v10
	s_waitcnt lgkmcnt(0)
	v_add_u32_e32 v6, v10, v6
	s_or_b64 exec, exec, s[78:79]
	s_and_saveexec_b64 s[78:79], s[40:41]
	s_cbranch_execz .LBB20_69
.LBB20_101:                             ;   in Loop: Header=BB20_47 Depth=1
	v_mov_b32_e32 v10, s72
	ds_read_b32 v10, v10
	s_waitcnt lgkmcnt(0)
	v_add_u32_e32 v6, v10, v6
	s_or_b64 exec, exec, s[78:79]
	s_and_saveexec_b64 s[78:79], s[42:43]
	s_cbranch_execz .LBB20_70
.LBB20_102:                             ;   in Loop: Header=BB20_47 Depth=1
	v_mov_b32_e32 v10, s73
	ds_read_b32 v10, v10
	s_waitcnt lgkmcnt(0)
	v_add_u32_e32 v6, v10, v6
	s_or_b64 exec, exec, s[78:79]
	s_and_saveexec_b64 s[78:79], s[44:45]
	s_cbranch_execz .LBB20_71
.LBB20_103:                             ;   in Loop: Header=BB20_47 Depth=1
	v_mov_b32_e32 v10, s74
	ds_read_b32 v10, v10
	s_waitcnt lgkmcnt(0)
	v_add_u32_e32 v6, v10, v6
	s_or_b64 exec, exec, s[78:79]
	s_and_saveexec_b64 s[78:79], s[46:47]
	s_cbranch_execz .LBB20_72
.LBB20_104:                             ;   in Loop: Header=BB20_47 Depth=1
	v_mov_b32_e32 v10, s75
	ds_read_b32 v10, v10
	s_waitcnt lgkmcnt(0)
	v_add_u32_e32 v6, v10, v6
	s_or_b64 exec, exec, s[78:79]
	s_and_saveexec_b64 s[78:79], s[48:49]
	s_cbranch_execz .LBB20_73
.LBB20_105:                             ;   in Loop: Header=BB20_47 Depth=1
	v_mov_b32_e32 v10, s71
	ds_read_b32 v10, v10
	s_waitcnt lgkmcnt(0)
	v_add_u32_e32 v6, v10, v6
	s_or_b64 exec, exec, s[78:79]
	s_and_saveexec_b64 s[78:79], s[50:51]
	s_cbranch_execz .LBB20_74
.LBB20_106:                             ;   in Loop: Header=BB20_47 Depth=1
	v_mov_b32_e32 v10, s77
	ds_read_b32 v10, v10
	s_waitcnt lgkmcnt(0)
	v_add_u32_e32 v6, v10, v6
	s_or_b64 exec, exec, s[78:79]
	s_and_saveexec_b64 s[78:79], s[52:53]
	s_cbranch_execz .LBB20_75
.LBB20_107:                             ;   in Loop: Header=BB20_47 Depth=1
	v_mov_b32_e32 v10, s80
	ds_read_b32 v10, v10
	s_waitcnt lgkmcnt(0)
	v_add_u32_e32 v6, v10, v6
	s_or_b64 exec, exec, s[78:79]
	s_and_saveexec_b64 s[78:79], s[54:55]
	s_cbranch_execz .LBB20_76
.LBB20_108:                             ;   in Loop: Header=BB20_47 Depth=1
	v_mov_b32_e32 v10, s81
	ds_read_b32 v10, v10
	s_waitcnt lgkmcnt(0)
	v_add_u32_e32 v6, v10, v6
	s_or_b64 exec, exec, s[78:79]
	s_and_saveexec_b64 s[78:79], s[56:57]
	s_cbranch_execz .LBB20_77
.LBB20_109:                             ;   in Loop: Header=BB20_47 Depth=1
	v_mov_b32_e32 v10, s82
	ds_read_b32 v10, v10
	s_waitcnt lgkmcnt(0)
	v_add_u32_e32 v6, v10, v6
	s_or_b64 exec, exec, s[78:79]
	s_and_saveexec_b64 s[78:79], s[58:59]
	s_cbranch_execz .LBB20_78
.LBB20_110:                             ;   in Loop: Header=BB20_47 Depth=1
	v_mov_b32_e32 v10, s83
	ds_read_b32 v10, v10
	s_waitcnt lgkmcnt(0)
	v_add_u32_e32 v6, v10, v6
	s_or_b64 exec, exec, s[78:79]
	s_and_saveexec_b64 s[78:79], s[64:65]
	s_cbranch_execz .LBB20_79
.LBB20_111:                             ;   in Loop: Header=BB20_47 Depth=1
	v_add3_u32 v10, v4, -1, v6
	v_lshl_add_u32 v10, v10, 2, 0
	v_add_u32_e32 v11, 0x20000, v10
	ds_write_b32 v10, v7
	ds_write_b32 v11, v9
	s_or_b64 exec, exec, s[78:79]
	s_and_saveexec_b64 s[64:65], vcc
	s_cbranch_execz .LBB20_46
.LBB20_112:                             ;   in Loop: Header=BB20_47 Depth=1
	v_mov_b32_e32 v7, s84
	ds_write_b32 v7, v6
	s_branch .LBB20_46
.LBB20_113:
	s_or_b64 exec, exec, s[68:69]
	v_readlane_b32 s0, v24, 12
	v_readlane_b32 s1, v24, 13
	;; [unrolled: 1-line block ×3, first 2 shown]
	s_ashr_i32 s1, s0, 31
	v_readlane_b32 s6, v24, 6
	v_readlane_b32 s7, v24, 7
	;; [unrolled: 1-line block ×4, first 2 shown]
	s_lshl_b64 s[0:1], s[0:1], 2
	s_mov_b64 s[6:7], s[10:11]
	s_add_u32 s0, s6, s0
	s_addc_u32 s1, s7, s1
	s_load_dwordx2 s[0:1], s[0:1], 0x0
	v_readlane_b32 s5, v24, 5
	v_readlane_b32 s8, v24, 8
	;; [unrolled: 1-line block ×3, first 2 shown]
	s_waitcnt lgkmcnt(0)
	s_sub_i32 s14, s1, s0
	v_cmp_gt_i32_e32 vcc, s14, v0
	s_and_saveexec_b64 s[2:3], vcc
	s_cbranch_execz .LBB20_128
; %bb.114:
	s_sub_i32 s6, s0, s70
	s_add_i32 s0, s14, -2
	s_lshr_b32 s1, s0, 1
	s_add_i32 s2, s1, 1
	s_cmp_gt_u32 s14, 1
	s_cselect_b64 s[8:9], -1, 0
	s_and_b32 s15, s14, -2
	s_and_b32 s4, s2, 7
	s_cmp_gt_u32 s0, 13
	s_cselect_b64 s[0:1], -1, 0
	s_and_b32 s16, s2, -8
	s_cmp_lg_u32 s4, 0
	s_cselect_b64 s[2:3], -1, 0
	v_cndmask_b32_e64 v1, 0, 1, s[0:1]
	v_readlane_b32 s20, v24, 0
	s_cmp_lg_u32 s14, s15
	v_cmp_ne_u32_e64 s[0:1], 1, v1
	v_cndmask_b32_e64 v1, 0, 1, s[2:3]
	v_readlane_b32 s21, v24, 1
	v_readlane_b32 s23, v24, 3
	s_mov_b32 s7, 0
	s_cselect_b64 s[10:11], -1, 0
	s_lshl_b32 s17, s4, 3
	s_mov_b64 s[12:13], 0
	v_cmp_ne_u32_e64 s[2:3], 1, v1
	v_mov_b32_e32 v1, s21
	v_mov_b32_e32 v4, s23
	v_readlane_b32 s22, v24, 2
	s_branch .LBB20_116
.LBB20_115:                             ;   in Loop: Header=BB20_116 Depth=1
	v_ashrrev_i32_e32 v3, 31, v2
	v_lshlrev_b64 v[2:3], 2, v[2:3]
	v_readlane_b32 s20, v24, 0
	s_waitcnt lgkmcnt(1)
	v_add_u32_e32 v8, s70, v6
	v_add_co_u32_e32 v6, vcc, s20, v2
	v_readlane_b32 s22, v24, 2
	v_addc_co_u32_e32 v7, vcc, v1, v3, vcc
	v_add_co_u32_e32 v2, vcc, s22, v2
	v_addc_co_u32_e32 v3, vcc, v4, v3, vcc
	v_add_u32_e32 v0, 0x400, v0
	v_cmp_le_i32_e32 vcc, s14, v0
	s_or_b64 s[12:13], vcc, s[12:13]
	v_readlane_b32 s21, v24, 1
	v_readlane_b32 s23, v24, 3
	global_store_dword v[6:7], v8, off
	s_waitcnt lgkmcnt(0)
	global_store_dword v[2:3], v5, off
	s_andn2_b64 exec, exec, s[12:13]
	s_cbranch_execz .LBB20_128
.LBB20_116:                             ; =>This Loop Header: Depth=1
                                        ;     Child Loop BB20_119 Depth 2
                                        ;     Child Loop BB20_124 Depth 2
	;; [unrolled: 1-line block ×3, first 2 shown]
	v_lshl_add_u32 v2, v0, 2, 0
	v_add_u32_e32 v3, 0x20000, v2
	ds_read_b32 v6, v2
	ds_read_b32 v5, v3
	s_and_b64 vcc, exec, s[8:9]
	s_cbranch_vccz .LBB20_121
; %bb.117:                              ;   in Loop: Header=BB20_116 Depth=1
	s_and_b64 vcc, exec, s[0:1]
	s_cbranch_vccnz .LBB20_122
; %bb.118:                              ;   in Loop: Header=BB20_116 Depth=1
	s_mov_b32 s19, 0
	v_mov_b32_e32 v2, s6
	v_mov_b32_e32 v3, 0
	s_mov_b32 s20, s16
	s_mov_b32 s18, 0
.LBB20_119:                             ;   Parent Loop BB20_116 Depth=1
                                        ; =>  This Inner Loop Header: Depth=2
	v_mov_b32_e32 v7, s19
	ds_read2_b32 v[8:9], v7 offset1:1
	ds_read2_b32 v[10:11], v7 offset0:2 offset1:3
	ds_read2_b32 v[12:13], v7 offset0:4 offset1:5
	;; [unrolled: 1-line block ×7, first 2 shown]
	s_waitcnt lgkmcnt(7)
	v_cmp_gt_i32_e32 vcc, v6, v9
	s_waitcnt lgkmcnt(5)
	v_cmp_gt_i32_e64 s[4:5], v6, v12
	v_cndmask_b32_e64 v7, 0, 1, vcc
	v_cmp_gt_i32_e32 vcc, v6, v8
	v_cndmask_b32_e64 v9, 0, 1, s[4:5]
	v_cmp_gt_i32_e64 s[4:5], v6, v13
	v_cndmask_b32_e64 v8, 0, 1, vcc
	v_cmp_gt_i32_e32 vcc, v6, v11
	v_cndmask_b32_e64 v11, 0, 1, s[4:5]
	s_waitcnt lgkmcnt(3)
	v_cmp_gt_i32_e64 s[4:5], v6, v17
	v_cndmask_b32_e64 v12, 0, 1, s[4:5]
	v_cmp_gt_i32_e64 s[4:5], v6, v16
	v_cndmask_b32_e64 v13, 0, 1, s[4:5]
	s_waitcnt lgkmcnt(1)
	v_cmp_gt_i32_e64 s[4:5], v6, v20
	v_cndmask_b32_e64 v16, 0, 1, s[4:5]
	v_cmp_gt_i32_e64 s[4:5], v6, v21
	v_cndmask_b32_e64 v17, 0, 1, s[4:5]
	v_cmp_gt_i32_e64 s[4:5], v6, v10
	v_addc_co_u32_e64 v2, s[4:5], v2, v8, s[4:5]
	v_addc_co_u32_e32 v3, vcc, v3, v7, vcc
	v_cmp_gt_i32_e32 vcc, v6, v14
	v_cmp_gt_i32_e64 s[4:5], v6, v15
	v_addc_co_u32_e64 v3, s[4:5], v3, v11, s[4:5]
	v_addc_co_u32_e32 v2, vcc, v2, v9, vcc
	v_cmp_gt_i32_e32 vcc, v6, v19
	v_cmp_gt_i32_e64 s[4:5], v6, v18
	v_addc_co_u32_e64 v2, s[4:5], v2, v13, s[4:5]
	v_addc_co_u32_e32 v3, vcc, v3, v12, vcc
	s_add_i32 s18, s18, 16
	s_add_i32 s19, s19, 64
	s_add_i32 s20, s20, -8
	s_waitcnt lgkmcnt(0)
	v_cmp_gt_i32_e32 vcc, v6, v22
	v_cmp_gt_i32_e64 s[4:5], v6, v23
	s_cmp_lg_u32 s20, 0
	v_addc_co_u32_e64 v3, s[4:5], v3, v17, s[4:5]
	v_addc_co_u32_e32 v2, vcc, v2, v16, vcc
	s_cbranch_scc1 .LBB20_119
; %bb.120:                              ;   in Loop: Header=BB20_116 Depth=1
	s_and_b64 vcc, exec, s[2:3]
	s_cbranch_vccz .LBB20_123
	s_branch .LBB20_125
.LBB20_121:                             ;   in Loop: Header=BB20_116 Depth=1
	v_mov_b32_e32 v2, s6
	s_mov_b32 s18, 0
	s_cbranch_execz .LBB20_115
	s_branch .LBB20_126
.LBB20_122:                             ;   in Loop: Header=BB20_116 Depth=1
	v_pk_mov_b32 v[2:3], s[6:7], s[6:7] op_sel:[0,1]
	s_mov_b32 s18, 0
	s_and_b64 vcc, exec, s[2:3]
	s_cbranch_vccnz .LBB20_125
.LBB20_123:                             ;   in Loop: Header=BB20_116 Depth=1
	s_lshl_b32 s4, s18, 2
	s_add_i32 s4, s4, 0
	s_mov_b32 s5, s17
.LBB20_124:                             ;   Parent Loop BB20_116 Depth=1
                                        ; =>  This Inner Loop Header: Depth=2
	v_mov_b32_e32 v7, s4
	ds_read2_b32 v[8:9], v7 offset1:1
	s_add_i32 s4, s4, 8
	s_add_i32 s5, s5, -8
	s_cmp_lg_u32 s5, 0
	s_waitcnt lgkmcnt(0)
	v_cmp_gt_i32_e32 vcc, v6, v9
	v_addc_co_u32_e32 v3, vcc, 0, v3, vcc
	v_cmp_gt_i32_e32 vcc, v6, v8
	v_addc_co_u32_e32 v2, vcc, 0, v2, vcc
	s_cbranch_scc1 .LBB20_124
.LBB20_125:                             ;   in Loop: Header=BB20_116 Depth=1
	v_add_u32_e32 v2, v2, v3
	s_mov_b32 s18, s15
	s_mov_b64 s[4:5], s[10:11]
	s_and_b64 vcc, exec, s[4:5]
	s_cbranch_vccz .LBB20_115
.LBB20_126:                             ;   in Loop: Header=BB20_116 Depth=1
	s_lshl_b32 s4, s18, 2
	s_add_i32 s4, s4, 0
.LBB20_127:                             ;   Parent Loop BB20_116 Depth=1
                                        ; =>  This Inner Loop Header: Depth=2
	v_mov_b32_e32 v3, s4
	ds_read_b32 v3, v3
	s_add_i32 s18, s18, 1
	s_add_i32 s4, s4, 4
	s_cmp_ge_i32 s18, s14
	s_waitcnt lgkmcnt(0)
	v_cmp_gt_i32_e32 vcc, v6, v3
	v_addc_co_u32_e32 v2, vcc, 0, v2, vcc
	s_cbranch_scc0 .LBB20_127
	s_branch .LBB20_115
.LBB20_128:
	s_endpgm
	.section	.rodata,"a",@progbits
	.p2align	6, 0x0
	.amdhsa_kernel _ZN9rocsparseL26csrgemm_fill_block_per_rowILj1024ELj64ELj32768ELj137ELj32EiifEEvT5_PKS1_S3_NS_24const_host_device_scalarIT6_EEPKT4_S3_PKS5_S9_S3_SB_S6_S9_S3_SB_S9_PS1_PS5_21rocsparse_index_base_SE_SE_SE_bbb
		.amdhsa_group_segment_fixed_size 0
		.amdhsa_private_segment_fixed_size 0
		.amdhsa_kernarg_size 156
		.amdhsa_user_sgpr_count 6
		.amdhsa_user_sgpr_private_segment_buffer 1
		.amdhsa_user_sgpr_dispatch_ptr 0
		.amdhsa_user_sgpr_queue_ptr 0
		.amdhsa_user_sgpr_kernarg_segment_ptr 1
		.amdhsa_user_sgpr_dispatch_id 0
		.amdhsa_user_sgpr_flat_scratch_init 0
		.amdhsa_user_sgpr_kernarg_preload_length 0
		.amdhsa_user_sgpr_kernarg_preload_offset 0
		.amdhsa_user_sgpr_private_segment_size 0
		.amdhsa_uses_dynamic_stack 0
		.amdhsa_system_sgpr_private_segment_wavefront_offset 0
		.amdhsa_system_sgpr_workgroup_id_x 1
		.amdhsa_system_sgpr_workgroup_id_y 0
		.amdhsa_system_sgpr_workgroup_id_z 0
		.amdhsa_system_sgpr_workgroup_info 0
		.amdhsa_system_vgpr_workitem_id 0
		.amdhsa_next_free_vgpr 25
		.amdhsa_next_free_sgpr 96
		.amdhsa_accum_offset 28
		.amdhsa_reserve_vcc 1
		.amdhsa_reserve_flat_scratch 0
		.amdhsa_float_round_mode_32 0
		.amdhsa_float_round_mode_16_64 0
		.amdhsa_float_denorm_mode_32 3
		.amdhsa_float_denorm_mode_16_64 3
		.amdhsa_dx10_clamp 1
		.amdhsa_ieee_mode 1
		.amdhsa_fp16_overflow 0
		.amdhsa_tg_split 0
		.amdhsa_exception_fp_ieee_invalid_op 0
		.amdhsa_exception_fp_denorm_src 0
		.amdhsa_exception_fp_ieee_div_zero 0
		.amdhsa_exception_fp_ieee_overflow 0
		.amdhsa_exception_fp_ieee_underflow 0
		.amdhsa_exception_fp_ieee_inexact 0
		.amdhsa_exception_int_div_zero 0
	.end_amdhsa_kernel
	.section	.text._ZN9rocsparseL26csrgemm_fill_block_per_rowILj1024ELj64ELj32768ELj137ELj32EiifEEvT5_PKS1_S3_NS_24const_host_device_scalarIT6_EEPKT4_S3_PKS5_S9_S3_SB_S6_S9_S3_SB_S9_PS1_PS5_21rocsparse_index_base_SE_SE_SE_bbb,"axG",@progbits,_ZN9rocsparseL26csrgemm_fill_block_per_rowILj1024ELj64ELj32768ELj137ELj32EiifEEvT5_PKS1_S3_NS_24const_host_device_scalarIT6_EEPKT4_S3_PKS5_S9_S3_SB_S6_S9_S3_SB_S9_PS1_PS5_21rocsparse_index_base_SE_SE_SE_bbb,comdat
.Lfunc_end20:
	.size	_ZN9rocsparseL26csrgemm_fill_block_per_rowILj1024ELj64ELj32768ELj137ELj32EiifEEvT5_PKS1_S3_NS_24const_host_device_scalarIT6_EEPKT4_S3_PKS5_S9_S3_SB_S6_S9_S3_SB_S9_PS1_PS5_21rocsparse_index_base_SE_SE_SE_bbb, .Lfunc_end20-_ZN9rocsparseL26csrgemm_fill_block_per_rowILj1024ELj64ELj32768ELj137ELj32EiifEEvT5_PKS1_S3_NS_24const_host_device_scalarIT6_EEPKT4_S3_PKS5_S9_S3_SB_S6_S9_S3_SB_S9_PS1_PS5_21rocsparse_index_base_SE_SE_SE_bbb
                                        ; -- End function
	.section	.AMDGPU.csdata,"",@progbits
; Kernel info:
; codeLenInByte = 5144
; NumSgprs: 100
; NumVgprs: 25
; NumAgprs: 0
; TotalNumVgprs: 25
; ScratchSize: 0
; MemoryBound: 0
; FloatMode: 240
; IeeeMode: 1
; LDSByteSize: 0 bytes/workgroup (compile time only)
; SGPRBlocks: 12
; VGPRBlocks: 3
; NumSGPRsForWavesPerEU: 100
; NumVGPRsForWavesPerEU: 25
; AccumOffset: 28
; Occupancy: 8
; WaveLimiterHint : 1
; COMPUTE_PGM_RSRC2:SCRATCH_EN: 0
; COMPUTE_PGM_RSRC2:USER_SGPR: 6
; COMPUTE_PGM_RSRC2:TRAP_HANDLER: 0
; COMPUTE_PGM_RSRC2:TGID_X_EN: 1
; COMPUTE_PGM_RSRC2:TGID_Y_EN: 0
; COMPUTE_PGM_RSRC2:TGID_Z_EN: 0
; COMPUTE_PGM_RSRC2:TIDIG_COMP_CNT: 0
; COMPUTE_PGM_RSRC3_GFX90A:ACCUM_OFFSET: 6
; COMPUTE_PGM_RSRC3_GFX90A:TG_SPLIT: 0
	.section	.text._ZN9rocsparseL26csrgemm_fill_block_per_rowILj1024ELj64ELj32768ELj137ELj64EiifEEvT5_PKS1_S3_NS_24const_host_device_scalarIT6_EEPKT4_S3_PKS5_S9_S3_SB_S6_S9_S3_SB_S9_PS1_PS5_21rocsparse_index_base_SE_SE_SE_bbb,"axG",@progbits,_ZN9rocsparseL26csrgemm_fill_block_per_rowILj1024ELj64ELj32768ELj137ELj64EiifEEvT5_PKS1_S3_NS_24const_host_device_scalarIT6_EEPKT4_S3_PKS5_S9_S3_SB_S6_S9_S3_SB_S9_PS1_PS5_21rocsparse_index_base_SE_SE_SE_bbb,comdat
	.globl	_ZN9rocsparseL26csrgemm_fill_block_per_rowILj1024ELj64ELj32768ELj137ELj64EiifEEvT5_PKS1_S3_NS_24const_host_device_scalarIT6_EEPKT4_S3_PKS5_S9_S3_SB_S6_S9_S3_SB_S9_PS1_PS5_21rocsparse_index_base_SE_SE_SE_bbb ; -- Begin function _ZN9rocsparseL26csrgemm_fill_block_per_rowILj1024ELj64ELj32768ELj137ELj64EiifEEvT5_PKS1_S3_NS_24const_host_device_scalarIT6_EEPKT4_S3_PKS5_S9_S3_SB_S6_S9_S3_SB_S9_PS1_PS5_21rocsparse_index_base_SE_SE_SE_bbb
	.p2align	8
	.type	_ZN9rocsparseL26csrgemm_fill_block_per_rowILj1024ELj64ELj32768ELj137ELj64EiifEEvT5_PKS1_S3_NS_24const_host_device_scalarIT6_EEPKT4_S3_PKS5_S9_S3_SB_S6_S9_S3_SB_S9_PS1_PS5_21rocsparse_index_base_SE_SE_SE_bbb,@function
_ZN9rocsparseL26csrgemm_fill_block_per_rowILj1024ELj64ELj32768ELj137ELj64EiifEEvT5_PKS1_S3_NS_24const_host_device_scalarIT6_EEPKT4_S3_PKS5_S9_S3_SB_S6_S9_S3_SB_S9_PS1_PS5_21rocsparse_index_base_SE_SE_SE_bbb: ; @_ZN9rocsparseL26csrgemm_fill_block_per_rowILj1024ELj64ELj32768ELj137ELj64EiifEEvT5_PKS1_S3_NS_24const_host_device_scalarIT6_EEPKT4_S3_PKS5_S9_S3_SB_S6_S9_S3_SB_S9_PS1_PS5_21rocsparse_index_base_SE_SE_SE_bbb
; %bb.0:
	s_load_dword s7, s[4:5], 0x98
	s_load_dwordx4 s[44:47], s[4:5], 0x88
	s_load_dwordx2 s[0:1], s[4:5], 0x18
	s_load_dwordx2 s[24:25], s[4:5], 0x50
	s_waitcnt lgkmcnt(0)
	s_bitcmp1_b32 s7, 0
	s_cselect_b64 s[2:3], -1, 0
	s_bitcmp1_b32 s7, 16
	s_cselect_b64 s[26:27], -1, 0
	s_xor_b64 s[8:9], s[2:3], -1
	s_or_b64 s[8:9], s[8:9], s[26:27]
	s_and_b64 vcc, exec, s[8:9]
	s_cbranch_vccnz .LBB21_2
; %bb.1:
	s_load_dword s0, s[0:1], 0x0
	s_waitcnt lgkmcnt(0)
	v_mov_b32_e32 v11, s0
	s_branch .LBB21_3
.LBB21_2:
	v_mov_b32_e32 v1, s0
	v_cndmask_b32_e64 v11, 0, v1, s[2:3]
.LBB21_3:
	s_load_dwordx4 s[48:51], s[4:5], 0x78
	s_load_dwordx8 s[36:43], s[4:5], 0x58
	s_load_dwordx4 s[16:19], s[4:5], 0x40
	s_load_dwordx4 s[20:23], s[4:5], 0x8
	s_load_dwordx8 s[8:15], s[4:5], 0x20
	s_bitcmp1_b32 s7, 8
	s_cselect_b64 s[0:1], -1, 0
	s_xor_b64 s[28:29], s[0:1], -1
	s_or_b64 s[26:27], s[28:29], s[26:27]
	s_and_b64 vcc, exec, s[26:27]
	s_cbranch_vccnz .LBB21_5
; %bb.4:
	s_load_dword s7, s[24:25], 0x0
	s_waitcnt lgkmcnt(0)
	v_mov_b32_e32 v9, s7
	s_branch .LBB21_6
.LBB21_5:
	v_mov_b32_e32 v1, s24
	v_cndmask_b32_e64 v9, 0, v1, s[0:1]
.LBB21_6:
	s_load_dword s33, s[4:5], 0x0
	v_or_b32_e32 v1, 0xfffffc00, v0
	v_lshl_add_u32 v8, v0, 2, 0
	s_mov_b64 s[4:5], 0
	v_mov_b32_e32 v2, 0
	s_waitcnt lgkmcnt(0)
	v_mov_b32_e32 v3, s33
	s_movk_i32 s7, 0x7bff
	v_mov_b32_e32 v4, v8
	v_mov_b32_e32 v5, v1
.LBB21_7:                               ; =>This Inner Loop Header: Depth=1
	v_add_u32_e32 v5, 0x400, v5
	v_cmp_lt_u32_e32 vcc, s7, v5
	ds_write_b32 v4, v3
	v_add_u32_e32 v6, 0x20000, v4
	v_add_u32_e32 v4, 0x1000, v4
	s_or_b64 s[4:5], vcc, s[4:5]
	ds_write_b32 v6, v2
	s_andn2_b64 exec, exec, s[4:5]
	s_cbranch_execnz .LBB21_7
; %bb.8:
	s_or_b64 exec, exec, s[4:5]
	s_waitcnt lgkmcnt(0)
	s_barrier
	s_load_dword s4, s[20:21], 0x0
	s_mov_b32 s5, 0
	v_lshrrev_b32_e32 v10, 6, v0
	s_waitcnt lgkmcnt(0)
	s_add_i32 s4, s4, s6
	s_lshl_b64 s[4:5], s[4:5], 2
	s_add_u32 s4, s22, s4
	s_addc_u32 s5, s23, s5
	s_load_dword s34, s[4:5], 0x0
	s_and_b64 vcc, exec, s[2:3]
	s_cbranch_vccz .LBB21_28
; %bb.9:
	s_waitcnt lgkmcnt(0)
	s_ashr_i32 s35, s34, 31
	s_lshl_b64 s[2:3], s[34:35], 2
	s_add_u32 s2, s8, s2
	s_addc_u32 s3, s9, s3
	s_load_dwordx2 s[2:3], s[2:3], 0x0
	v_subrev_u32_e32 v2, s44, v10
	s_waitcnt lgkmcnt(0)
	s_sub_i32 s35, s3, s44
	v_add_u32_e32 v2, s2, v2
	v_cmp_gt_i32_e32 vcc, s35, v2
	s_and_saveexec_b64 s[2:3], vcc
	s_cbranch_execz .LBB21_27
; %bb.10:
	v_and_b32_e32 v3, 63, v0
	v_subrev_u32_e32 v12, s45, v3
	s_mov_b64 s[4:5], 0
	v_mov_b32_e32 v13, s11
	v_mov_b32_e32 v14, s15
	s_movk_i32 s11, 0x89
	s_branch .LBB21_12
.LBB21_11:                              ;   in Loop: Header=BB21_12 Depth=1
	s_or_b64 exec, exec, s[6:7]
	v_add_u32_e32 v2, 16, v2
	v_cmp_le_i32_e32 vcc, s35, v2
	s_or_b64 s[4:5], vcc, s[4:5]
	s_andn2_b64 exec, exec, s[4:5]
	s_cbranch_execz .LBB21_27
.LBB21_12:                              ; =>This Loop Header: Depth=1
                                        ;     Child Loop BB21_15 Depth 2
                                        ;       Child Loop BB21_17 Depth 3
	v_ashrrev_i32_e32 v3, 31, v2
	v_lshlrev_b64 v[6:7], 2, v[2:3]
	v_add_co_u32_e32 v4, vcc, s10, v6
	v_addc_co_u32_e32 v5, vcc, v13, v7, vcc
	global_load_dword v3, v[4:5], off
	s_waitcnt vmcnt(0)
	v_subrev_u32_e32 v4, s44, v3
	v_ashrrev_i32_e32 v5, 31, v4
	v_lshlrev_b64 v[4:5], 2, v[4:5]
	v_add_co_u32_e32 v4, vcc, s14, v4
	v_addc_co_u32_e32 v5, vcc, v14, v5, vcc
	global_load_dwordx2 v[4:5], v[4:5], off
	s_waitcnt vmcnt(0)
	v_subrev_u32_e32 v3, s45, v5
	v_add_u32_e32 v4, v4, v12
	v_cmp_lt_i32_e32 vcc, v4, v3
	s_and_saveexec_b64 s[6:7], vcc
	s_cbranch_execz .LBB21_11
; %bb.13:                               ;   in Loop: Header=BB21_12 Depth=1
	v_mov_b32_e32 v5, s13
	v_add_co_u32_e32 v6, vcc, s12, v6
	v_addc_co_u32_e32 v7, vcc, v5, v7, vcc
	global_load_dword v5, v[6:7], off
	s_mov_b64 s[8:9], 0
	s_waitcnt vmcnt(0)
	v_mul_f32_e32 v6, v11, v5
	s_branch .LBB21_15
.LBB21_14:                              ;   in Loop: Header=BB21_15 Depth=2
	s_or_b64 exec, exec, s[20:21]
	v_add_u32_e32 v4, 64, v4
	v_cmp_ge_i32_e32 vcc, v4, v3
	s_or_b64 s[8:9], vcc, s[8:9]
	s_andn2_b64 exec, exec, s[8:9]
	s_cbranch_execz .LBB21_11
.LBB21_15:                              ;   Parent Loop BB21_12 Depth=1
                                        ; =>  This Loop Header: Depth=2
                                        ;       Child Loop BB21_17 Depth 3
	v_ashrrev_i32_e32 v5, 31, v4
	v_lshlrev_b64 v[16:17], 2, v[4:5]
	v_mov_b32_e32 v5, s17
	v_add_co_u32_e32 v18, vcc, s16, v16
	v_addc_co_u32_e32 v19, vcc, v5, v17, vcc
	global_load_dword v5, v[18:19], off
	v_mov_b32_e32 v7, s19
	v_add_co_u32_e32 v16, vcc, s18, v16
	v_addc_co_u32_e32 v17, vcc, v7, v17, vcc
	global_load_dword v7, v[16:17], off
	s_mov_b64 s[20:21], 0
	s_waitcnt vmcnt(1)
	v_subrev_u32_e32 v5, s45, v5
	v_mul_lo_u32 v15, v5, s11
	v_and_b32_e32 v15, 0x7fff, v15
	s_waitcnt vmcnt(0)
	v_mul_f32_e32 v7, v6, v7
	s_branch .LBB21_17
.LBB21_16:                              ;   in Loop: Header=BB21_17 Depth=3
	s_or_b64 exec, exec, s[22:23]
	s_xor_b64 s[22:23], s[24:25], -1
	s_and_b64 s[22:23], exec, s[22:23]
	s_or_b64 s[20:21], s[22:23], s[20:21]
	s_andn2_b64 exec, exec, s[20:21]
	s_cbranch_execz .LBB21_14
.LBB21_17:                              ;   Parent Loop BB21_12 Depth=1
                                        ;     Parent Loop BB21_15 Depth=2
                                        ; =>    This Inner Loop Header: Depth=3
	v_lshl_add_u32 v16, v15, 2, 0
	ds_read_b32 v17, v16
                                        ; implicit-def: $sgpr24_sgpr25
	s_waitcnt lgkmcnt(0)
	v_cmp_ne_u32_e32 vcc, v17, v5
	s_and_saveexec_b64 s[22:23], vcc
	s_xor_b64 s[22:23], exec, s[22:23]
	s_cbranch_execz .LBB21_25
; %bb.18:                               ;   in Loop: Header=BB21_17 Depth=3
	v_cmp_ne_u32_e32 vcc, s33, v17
                                        ; implicit-def: $sgpr24_sgpr25
	s_and_saveexec_b64 s[26:27], vcc
	s_xor_b64 s[26:27], exec, s[26:27]
; %bb.19:                               ;   in Loop: Header=BB21_17 Depth=3
	v_add_u32_e32 v15, 1, v15
	v_and_b32_e32 v15, 0x7fff, v15
	s_mov_b64 s[24:25], -1
                                        ; implicit-def: $vgpr16
; %bb.20:                               ;   in Loop: Header=BB21_17 Depth=3
	s_andn2_saveexec_b64 s[26:27], s[26:27]
	s_cbranch_execz .LBB21_24
; %bb.21:                               ;   in Loop: Header=BB21_17 Depth=3
	v_mov_b32_e32 v17, s33
	ds_cmpst_rtn_b32 v17, v16, v17, v5
	s_mov_b64 s[28:29], -1
	s_waitcnt lgkmcnt(0)
	v_cmp_eq_u32_e32 vcc, s33, v17
	s_and_saveexec_b64 s[30:31], vcc
	s_cbranch_execz .LBB21_23
; %bb.22:                               ;   in Loop: Header=BB21_17 Depth=3
	v_add_u32_e32 v16, 0x20000, v16
	ds_add_f32 v16, v7
	s_xor_b64 s[28:29], exec, -1
.LBB21_23:                              ;   in Loop: Header=BB21_17 Depth=3
	s_or_b64 exec, exec, s[30:31]
	s_andn2_b64 s[24:25], s[24:25], exec
	s_and_b64 s[28:29], s[28:29], exec
	s_or_b64 s[24:25], s[24:25], s[28:29]
.LBB21_24:                              ;   in Loop: Header=BB21_17 Depth=3
	s_or_b64 exec, exec, s[26:27]
	s_and_b64 s[24:25], s[24:25], exec
                                        ; implicit-def: $vgpr16
.LBB21_25:                              ;   in Loop: Header=BB21_17 Depth=3
	s_andn2_saveexec_b64 s[22:23], s[22:23]
	s_cbranch_execz .LBB21_16
; %bb.26:                               ;   in Loop: Header=BB21_17 Depth=3
	v_add_u32_e32 v16, 0x20000, v16
	ds_add_f32 v16, v7
	s_andn2_b64 s[24:25], s[24:25], exec
	s_branch .LBB21_16
.LBB21_27:
	s_or_b64 exec, exec, s[2:3]
.LBB21_28:
	s_andn2_b64 vcc, exec, s[0:1]
	s_cbranch_vccnz .LBB21_45
; %bb.29:
	s_waitcnt lgkmcnt(0)
	s_ashr_i32 s35, s34, 31
	s_lshl_b64 s[0:1], s[34:35], 2
	s_add_u32 s0, s36, s0
	s_addc_u32 s1, s37, s1
	s_load_dwordx2 s[0:1], s[0:1], 0x0
	v_subrev_u32_e32 v2, s47, v0
	s_waitcnt lgkmcnt(0)
	s_sub_i32 s16, s1, s47
	v_add_u32_e32 v2, s0, v2
	v_cmp_gt_i32_e32 vcc, s16, v2
	s_and_saveexec_b64 s[0:1], vcc
	s_cbranch_execz .LBB21_44
; %bb.30:
	s_mov_b64 s[2:3], 0
	v_mov_b32_e32 v4, s39
	v_mov_b32_e32 v5, s41
	s_movk_i32 s17, 0x89
	s_branch .LBB21_32
.LBB21_31:                              ;   in Loop: Header=BB21_32 Depth=1
	s_or_b64 exec, exec, s[4:5]
	v_add_u32_e32 v2, 0x400, v2
	v_cmp_le_i32_e32 vcc, s16, v2
	s_or_b64 s[2:3], vcc, s[2:3]
	s_andn2_b64 exec, exec, s[2:3]
	s_cbranch_execz .LBB21_44
.LBB21_32:                              ; =>This Loop Header: Depth=1
                                        ;     Child Loop BB21_34 Depth 2
	v_ashrrev_i32_e32 v3, 31, v2
	v_lshlrev_b64 v[6:7], 2, v[2:3]
	v_add_co_u32_e32 v12, vcc, s38, v6
	v_addc_co_u32_e32 v13, vcc, v4, v7, vcc
	global_load_dword v3, v[12:13], off
	v_add_co_u32_e32 v6, vcc, s40, v6
	v_addc_co_u32_e32 v7, vcc, v5, v7, vcc
	global_load_dword v6, v[6:7], off
	s_mov_b64 s[4:5], 0
	s_waitcnt vmcnt(1)
	v_subrev_u32_e32 v3, s47, v3
	v_mul_lo_u32 v7, v3, s17
	v_and_b32_e32 v7, 0x7fff, v7
	s_waitcnt vmcnt(0)
	v_mul_f32_e32 v6, v9, v6
	s_branch .LBB21_34
.LBB21_33:                              ;   in Loop: Header=BB21_34 Depth=2
	s_or_b64 exec, exec, s[6:7]
	s_xor_b64 s[6:7], s[8:9], -1
	s_and_b64 s[6:7], exec, s[6:7]
	s_or_b64 s[4:5], s[6:7], s[4:5]
	s_andn2_b64 exec, exec, s[4:5]
	s_cbranch_execz .LBB21_31
.LBB21_34:                              ;   Parent Loop BB21_32 Depth=1
                                        ; =>  This Inner Loop Header: Depth=2
	v_lshl_add_u32 v11, v7, 2, 0
	ds_read_b32 v12, v11
                                        ; implicit-def: $sgpr8_sgpr9
	s_waitcnt lgkmcnt(0)
	v_cmp_ne_u32_e32 vcc, v12, v3
	s_and_saveexec_b64 s[6:7], vcc
	s_xor_b64 s[6:7], exec, s[6:7]
	s_cbranch_execz .LBB21_42
; %bb.35:                               ;   in Loop: Header=BB21_34 Depth=2
	v_cmp_ne_u32_e32 vcc, s33, v12
                                        ; implicit-def: $sgpr8_sgpr9
	s_and_saveexec_b64 s[10:11], vcc
	s_xor_b64 s[10:11], exec, s[10:11]
; %bb.36:                               ;   in Loop: Header=BB21_34 Depth=2
	v_add_u32_e32 v7, 1, v7
	v_and_b32_e32 v7, 0x7fff, v7
	s_mov_b64 s[8:9], -1
                                        ; implicit-def: $vgpr11
; %bb.37:                               ;   in Loop: Header=BB21_34 Depth=2
	s_andn2_saveexec_b64 s[10:11], s[10:11]
	s_cbranch_execz .LBB21_41
; %bb.38:                               ;   in Loop: Header=BB21_34 Depth=2
	v_mov_b32_e32 v12, s33
	ds_cmpst_rtn_b32 v12, v11, v12, v3
	s_mov_b64 s[12:13], -1
	s_waitcnt lgkmcnt(0)
	v_cmp_eq_u32_e32 vcc, s33, v12
	s_and_saveexec_b64 s[14:15], vcc
	s_cbranch_execz .LBB21_40
; %bb.39:                               ;   in Loop: Header=BB21_34 Depth=2
	v_add_u32_e32 v11, 0x20000, v11
	ds_add_f32 v11, v6
	s_xor_b64 s[12:13], exec, -1
.LBB21_40:                              ;   in Loop: Header=BB21_34 Depth=2
	s_or_b64 exec, exec, s[14:15]
	s_andn2_b64 s[8:9], s[8:9], exec
	s_and_b64 s[12:13], s[12:13], exec
	s_or_b64 s[8:9], s[8:9], s[12:13]
.LBB21_41:                              ;   in Loop: Header=BB21_34 Depth=2
	s_or_b64 exec, exec, s[10:11]
	s_and_b64 s[8:9], s[8:9], exec
                                        ; implicit-def: $vgpr11
.LBB21_42:                              ;   in Loop: Header=BB21_34 Depth=2
	s_andn2_saveexec_b64 s[6:7], s[6:7]
	s_cbranch_execz .LBB21_33
; %bb.43:                               ;   in Loop: Header=BB21_34 Depth=2
	v_add_u32_e32 v11, 0x20000, v11
	ds_add_f32 v11, v6
	s_andn2_b64 s[8:9], s[8:9], exec
	s_branch .LBB21_33
.LBB21_44:
	s_or_b64 exec, exec, s[0:1]
.LBB21_45:
	v_mbcnt_lo_u32_b32 v2, -1, 0
	v_mbcnt_hi_u32_b32 v2, -1, v2
	v_sub_u32_e32 v2, 63, v2
	s_add_i32 s35, 0, 0x40000
	s_movk_i32 s0, 0x3ff
	s_movk_i32 s2, 0x7f
	;; [unrolled: 1-line block ×15, first 2 shown]
	s_add_i32 s61, 0, 0x4003c
	v_mov_b32_e32 v4, 0
	v_lshrrev_b64 v[2:3], v2, -1
	v_lshl_add_u32 v5, v10, 2, s35
	v_cmp_eq_u32_e32 vcc, s0, v0
	v_cmp_lt_u32_e64 s[0:1], 63, v0
	v_cmp_lt_u32_e64 s[2:3], s2, v0
	;; [unrolled: 1-line block ×15, first 2 shown]
	s_mov_b64 s[36:37], 0
	s_add_i32 s40, 0, 0x40004
	s_add_i32 s41, 0, 0x40008
	;; [unrolled: 1-line block ×14, first 2 shown]
	v_mov_b32_e32 v6, s61
	s_movk_i32 s62, 0x7bff
	s_waitcnt lgkmcnt(0)
	s_barrier
	s_branch .LBB21_47
.LBB21_46:                              ;   in Loop: Header=BB21_47 Depth=1
	s_or_b64 exec, exec, s[30:31]
	s_waitcnt lgkmcnt(0)
	s_barrier
	ds_read_b32 v7, v6
	v_add_u32_e32 v1, 0x400, v1
	v_cmp_lt_u32_e64 s[30:31], s62, v1
	s_or_b64 s[36:37], s[30:31], s[36:37]
	v_add_u32_e32 v8, 0x1000, v8
	s_waitcnt lgkmcnt(0)
	v_add_u32_e32 v4, v7, v4
	s_andn2_b64 exec, exec, s[36:37]
	s_cbranch_execz .LBB21_81
.LBB21_47:                              ; =>This Inner Loop Header: Depth=1
	ds_read_b32 v9, v8
	v_add_u32_e32 v7, 0x20000, v8
	ds_read_b32 v10, v7
	s_waitcnt lgkmcnt(0)
	s_barrier
	v_cmp_gt_i32_e64 s[30:31], s33, v9
	v_and_b32_e32 v11, s30, v2
	s_bcnt1_i32_b64 s38, s[30:31]
	v_and_b32_e32 v7, s31, v3
	v_bcnt_u32_b32 v11, v11, 0
	v_bcnt_u32_b32 v7, v7, v11
	v_mov_b32_e32 v11, s38
	ds_write_b32 v5, v11
	s_waitcnt lgkmcnt(0)
	s_barrier
	s_and_saveexec_b64 s[38:39], s[0:1]
	s_cbranch_execnz .LBB21_64
; %bb.48:                               ;   in Loop: Header=BB21_47 Depth=1
	s_or_b64 exec, exec, s[38:39]
	s_and_saveexec_b64 s[38:39], s[2:3]
	s_cbranch_execnz .LBB21_65
.LBB21_49:                              ;   in Loop: Header=BB21_47 Depth=1
	s_or_b64 exec, exec, s[38:39]
	s_and_saveexec_b64 s[38:39], s[4:5]
	s_cbranch_execnz .LBB21_66
.LBB21_50:                              ;   in Loop: Header=BB21_47 Depth=1
	s_or_b64 exec, exec, s[38:39]
	s_and_saveexec_b64 s[38:39], s[6:7]
	s_cbranch_execnz .LBB21_67
.LBB21_51:                              ;   in Loop: Header=BB21_47 Depth=1
	s_or_b64 exec, exec, s[38:39]
	s_and_saveexec_b64 s[38:39], s[8:9]
	s_cbranch_execnz .LBB21_68
.LBB21_52:                              ;   in Loop: Header=BB21_47 Depth=1
	s_or_b64 exec, exec, s[38:39]
	s_and_saveexec_b64 s[38:39], s[10:11]
	s_cbranch_execnz .LBB21_69
.LBB21_53:                              ;   in Loop: Header=BB21_47 Depth=1
	s_or_b64 exec, exec, s[38:39]
	s_and_saveexec_b64 s[38:39], s[12:13]
	s_cbranch_execnz .LBB21_70
.LBB21_54:                              ;   in Loop: Header=BB21_47 Depth=1
	s_or_b64 exec, exec, s[38:39]
	s_and_saveexec_b64 s[38:39], s[14:15]
	s_cbranch_execnz .LBB21_71
.LBB21_55:                              ;   in Loop: Header=BB21_47 Depth=1
	s_or_b64 exec, exec, s[38:39]
	s_and_saveexec_b64 s[38:39], s[16:17]
	s_cbranch_execnz .LBB21_72
.LBB21_56:                              ;   in Loop: Header=BB21_47 Depth=1
	s_or_b64 exec, exec, s[38:39]
	s_and_saveexec_b64 s[38:39], s[18:19]
	s_cbranch_execnz .LBB21_73
.LBB21_57:                              ;   in Loop: Header=BB21_47 Depth=1
	s_or_b64 exec, exec, s[38:39]
	s_and_saveexec_b64 s[38:39], s[20:21]
	s_cbranch_execnz .LBB21_74
.LBB21_58:                              ;   in Loop: Header=BB21_47 Depth=1
	s_or_b64 exec, exec, s[38:39]
	s_and_saveexec_b64 s[38:39], s[22:23]
	s_cbranch_execnz .LBB21_75
.LBB21_59:                              ;   in Loop: Header=BB21_47 Depth=1
	s_or_b64 exec, exec, s[38:39]
	s_and_saveexec_b64 s[38:39], s[24:25]
	s_cbranch_execnz .LBB21_76
.LBB21_60:                              ;   in Loop: Header=BB21_47 Depth=1
	s_or_b64 exec, exec, s[38:39]
	s_and_saveexec_b64 s[38:39], s[26:27]
	s_cbranch_execnz .LBB21_77
.LBB21_61:                              ;   in Loop: Header=BB21_47 Depth=1
	s_or_b64 exec, exec, s[38:39]
	s_and_saveexec_b64 s[38:39], s[28:29]
	s_cbranch_execnz .LBB21_78
.LBB21_62:                              ;   in Loop: Header=BB21_47 Depth=1
	s_or_b64 exec, exec, s[38:39]
	s_and_saveexec_b64 s[38:39], s[30:31]
	s_cbranch_execnz .LBB21_79
.LBB21_63:                              ;   in Loop: Header=BB21_47 Depth=1
	s_or_b64 exec, exec, s[38:39]
	s_and_saveexec_b64 s[30:31], vcc
	s_cbranch_execz .LBB21_46
	s_branch .LBB21_80
.LBB21_64:                              ;   in Loop: Header=BB21_47 Depth=1
	v_mov_b32_e32 v11, s35
	ds_read_b32 v11, v11
	s_waitcnt lgkmcnt(0)
	v_add_u32_e32 v7, v11, v7
	s_or_b64 exec, exec, s[38:39]
	s_and_saveexec_b64 s[38:39], s[2:3]
	s_cbranch_execz .LBB21_49
.LBB21_65:                              ;   in Loop: Header=BB21_47 Depth=1
	v_mov_b32_e32 v11, s40
	ds_read_b32 v11, v11
	s_waitcnt lgkmcnt(0)
	v_add_u32_e32 v7, v11, v7
	s_or_b64 exec, exec, s[38:39]
	s_and_saveexec_b64 s[38:39], s[4:5]
	s_cbranch_execz .LBB21_50
.LBB21_66:                              ;   in Loop: Header=BB21_47 Depth=1
	v_mov_b32_e32 v11, s41
	ds_read_b32 v11, v11
	s_waitcnt lgkmcnt(0)
	v_add_u32_e32 v7, v11, v7
	s_or_b64 exec, exec, s[38:39]
	s_and_saveexec_b64 s[38:39], s[6:7]
	s_cbranch_execz .LBB21_51
.LBB21_67:                              ;   in Loop: Header=BB21_47 Depth=1
	v_mov_b32_e32 v11, s44
	ds_read_b32 v11, v11
	s_waitcnt lgkmcnt(0)
	v_add_u32_e32 v7, v11, v7
	s_or_b64 exec, exec, s[38:39]
	s_and_saveexec_b64 s[38:39], s[8:9]
	s_cbranch_execz .LBB21_52
.LBB21_68:                              ;   in Loop: Header=BB21_47 Depth=1
	v_mov_b32_e32 v11, s45
	ds_read_b32 v11, v11
	s_waitcnt lgkmcnt(0)
	v_add_u32_e32 v7, v11, v7
	s_or_b64 exec, exec, s[38:39]
	s_and_saveexec_b64 s[38:39], s[10:11]
	s_cbranch_execz .LBB21_53
.LBB21_69:                              ;   in Loop: Header=BB21_47 Depth=1
	v_mov_b32_e32 v11, s47
	ds_read_b32 v11, v11
	s_waitcnt lgkmcnt(0)
	v_add_u32_e32 v7, v11, v7
	s_or_b64 exec, exec, s[38:39]
	s_and_saveexec_b64 s[38:39], s[12:13]
	s_cbranch_execz .LBB21_54
.LBB21_70:                              ;   in Loop: Header=BB21_47 Depth=1
	v_mov_b32_e32 v11, s52
	ds_read_b32 v11, v11
	s_waitcnt lgkmcnt(0)
	v_add_u32_e32 v7, v11, v7
	s_or_b64 exec, exec, s[38:39]
	s_and_saveexec_b64 s[38:39], s[14:15]
	s_cbranch_execz .LBB21_55
.LBB21_71:                              ;   in Loop: Header=BB21_47 Depth=1
	v_mov_b32_e32 v11, s53
	ds_read_b32 v11, v11
	s_waitcnt lgkmcnt(0)
	v_add_u32_e32 v7, v11, v7
	s_or_b64 exec, exec, s[38:39]
	s_and_saveexec_b64 s[38:39], s[16:17]
	s_cbranch_execz .LBB21_56
.LBB21_72:                              ;   in Loop: Header=BB21_47 Depth=1
	v_mov_b32_e32 v11, s54
	ds_read_b32 v11, v11
	s_waitcnt lgkmcnt(0)
	v_add_u32_e32 v7, v11, v7
	s_or_b64 exec, exec, s[38:39]
	s_and_saveexec_b64 s[38:39], s[18:19]
	s_cbranch_execz .LBB21_57
.LBB21_73:                              ;   in Loop: Header=BB21_47 Depth=1
	v_mov_b32_e32 v11, s55
	ds_read_b32 v11, v11
	s_waitcnt lgkmcnt(0)
	v_add_u32_e32 v7, v11, v7
	s_or_b64 exec, exec, s[38:39]
	s_and_saveexec_b64 s[38:39], s[20:21]
	s_cbranch_execz .LBB21_58
.LBB21_74:                              ;   in Loop: Header=BB21_47 Depth=1
	v_mov_b32_e32 v11, s56
	ds_read_b32 v11, v11
	s_waitcnt lgkmcnt(0)
	v_add_u32_e32 v7, v11, v7
	s_or_b64 exec, exec, s[38:39]
	s_and_saveexec_b64 s[38:39], s[22:23]
	s_cbranch_execz .LBB21_59
.LBB21_75:                              ;   in Loop: Header=BB21_47 Depth=1
	v_mov_b32_e32 v11, s57
	ds_read_b32 v11, v11
	s_waitcnt lgkmcnt(0)
	v_add_u32_e32 v7, v11, v7
	s_or_b64 exec, exec, s[38:39]
	s_and_saveexec_b64 s[38:39], s[24:25]
	s_cbranch_execz .LBB21_60
.LBB21_76:                              ;   in Loop: Header=BB21_47 Depth=1
	v_mov_b32_e32 v11, s58
	ds_read_b32 v11, v11
	s_waitcnt lgkmcnt(0)
	v_add_u32_e32 v7, v11, v7
	s_or_b64 exec, exec, s[38:39]
	s_and_saveexec_b64 s[38:39], s[26:27]
	s_cbranch_execz .LBB21_61
.LBB21_77:                              ;   in Loop: Header=BB21_47 Depth=1
	v_mov_b32_e32 v11, s59
	ds_read_b32 v11, v11
	s_waitcnt lgkmcnt(0)
	v_add_u32_e32 v7, v11, v7
	s_or_b64 exec, exec, s[38:39]
	s_and_saveexec_b64 s[38:39], s[28:29]
	s_cbranch_execz .LBB21_62
.LBB21_78:                              ;   in Loop: Header=BB21_47 Depth=1
	v_mov_b32_e32 v11, s60
	ds_read_b32 v11, v11
	s_waitcnt lgkmcnt(0)
	v_add_u32_e32 v7, v11, v7
	s_or_b64 exec, exec, s[38:39]
	s_and_saveexec_b64 s[38:39], s[30:31]
	s_cbranch_execz .LBB21_63
.LBB21_79:                              ;   in Loop: Header=BB21_47 Depth=1
	v_add3_u32 v11, v4, -1, v7
	v_lshl_add_u32 v11, v11, 2, 0
	v_add_u32_e32 v12, 0x20000, v11
	ds_write_b32 v11, v9
	ds_write_b32 v12, v10
	s_or_b64 exec, exec, s[38:39]
	s_and_saveexec_b64 s[30:31], vcc
	s_cbranch_execz .LBB21_46
.LBB21_80:                              ;   in Loop: Header=BB21_47 Depth=1
	v_mov_b32_e32 v9, s61
	ds_write_b32 v9, v7
	s_branch .LBB21_46
.LBB21_81:
	s_or_b64 exec, exec, s[36:37]
	s_ashr_i32 s35, s34, 31
	s_lshl_b64 s[0:1], s[34:35], 2
	s_add_u32 s0, s42, s0
	s_addc_u32 s1, s43, s1
	s_load_dwordx2 s[0:1], s[0:1], 0x0
	s_waitcnt lgkmcnt(0)
	s_sub_i32 s14, s1, s0
	v_cmp_gt_i32_e32 vcc, s14, v0
	s_and_saveexec_b64 s[2:3], vcc
	s_cbranch_execz .LBB21_96
; %bb.82:
	s_sub_i32 s6, s0, s46
	s_add_i32 s0, s14, -2
	s_lshr_b32 s1, s0, 1
	s_add_i32 s2, s1, 1
	s_cmp_gt_u32 s14, 1
	s_cselect_b64 s[8:9], -1, 0
	s_and_b32 s15, s14, -2
	s_and_b32 s4, s2, 7
	s_cmp_gt_u32 s0, 13
	s_cselect_b64 s[0:1], -1, 0
	s_and_b32 s16, s2, -8
	s_cmp_lg_u32 s4, 0
	s_cselect_b64 s[2:3], -1, 0
	v_cndmask_b32_e64 v1, 0, 1, s[0:1]
	s_cmp_lg_u32 s14, s15
	v_cmp_ne_u32_e64 s[0:1], 1, v1
	v_cndmask_b32_e64 v1, 0, 1, s[2:3]
	s_mov_b32 s7, 0
	s_cselect_b64 s[10:11], -1, 0
	s_lshl_b32 s17, s4, 3
	s_mov_b64 s[12:13], 0
	v_cmp_ne_u32_e64 s[2:3], 1, v1
	v_mov_b32_e32 v1, s49
	v_mov_b32_e32 v4, s51
	s_branch .LBB21_84
.LBB21_83:                              ;   in Loop: Header=BB21_84 Depth=1
	v_ashrrev_i32_e32 v3, 31, v2
	v_lshlrev_b64 v[2:3], 2, v[2:3]
	s_waitcnt lgkmcnt(1)
	v_add_u32_e32 v8, s46, v6
	v_add_co_u32_e32 v6, vcc, s48, v2
	v_addc_co_u32_e32 v7, vcc, v1, v3, vcc
	v_add_co_u32_e32 v2, vcc, s50, v2
	v_addc_co_u32_e32 v3, vcc, v4, v3, vcc
	v_add_u32_e32 v0, 0x400, v0
	v_cmp_le_i32_e32 vcc, s14, v0
	s_or_b64 s[12:13], vcc, s[12:13]
	global_store_dword v[6:7], v8, off
	s_waitcnt lgkmcnt(0)
	global_store_dword v[2:3], v5, off
	s_andn2_b64 exec, exec, s[12:13]
	s_cbranch_execz .LBB21_96
.LBB21_84:                              ; =>This Loop Header: Depth=1
                                        ;     Child Loop BB21_87 Depth 2
                                        ;     Child Loop BB21_92 Depth 2
	;; [unrolled: 1-line block ×3, first 2 shown]
	v_lshl_add_u32 v2, v0, 2, 0
	v_add_u32_e32 v3, 0x20000, v2
	ds_read_b32 v6, v2
	ds_read_b32 v5, v3
	s_and_b64 vcc, exec, s[8:9]
	s_cbranch_vccz .LBB21_89
; %bb.85:                               ;   in Loop: Header=BB21_84 Depth=1
	s_and_b64 vcc, exec, s[0:1]
	s_cbranch_vccnz .LBB21_90
; %bb.86:                               ;   in Loop: Header=BB21_84 Depth=1
	s_mov_b32 s19, 0
	v_mov_b32_e32 v2, s6
	v_mov_b32_e32 v3, 0
	s_mov_b32 s20, s16
	s_mov_b32 s18, 0
.LBB21_87:                              ;   Parent Loop BB21_84 Depth=1
                                        ; =>  This Inner Loop Header: Depth=2
	v_mov_b32_e32 v7, s19
	ds_read2_b32 v[8:9], v7 offset1:1
	ds_read2_b32 v[10:11], v7 offset0:2 offset1:3
	ds_read2_b32 v[12:13], v7 offset0:4 offset1:5
	;; [unrolled: 1-line block ×7, first 2 shown]
	s_waitcnt lgkmcnt(7)
	v_cmp_gt_i32_e32 vcc, v6, v9
	s_waitcnt lgkmcnt(5)
	v_cmp_gt_i32_e64 s[4:5], v6, v12
	v_cndmask_b32_e64 v7, 0, 1, vcc
	v_cmp_gt_i32_e32 vcc, v6, v8
	v_cndmask_b32_e64 v9, 0, 1, s[4:5]
	v_cmp_gt_i32_e64 s[4:5], v6, v13
	v_cndmask_b32_e64 v8, 0, 1, vcc
	v_cmp_gt_i32_e32 vcc, v6, v11
	v_cndmask_b32_e64 v11, 0, 1, s[4:5]
	s_waitcnt lgkmcnt(3)
	v_cmp_gt_i32_e64 s[4:5], v6, v17
	v_cndmask_b32_e64 v12, 0, 1, s[4:5]
	v_cmp_gt_i32_e64 s[4:5], v6, v16
	v_cndmask_b32_e64 v13, 0, 1, s[4:5]
	s_waitcnt lgkmcnt(1)
	v_cmp_gt_i32_e64 s[4:5], v6, v20
	v_cndmask_b32_e64 v16, 0, 1, s[4:5]
	v_cmp_gt_i32_e64 s[4:5], v6, v21
	v_cndmask_b32_e64 v17, 0, 1, s[4:5]
	v_cmp_gt_i32_e64 s[4:5], v6, v10
	v_addc_co_u32_e64 v2, s[4:5], v2, v8, s[4:5]
	v_addc_co_u32_e32 v3, vcc, v3, v7, vcc
	v_cmp_gt_i32_e32 vcc, v6, v14
	v_cmp_gt_i32_e64 s[4:5], v6, v15
	v_addc_co_u32_e64 v3, s[4:5], v3, v11, s[4:5]
	v_addc_co_u32_e32 v2, vcc, v2, v9, vcc
	v_cmp_gt_i32_e32 vcc, v6, v19
	v_cmp_gt_i32_e64 s[4:5], v6, v18
	v_addc_co_u32_e64 v2, s[4:5], v2, v13, s[4:5]
	v_addc_co_u32_e32 v3, vcc, v3, v12, vcc
	s_add_i32 s18, s18, 16
	s_add_i32 s19, s19, 64
	s_add_i32 s20, s20, -8
	s_waitcnt lgkmcnt(0)
	v_cmp_gt_i32_e32 vcc, v6, v22
	v_cmp_gt_i32_e64 s[4:5], v6, v23
	s_cmp_lg_u32 s20, 0
	v_addc_co_u32_e64 v3, s[4:5], v3, v17, s[4:5]
	v_addc_co_u32_e32 v2, vcc, v2, v16, vcc
	s_cbranch_scc1 .LBB21_87
; %bb.88:                               ;   in Loop: Header=BB21_84 Depth=1
	s_and_b64 vcc, exec, s[2:3]
	s_cbranch_vccz .LBB21_91
	s_branch .LBB21_93
.LBB21_89:                              ;   in Loop: Header=BB21_84 Depth=1
	v_mov_b32_e32 v2, s6
	s_mov_b32 s18, 0
	s_cbranch_execz .LBB21_83
	s_branch .LBB21_94
.LBB21_90:                              ;   in Loop: Header=BB21_84 Depth=1
	v_pk_mov_b32 v[2:3], s[6:7], s[6:7] op_sel:[0,1]
	s_mov_b32 s18, 0
	s_and_b64 vcc, exec, s[2:3]
	s_cbranch_vccnz .LBB21_93
.LBB21_91:                              ;   in Loop: Header=BB21_84 Depth=1
	s_lshl_b32 s4, s18, 2
	s_add_i32 s4, s4, 0
	s_mov_b32 s5, s17
.LBB21_92:                              ;   Parent Loop BB21_84 Depth=1
                                        ; =>  This Inner Loop Header: Depth=2
	v_mov_b32_e32 v7, s4
	ds_read2_b32 v[8:9], v7 offset1:1
	s_add_i32 s4, s4, 8
	s_add_i32 s5, s5, -8
	s_cmp_lg_u32 s5, 0
	s_waitcnt lgkmcnt(0)
	v_cmp_gt_i32_e32 vcc, v6, v9
	v_addc_co_u32_e32 v3, vcc, 0, v3, vcc
	v_cmp_gt_i32_e32 vcc, v6, v8
	v_addc_co_u32_e32 v2, vcc, 0, v2, vcc
	s_cbranch_scc1 .LBB21_92
.LBB21_93:                              ;   in Loop: Header=BB21_84 Depth=1
	v_add_u32_e32 v2, v2, v3
	s_mov_b32 s18, s15
	s_mov_b64 s[4:5], s[10:11]
	s_and_b64 vcc, exec, s[4:5]
	s_cbranch_vccz .LBB21_83
.LBB21_94:                              ;   in Loop: Header=BB21_84 Depth=1
	s_lshl_b32 s4, s18, 2
	s_add_i32 s4, s4, 0
.LBB21_95:                              ;   Parent Loop BB21_84 Depth=1
                                        ; =>  This Inner Loop Header: Depth=2
	v_mov_b32_e32 v3, s4
	ds_read_b32 v3, v3
	s_add_i32 s18, s18, 1
	s_add_i32 s4, s4, 4
	s_cmp_ge_i32 s18, s14
	s_waitcnt lgkmcnt(0)
	v_cmp_gt_i32_e32 vcc, v6, v3
	v_addc_co_u32_e32 v2, vcc, 0, v2, vcc
	s_cbranch_scc0 .LBB21_95
	s_branch .LBB21_83
.LBB21_96:
	s_endpgm
	.section	.rodata,"a",@progbits
	.p2align	6, 0x0
	.amdhsa_kernel _ZN9rocsparseL26csrgemm_fill_block_per_rowILj1024ELj64ELj32768ELj137ELj64EiifEEvT5_PKS1_S3_NS_24const_host_device_scalarIT6_EEPKT4_S3_PKS5_S9_S3_SB_S6_S9_S3_SB_S9_PS1_PS5_21rocsparse_index_base_SE_SE_SE_bbb
		.amdhsa_group_segment_fixed_size 0
		.amdhsa_private_segment_fixed_size 0
		.amdhsa_kernarg_size 156
		.amdhsa_user_sgpr_count 6
		.amdhsa_user_sgpr_private_segment_buffer 1
		.amdhsa_user_sgpr_dispatch_ptr 0
		.amdhsa_user_sgpr_queue_ptr 0
		.amdhsa_user_sgpr_kernarg_segment_ptr 1
		.amdhsa_user_sgpr_dispatch_id 0
		.amdhsa_user_sgpr_flat_scratch_init 0
		.amdhsa_user_sgpr_kernarg_preload_length 0
		.amdhsa_user_sgpr_kernarg_preload_offset 0
		.amdhsa_user_sgpr_private_segment_size 0
		.amdhsa_uses_dynamic_stack 0
		.amdhsa_system_sgpr_private_segment_wavefront_offset 0
		.amdhsa_system_sgpr_workgroup_id_x 1
		.amdhsa_system_sgpr_workgroup_id_y 0
		.amdhsa_system_sgpr_workgroup_id_z 0
		.amdhsa_system_sgpr_workgroup_info 0
		.amdhsa_system_vgpr_workitem_id 0
		.amdhsa_next_free_vgpr 24
		.amdhsa_next_free_sgpr 63
		.amdhsa_accum_offset 24
		.amdhsa_reserve_vcc 1
		.amdhsa_reserve_flat_scratch 0
		.amdhsa_float_round_mode_32 0
		.amdhsa_float_round_mode_16_64 0
		.amdhsa_float_denorm_mode_32 3
		.amdhsa_float_denorm_mode_16_64 3
		.amdhsa_dx10_clamp 1
		.amdhsa_ieee_mode 1
		.amdhsa_fp16_overflow 0
		.amdhsa_tg_split 0
		.amdhsa_exception_fp_ieee_invalid_op 0
		.amdhsa_exception_fp_denorm_src 0
		.amdhsa_exception_fp_ieee_div_zero 0
		.amdhsa_exception_fp_ieee_overflow 0
		.amdhsa_exception_fp_ieee_underflow 0
		.amdhsa_exception_fp_ieee_inexact 0
		.amdhsa_exception_int_div_zero 0
	.end_amdhsa_kernel
	.section	.text._ZN9rocsparseL26csrgemm_fill_block_per_rowILj1024ELj64ELj32768ELj137ELj64EiifEEvT5_PKS1_S3_NS_24const_host_device_scalarIT6_EEPKT4_S3_PKS5_S9_S3_SB_S6_S9_S3_SB_S9_PS1_PS5_21rocsparse_index_base_SE_SE_SE_bbb,"axG",@progbits,_ZN9rocsparseL26csrgemm_fill_block_per_rowILj1024ELj64ELj32768ELj137ELj64EiifEEvT5_PKS1_S3_NS_24const_host_device_scalarIT6_EEPKT4_S3_PKS5_S9_S3_SB_S6_S9_S3_SB_S9_PS1_PS5_21rocsparse_index_base_SE_SE_SE_bbb,comdat
.Lfunc_end21:
	.size	_ZN9rocsparseL26csrgemm_fill_block_per_rowILj1024ELj64ELj32768ELj137ELj64EiifEEvT5_PKS1_S3_NS_24const_host_device_scalarIT6_EEPKT4_S3_PKS5_S9_S3_SB_S6_S9_S3_SB_S9_PS1_PS5_21rocsparse_index_base_SE_SE_SE_bbb, .Lfunc_end21-_ZN9rocsparseL26csrgemm_fill_block_per_rowILj1024ELj64ELj32768ELj137ELj64EiifEEvT5_PKS1_S3_NS_24const_host_device_scalarIT6_EEPKT4_S3_PKS5_S9_S3_SB_S6_S9_S3_SB_S9_PS1_PS5_21rocsparse_index_base_SE_SE_SE_bbb
                                        ; -- End function
	.section	.AMDGPU.csdata,"",@progbits
; Kernel info:
; codeLenInByte = 3428
; NumSgprs: 67
; NumVgprs: 24
; NumAgprs: 0
; TotalNumVgprs: 24
; ScratchSize: 0
; MemoryBound: 0
; FloatMode: 240
; IeeeMode: 1
; LDSByteSize: 0 bytes/workgroup (compile time only)
; SGPRBlocks: 8
; VGPRBlocks: 2
; NumSGPRsForWavesPerEU: 67
; NumVGPRsForWavesPerEU: 24
; AccumOffset: 24
; Occupancy: 8
; WaveLimiterHint : 1
; COMPUTE_PGM_RSRC2:SCRATCH_EN: 0
; COMPUTE_PGM_RSRC2:USER_SGPR: 6
; COMPUTE_PGM_RSRC2:TRAP_HANDLER: 0
; COMPUTE_PGM_RSRC2:TGID_X_EN: 1
; COMPUTE_PGM_RSRC2:TGID_Y_EN: 0
; COMPUTE_PGM_RSRC2:TGID_Z_EN: 0
; COMPUTE_PGM_RSRC2:TIDIG_COMP_CNT: 0
; COMPUTE_PGM_RSRC3_GFX90A:ACCUM_OFFSET: 5
; COMPUTE_PGM_RSRC3_GFX90A:TG_SPLIT: 0
	.section	.text._ZN9rocsparseL36csrgemm_fill_block_per_row_multipassILj512ELj16ELj2048ELj32EiifEEvT4_PKS1_S3_NS_24const_host_device_scalarIT5_EEPKT3_S3_PKS5_S9_S3_SB_S6_S9_S3_SB_S9_PS1_PS5_PS7_21rocsparse_index_base_SF_SF_SF_bbb,"axG",@progbits,_ZN9rocsparseL36csrgemm_fill_block_per_row_multipassILj512ELj16ELj2048ELj32EiifEEvT4_PKS1_S3_NS_24const_host_device_scalarIT5_EEPKT3_S3_PKS5_S9_S3_SB_S6_S9_S3_SB_S9_PS1_PS5_PS7_21rocsparse_index_base_SF_SF_SF_bbb,comdat
	.globl	_ZN9rocsparseL36csrgemm_fill_block_per_row_multipassILj512ELj16ELj2048ELj32EiifEEvT4_PKS1_S3_NS_24const_host_device_scalarIT5_EEPKT3_S3_PKS5_S9_S3_SB_S6_S9_S3_SB_S9_PS1_PS5_PS7_21rocsparse_index_base_SF_SF_SF_bbb ; -- Begin function _ZN9rocsparseL36csrgemm_fill_block_per_row_multipassILj512ELj16ELj2048ELj32EiifEEvT4_PKS1_S3_NS_24const_host_device_scalarIT5_EEPKT3_S3_PKS5_S9_S3_SB_S6_S9_S3_SB_S9_PS1_PS5_PS7_21rocsparse_index_base_SF_SF_SF_bbb
	.p2align	8
	.type	_ZN9rocsparseL36csrgemm_fill_block_per_row_multipassILj512ELj16ELj2048ELj32EiifEEvT4_PKS1_S3_NS_24const_host_device_scalarIT5_EEPKT3_S3_PKS5_S9_S3_SB_S6_S9_S3_SB_S9_PS1_PS5_PS7_21rocsparse_index_base_SF_SF_SF_bbb,@function
_ZN9rocsparseL36csrgemm_fill_block_per_row_multipassILj512ELj16ELj2048ELj32EiifEEvT4_PKS1_S3_NS_24const_host_device_scalarIT5_EEPKT3_S3_PKS5_S9_S3_SB_S6_S9_S3_SB_S9_PS1_PS5_PS7_21rocsparse_index_base_SF_SF_SF_bbb: ; @_ZN9rocsparseL36csrgemm_fill_block_per_row_multipassILj512ELj16ELj2048ELj32EiifEEvT4_PKS1_S3_NS_24const_host_device_scalarIT5_EEPKT3_S3_PKS5_S9_S3_SB_S6_S9_S3_SB_S9_PS1_PS5_PS7_21rocsparse_index_base_SF_SF_SF_bbb
; %bb.0:
	s_load_dword s7, s[4:5], 0xa0
	s_load_dwordx4 s[12:15], s[4:5], 0x8
	s_load_dwordx2 s[0:1], s[4:5], 0x18
	s_load_dwordx4 s[56:59], s[4:5], 0x90
	s_load_dwordx2 s[2:3], s[4:5], 0x50
	s_waitcnt lgkmcnt(0)
	s_bitcmp1_b32 s7, 0
	s_cselect_b64 s[8:9], -1, 0
	s_bitcmp1_b32 s7, 16
	s_cselect_b64 s[10:11], -1, 0
	s_xor_b64 s[16:17], s[8:9], -1
	s_or_b64 s[16:17], s[16:17], s[10:11]
	s_and_b64 vcc, exec, s[16:17]
	s_cbranch_vccnz .LBB22_2
; %bb.1:
	s_load_dword s0, s[0:1], 0x0
	s_waitcnt lgkmcnt(0)
	v_mov_b32_e32 v1, s0
	s_branch .LBB22_3
.LBB22_2:
	v_mov_b32_e32 v1, s0
	v_cndmask_b32_e64 v1, 0, v1, s[8:9]
.LBB22_3:
	s_load_dwordx2 s[16:17], s[4:5], 0x20
	s_bitcmp1_b32 s7, 8
	s_cselect_b64 s[0:1], -1, 0
	s_xor_b64 s[18:19], s[0:1], -1
	s_or_b64 s[10:11], s[18:19], s[10:11]
	s_mov_b32 s7, 0
	s_and_b64 vcc, exec, s[10:11]
	s_cbranch_vccnz .LBB22_5
; %bb.4:
	s_load_dword s2, s[2:3], 0x0
	s_waitcnt lgkmcnt(0)
	v_mov_b32_e32 v12, s2
	s_branch .LBB22_6
.LBB22_5:
	v_mov_b32_e32 v2, s2
	v_cndmask_b32_e64 v12, 0, v2, s[0:1]
.LBB22_6:
	s_load_dword s2, s[12:13], 0x0
	v_cndmask_b32_e64 v2, 0, 1, s[8:9]
	s_waitcnt lgkmcnt(0)
	s_add_i32 s6, s2, s6
	s_lshl_b64 s[2:3], s[6:7], 2
	s_add_u32 s2, s14, s2
	s_addc_u32 s3, s15, s3
	s_load_dword s10, s[2:3], 0x0
	v_cmp_ne_u32_e64 s[2:3], 1, v2
	s_andn2_b64 vcc, exec, s[8:9]
	s_cbranch_vccz .LBB22_9
; %bb.7:
	s_and_b64 vcc, exec, s[2:3]
	s_mov_b32 s33, 0
	s_cbranch_vccz .LBB22_10
.LBB22_8:
	s_load_dword s88, s[4:5], 0x0
	s_waitcnt lgkmcnt(0)
	s_cmp_lt_i32 s88, 1
	s_cbranch_scc0 .LBB22_11
	s_branch .LBB22_64
.LBB22_9:
	s_waitcnt lgkmcnt(0)
	s_ashr_i32 s11, s10, 31
	s_lshl_b64 s[6:7], s[10:11], 2
	s_add_u32 s6, s16, s6
	s_addc_u32 s7, s17, s7
	s_load_dword s6, s[6:7], 0x0
	s_waitcnt lgkmcnt(0)
	s_sub_i32 s7, s6, s56
	s_and_b64 vcc, exec, s[2:3]
	s_mov_b32 s33, 0
	s_cbranch_vccnz .LBB22_8
.LBB22_10:
	s_waitcnt lgkmcnt(0)
	s_ashr_i32 s11, s10, 31
	s_lshl_b64 s[2:3], s[10:11], 2
	s_add_u32 s2, s16, s2
	s_addc_u32 s3, s17, s3
	s_load_dword s2, s[2:3], 0x4
	s_waitcnt lgkmcnt(0)
	s_sub_i32 s33, s2, s56
	s_load_dword s88, s[4:5], 0x0
	s_waitcnt lgkmcnt(0)
	s_cmp_lt_i32 s88, 1
	s_cbranch_scc1 .LBB22_64
.LBB22_11:
	s_load_dwordx8 s[40:47], s[4:5], 0x58
	s_load_dwordx2 s[64:65], s[4:5], 0x88
	s_load_dwordx4 s[60:63], s[4:5], 0x78
	s_ashr_i32 s11, s10, 31
	s_lshl_b64 s[10:11], s[10:11], 2
	s_waitcnt lgkmcnt(0)
	s_add_u32 s2, s46, s10
	s_addc_u32 s3, s47, s11
	s_load_dword s6, s[2:3], 0x0
	s_load_dwordx2 s[46:47], s[4:5], 0x48
	s_load_dwordx8 s[48:55], s[4:5], 0x28
	v_lshrrev_b32_e32 v2, 4, v0
	v_add_u32_e32 v14, s7, v2
	s_waitcnt lgkmcnt(0)
	s_sub_i32 s70, s6, s58
	v_cmp_gt_i32_e32 vcc, s33, v14
	s_add_u32 s66, s40, s10
	v_mbcnt_lo_u32_b32 v2, -1, 0
	s_addc_u32 s67, s41, s11
	v_mbcnt_hi_u32_b32 v2, -1, v2
	s_and_b64 s[68:69], s[8:9], vcc
	v_and_b32_e32 v13, 15, v0
	v_sub_u32_e32 v2, 63, v2
	v_lshrrev_b32_e32 v4, 3, v0
	s_movk_i32 s6, 0x1ff
	s_movk_i32 s12, 0x60
	;; [unrolled: 1-line block ×14, first 2 shown]
	s_add_u32 s89, s52, 4
	s_mov_b32 s92, 0
	v_cmp_eq_u32_e64 s[2:3], 0, v0
	v_cmp_eq_u32_e64 s[4:5], 15, v13
	v_subrev_u32_e32 v15, s59, v0
	v_mov_b32_e32 v16, 0
	v_lshrrev_b64 v[2:3], v2, -1
	v_and_b32_e32 v17, 60, v4
	v_cmp_eq_u32_e64 s[6:7], s6, v0
	v_cmp_gt_u32_e64 s[8:9], 32, v0
	v_cmp_gt_u32_e64 s[10:11], 64, v0
	;; [unrolled: 1-line block ×15, first 2 shown]
	s_addc_u32 s90, s53, 0
	v_or_b32_e32 v18, 0xfffffe00, v0
	v_lshlrev_b32_e32 v19, 2, v0
	v_mov_b32_e32 v22, 0x800
	v_mov_b32_e32 v20, s70
	s_movk_i32 s91, 0x5ff
	v_mov_b32_e32 v21, 1
	s_branch .LBB22_13
.LBB22_12:                              ;   in Loop: Header=BB22_13 Depth=1
	s_or_b64 exec, exec, s[40:41]
	ds_read_b32 v4, v16 offset:10240
	s_waitcnt lgkmcnt(0)
	s_barrier
	v_cmp_le_i32_e32 vcc, s88, v4
	v_readfirstlane_b32 s92, v4
	v_add_u32_e32 v22, 0x800, v4
	s_cbranch_vccnz .LBB22_64
.LBB22_13:                              ; =>This Loop Header: Depth=1
                                        ;     Child Loop BB22_14 Depth 2
                                        ;     Child Loop BB22_20 Depth 2
                                        ;       Child Loop BB22_26 Depth 3
                                        ;     Child Loop BB22_43 Depth 2
                                        ;     Child Loop BB22_55 Depth 2
	;; [unrolled: 1-line block ×3, first 2 shown]
	s_mov_b64 s[40:41], 0
	v_mov_b32_e32 v4, v19
	v_mov_b32_e32 v5, v18
.LBB22_14:                              ;   Parent Loop BB22_13 Depth=1
                                        ; =>  This Inner Loop Header: Depth=2
	ds_write_b8 v5, v16 offset:8704
	ds_write_b32 v4, v16
	v_add_u32_e32 v5, 0x200, v5
	v_cmp_lt_u32_e32 vcc, s91, v5
	s_or_b64 s[40:41], vcc, s[40:41]
	v_add_u32_e32 v4, 0x800, v4
	s_andn2_b64 exec, exec, s[40:41]
	s_cbranch_execnz .LBB22_14
; %bb.15:                               ;   in Loop: Header=BB22_13 Depth=1
	s_or_b64 exec, exec, s[40:41]
	s_and_saveexec_b64 s[40:41], s[2:3]
	s_cbranch_execz .LBB22_17
; %bb.16:                               ;   in Loop: Header=BB22_13 Depth=1
	v_mov_b32_e32 v4, s88
	ds_write_b32 v16, v4 offset:10240
.LBB22_17:                              ;   in Loop: Header=BB22_13 Depth=1
	s_or_b64 exec, exec, s[40:41]
	v_mov_b32_e32 v23, s88
	s_waitcnt lgkmcnt(0)
	s_barrier
	s_and_saveexec_b64 s[70:71], s[68:69]
	s_cbranch_execz .LBB22_39
; %bb.18:                               ;   in Loop: Header=BB22_13 Depth=1
	s_cmp_lg_u32 s92, 0
	s_mov_b64 s[72:73], 0
	s_cselect_b64 s[74:75], -1, 0
	v_mov_b32_e32 v23, s88
	v_mov_b32_e32 v4, v14
	s_branch .LBB22_20
.LBB22_19:                              ;   in Loop: Header=BB22_20 Depth=2
	s_or_b64 exec, exec, s[40:41]
	v_add_u32_e32 v4, 32, v4
	v_cmp_le_i32_e32 vcc, s33, v4
	s_or_b64 s[72:73], vcc, s[72:73]
	s_andn2_b64 exec, exec, s[72:73]
	s_cbranch_execz .LBB22_38
.LBB22_20:                              ;   Parent Loop BB22_13 Depth=1
                                        ; =>  This Loop Header: Depth=2
                                        ;       Child Loop BB22_26 Depth 3
	v_ashrrev_i32_e32 v5, 31, v4
	v_lshlrev_b64 v[6:7], 2, v[4:5]
	v_mov_b32_e32 v5, s49
	v_add_co_u32_e32 v8, vcc, s48, v6
	v_addc_co_u32_e32 v9, vcc, v5, v7, vcc
	global_load_dword v5, v[8:9], off
	v_mov_b32_e32 v9, s51
	v_add_co_u32_e32 v8, vcc, s50, v6
	v_addc_co_u32_e32 v9, vcc, v9, v7, vcc
	global_load_dword v10, v[8:9], off
	s_and_b64 vcc, exec, s[74:75]
	s_waitcnt vmcnt(1)
	v_subrev_u32_e32 v8, s56, v5
	v_ashrrev_i32_e32 v9, 31, v8
	s_cbranch_vccz .LBB22_37
; %bb.21:                               ;   in Loop: Header=BB22_20 Depth=2
	v_mov_b32_e32 v5, s65
	v_add_co_u32_e32 v24, vcc, s64, v6
	v_addc_co_u32_e32 v25, vcc, v5, v7, vcc
	global_load_dword v5, v[24:25], off
	s_cbranch_execnz .LBB22_23
.LBB22_22:                              ;   in Loop: Header=BB22_20 Depth=2
	v_lshlrev_b64 v[24:25], 2, v[8:9]
	s_waitcnt vmcnt(0)
	v_mov_b32_e32 v5, s53
	v_add_co_u32_e32 v24, vcc, s52, v24
	v_addc_co_u32_e32 v25, vcc, v5, v25, vcc
	global_load_dword v5, v[24:25], off
	s_waitcnt vmcnt(0)
	v_subrev_u32_e32 v5, s57, v5
.LBB22_23:                              ;   in Loop: Header=BB22_20 Depth=2
	v_lshlrev_b64 v[8:9], 2, v[8:9]
	v_mov_b32_e32 v11, s90
	v_add_co_u32_e32 v8, vcc, s89, v8
	v_addc_co_u32_e32 v9, vcc, v11, v9, vcc
	global_load_dword v8, v[8:9], off
	s_waitcnt vmcnt(1)
	v_add_u32_e32 v5, v5, v13
	s_waitcnt vmcnt(0)
	v_subrev_u32_e32 v24, s57, v8
	v_cmp_lt_i32_e32 vcc, v5, v24
	s_and_saveexec_b64 s[76:77], vcc
	s_cbranch_execz .LBB22_35
; %bb.24:                               ;   in Loop: Header=BB22_20 Depth=2
	v_mul_f32_e32 v25, v1, v10
	s_mov_b64 s[80:81], 0
	v_mov_b32_e32 v8, v5
                                        ; implicit-def: $sgpr78_sgpr79
                                        ; implicit-def: $sgpr82_sgpr83
	s_branch .LBB22_26
.LBB22_25:                              ;   in Loop: Header=BB22_26 Depth=3
	s_or_b64 exec, exec, s[84:85]
	s_and_b64 s[40:41], exec, s[86:87]
	s_or_b64 s[80:81], s[40:41], s[80:81]
	s_andn2_b64 s[40:41], s[78:79], exec
	s_and_b64 s[78:79], s[82:83], exec
	s_or_b64 s[78:79], s[40:41], s[78:79]
	v_mov_b32_e32 v8, v11
	s_andn2_b64 exec, exec, s[80:81]
	s_cbranch_execz .LBB22_32
.LBB22_26:                              ;   Parent Loop BB22_13 Depth=1
                                        ;     Parent Loop BB22_20 Depth=2
                                        ; =>    This Inner Loop Header: Depth=3
	v_ashrrev_i32_e32 v9, 31, v8
	v_lshlrev_b64 v[10:11], 2, v[8:9]
	v_mov_b32_e32 v9, s55
	v_add_co_u32_e32 v26, vcc, s54, v10
	v_addc_co_u32_e32 v27, vcc, v9, v11, vcc
	global_load_dword v9, v[26:27], off
                                        ; implicit-def: $sgpr84_sgpr85
	s_waitcnt vmcnt(0)
	v_subrev_u32_e32 v9, s57, v9
	v_cmp_gt_i32_e32 vcc, s92, v9
	v_cmp_ge_i32_e64 s[40:41], v9, v22
	s_or_b64 s[86:87], vcc, s[40:41]
	s_mov_b64 s[40:41], 0
	s_and_saveexec_b64 s[94:95], s[86:87]
	s_xor_b64 s[86:87], exec, s[94:95]
; %bb.27:                               ;   in Loop: Header=BB22_26 Depth=3
	v_cmp_lt_i32_e32 vcc, v9, v22
	s_mov_b64 s[84:85], -1
	s_and_b64 s[40:41], vcc, exec
                                        ; implicit-def: $vgpr10_vgpr11
; %bb.28:                               ;   in Loop: Header=BB22_26 Depth=3
	s_andn2_saveexec_b64 s[86:87], s[86:87]
	s_cbranch_execz .LBB22_30
; %bb.29:                               ;   in Loop: Header=BB22_26 Depth=3
	v_mov_b32_e32 v26, s47
	v_add_co_u32_e32 v10, vcc, s46, v10
	v_addc_co_u32_e32 v11, vcc, v26, v11, vcc
	global_load_dword v10, v[10:11], off
	v_subrev_u32_e32 v11, s92, v9
	ds_write_b8 v11, v21 offset:8192
	v_lshlrev_b32_e32 v11, 2, v11
	s_or_b64 s[40:41], s[40:41], exec
	s_waitcnt vmcnt(0)
	v_mul_f32_e32 v10, v25, v10
	ds_add_f32 v11, v10
.LBB22_30:                              ;   in Loop: Header=BB22_26 Depth=3
	s_or_b64 exec, exec, s[86:87]
	s_andn2_b64 s[82:83], s[82:83], exec
	s_and_b64 s[84:85], s[84:85], exec
	s_mov_b64 s[86:87], -1
	s_or_b64 s[82:83], s[82:83], s[84:85]
	v_mov_b32_e32 v10, v8
                                        ; implicit-def: $vgpr11
	s_and_saveexec_b64 s[84:85], s[40:41]
	s_cbranch_execz .LBB22_25
; %bb.31:                               ;   in Loop: Header=BB22_26 Depth=3
	v_add_u32_e32 v11, 16, v8
	v_cmp_ge_i32_e32 vcc, v11, v24
	s_andn2_b64 s[82:83], s[82:83], exec
	s_orn2_b64 s[86:87], vcc, exec
	v_mov_b32_e32 v10, v8
	s_branch .LBB22_25
.LBB22_32:                              ;   in Loop: Header=BB22_20 Depth=2
	s_or_b64 exec, exec, s[80:81]
	s_and_saveexec_b64 s[40:41], s[78:79]
	s_xor_b64 s[40:41], exec, s[40:41]
; %bb.33:                               ;   in Loop: Header=BB22_20 Depth=2
	v_min_i32_e32 v23, v9, v23
	v_mov_b32_e32 v5, v10
; %bb.34:                               ;   in Loop: Header=BB22_20 Depth=2
	s_or_b64 exec, exec, s[40:41]
.LBB22_35:                              ;   in Loop: Header=BB22_20 Depth=2
	s_or_b64 exec, exec, s[76:77]
	v_mov_b32_dpp v8, v5 row_shr:1 row_mask:0xf bank_mask:0xf
	v_min_i32_e32 v5, v8, v5
	s_nop 1
	v_mov_b32_dpp v8, v5 row_shr:2 row_mask:0xf bank_mask:0xf
	v_min_i32_e32 v5, v8, v5
	s_nop 1
	v_mov_b32_dpp v8, v5 row_shr:4 row_mask:0xf bank_mask:0xe
	v_min_i32_e32 v5, v8, v5
	s_nop 1
	v_mov_b32_dpp v8, v5 row_shr:8 row_mask:0xf bank_mask:0xc
	s_and_saveexec_b64 s[40:41], s[4:5]
	s_cbranch_execz .LBB22_19
; %bb.36:                               ;   in Loop: Header=BB22_20 Depth=2
	v_min_i32_e32 v5, v8, v5
	v_mov_b32_e32 v8, s65
	v_add_co_u32_e32 v6, vcc, s64, v6
	v_addc_co_u32_e32 v7, vcc, v8, v7, vcc
	global_store_dword v[6:7], v5, off
	s_branch .LBB22_19
.LBB22_37:                              ;   in Loop: Header=BB22_20 Depth=2
                                        ; implicit-def: $vgpr5
	s_branch .LBB22_22
.LBB22_38:                              ;   in Loop: Header=BB22_13 Depth=1
	s_or_b64 exec, exec, s[72:73]
.LBB22_39:                              ;   in Loop: Header=BB22_13 Depth=1
	s_or_b64 exec, exec, s[70:71]
	s_andn2_b64 vcc, exec, s[0:1]
	s_cbranch_vccnz .LBB22_53
; %bb.40:                               ;   in Loop: Header=BB22_13 Depth=1
	s_load_dwordx2 s[40:41], s[66:67], 0x0
	s_waitcnt lgkmcnt(0)
	s_sub_i32 s82, s41, s59
	v_add_u32_e32 v4, s40, v15
	v_cmp_gt_i32_e32 vcc, s82, v4
	s_and_saveexec_b64 s[70:71], vcc
	s_cbranch_execz .LBB22_52
; %bb.41:                               ;   in Loop: Header=BB22_13 Depth=1
	s_mov_b64 s[72:73], 0
                                        ; implicit-def: $sgpr74_sgpr75
                                        ; implicit-def: $sgpr76_sgpr77
	s_branch .LBB22_43
.LBB22_42:                              ;   in Loop: Header=BB22_43 Depth=2
	s_or_b64 exec, exec, s[78:79]
	s_and_b64 s[40:41], exec, s[80:81]
	s_or_b64 s[72:73], s[40:41], s[72:73]
	s_andn2_b64 s[40:41], s[74:75], exec
	s_and_b64 s[74:75], s[76:77], exec
	s_or_b64 s[74:75], s[40:41], s[74:75]
	s_andn2_b64 exec, exec, s[72:73]
	s_cbranch_execz .LBB22_49
.LBB22_43:                              ;   Parent Loop BB22_13 Depth=1
                                        ; =>  This Inner Loop Header: Depth=2
	v_ashrrev_i32_e32 v5, 31, v4
	v_lshlrev_b64 v[6:7], 2, v[4:5]
	v_mov_b32_e32 v5, s43
	v_add_co_u32_e32 v8, vcc, s42, v6
	v_addc_co_u32_e32 v9, vcc, v5, v7, vcc
	global_load_dword v5, v[8:9], off
                                        ; implicit-def: $sgpr78_sgpr79
	s_waitcnt vmcnt(0)
	v_subrev_u32_e32 v5, s59, v5
	v_cmp_gt_i32_e32 vcc, s92, v5
	v_cmp_ge_i32_e64 s[40:41], v5, v22
	s_or_b64 s[80:81], vcc, s[40:41]
	s_mov_b64 s[40:41], 0
	s_and_saveexec_b64 s[84:85], s[80:81]
	s_xor_b64 s[80:81], exec, s[84:85]
; %bb.44:                               ;   in Loop: Header=BB22_43 Depth=2
	v_cmp_lt_i32_e32 vcc, v5, v22
	s_mov_b64 s[78:79], -1
	s_and_b64 s[40:41], vcc, exec
                                        ; implicit-def: $vgpr6_vgpr7
; %bb.45:                               ;   in Loop: Header=BB22_43 Depth=2
	s_andn2_saveexec_b64 s[80:81], s[80:81]
	s_cbranch_execz .LBB22_47
; %bb.46:                               ;   in Loop: Header=BB22_43 Depth=2
	v_mov_b32_e32 v8, s45
	v_add_co_u32_e32 v6, vcc, s44, v6
	v_addc_co_u32_e32 v7, vcc, v8, v7, vcc
	global_load_dword v6, v[6:7], off
	v_subrev_u32_e32 v7, s92, v5
	ds_write_b8 v7, v21 offset:8192
	v_lshlrev_b32_e32 v7, 2, v7
	s_or_b64 s[40:41], s[40:41], exec
	s_waitcnt vmcnt(0)
	v_mul_f32_e32 v6, v12, v6
	ds_add_f32 v7, v6
.LBB22_47:                              ;   in Loop: Header=BB22_43 Depth=2
	s_or_b64 exec, exec, s[80:81]
	s_andn2_b64 s[76:77], s[76:77], exec
	s_and_b64 s[78:79], s[78:79], exec
	s_mov_b64 s[80:81], -1
	s_or_b64 s[76:77], s[76:77], s[78:79]
	s_and_saveexec_b64 s[78:79], s[40:41]
	s_cbranch_execz .LBB22_42
; %bb.48:                               ;   in Loop: Header=BB22_43 Depth=2
	v_add_u32_e32 v4, 0x200, v4
	v_cmp_le_i32_e32 vcc, s82, v4
	s_andn2_b64 s[76:77], s[76:77], exec
	s_orn2_b64 s[80:81], vcc, exec
	s_branch .LBB22_42
.LBB22_49:                              ;   in Loop: Header=BB22_13 Depth=1
	s_or_b64 exec, exec, s[72:73]
	s_and_saveexec_b64 s[40:41], s[74:75]
	s_xor_b64 s[40:41], exec, s[40:41]
; %bb.50:                               ;   in Loop: Header=BB22_13 Depth=1
	v_min_i32_e32 v23, v5, v23
; %bb.51:                               ;   in Loop: Header=BB22_13 Depth=1
	s_or_b64 exec, exec, s[40:41]
.LBB22_52:                              ;   in Loop: Header=BB22_13 Depth=1
	s_or_b64 exec, exec, s[70:71]
.LBB22_53:                              ;   in Loop: Header=BB22_13 Depth=1
	v_mov_b32_dpp v4, v23 row_shr:1 row_mask:0xf bank_mask:0xf
	v_min_i32_e32 v4, v4, v23
	s_nop 1
	v_mov_b32_dpp v5, v4 row_shr:2 row_mask:0xf bank_mask:0xf
	v_min_i32_e32 v4, v5, v4
	s_nop 1
	v_mov_b32_dpp v5, v4 row_shr:4 row_mask:0xf bank_mask:0xe
	v_min_i32_e32 v4, v5, v4
	s_nop 1
	v_mov_b32_dpp v5, v4 row_shr:8 row_mask:0xf bank_mask:0xc
	s_and_saveexec_b64 s[40:41], s[4:5]
	s_cbranch_execz .LBB22_58
; %bb.54:                               ;   in Loop: Header=BB22_13 Depth=1
	s_mov_b64 s[70:71], exec
	v_min_i32_e32 v4, v5, v4
	s_brev_b32 s72, -2
.LBB22_55:                              ;   Parent Loop BB22_13 Depth=1
                                        ; =>  This Inner Loop Header: Depth=2
	s_ff1_i32_b64 s73, s[70:71]
	v_readlane_b32 s76, v4, s73
	s_lshl_b64 s[74:75], 1, s73
	s_min_i32 s72, s72, s76
	s_andn2_b64 s[70:71], s[70:71], s[74:75]
	s_cmp_lg_u64 s[70:71], 0
	s_cbranch_scc1 .LBB22_55
; %bb.56:                               ;   in Loop: Header=BB22_13 Depth=1
	v_mbcnt_lo_u32_b32 v4, exec_lo, 0
	v_mbcnt_hi_u32_b32 v4, exec_hi, v4
	v_cmp_eq_u32_e32 vcc, 0, v4
	s_and_saveexec_b64 s[70:71], vcc
	s_xor_b64 s[70:71], exec, s[70:71]
	s_cbranch_execz .LBB22_58
; %bb.57:                               ;   in Loop: Header=BB22_13 Depth=1
	v_mov_b32_e32 v4, s72
	ds_min_i32 v16, v4 offset:10240
.LBB22_58:                              ;   in Loop: Header=BB22_13 Depth=1
	s_or_b64 exec, exec, s[40:41]
	s_add_i32 s72, s58, s92
	s_mov_b64 s[40:41], 0
	v_mov_b32_e32 v4, v19
	v_mov_b32_e32 v5, v0
	s_waitcnt lgkmcnt(0)
	s_barrier
	s_branch .LBB22_60
.LBB22_59:                              ;   in Loop: Header=BB22_60 Depth=2
	s_or_b64 exec, exec, s[70:71]
	s_waitcnt lgkmcnt(0)
	s_barrier
	ds_read_b32 v6, v16 offset:60
	v_add_u32_e32 v7, 0x200, v5
	v_cmp_lt_u32_e32 vcc, s91, v5
	v_add_u32_e32 v4, 0x800, v4
	s_or_b64 s[40:41], vcc, s[40:41]
	s_waitcnt lgkmcnt(0)
	v_add_u32_e32 v20, v6, v20
	v_mov_b32_e32 v5, v7
	s_andn2_b64 exec, exec, s[40:41]
	s_cbranch_execz .LBB22_12
.LBB22_60:                              ;   Parent Loop BB22_13 Depth=1
                                        ; =>  This Inner Loop Header: Depth=2
	ds_read_u8 v33, v5 offset:8192
	ds_read_b32 v6, v4
	s_waitcnt lgkmcnt(0)
	s_barrier
	v_cmp_ne_u16_e32 vcc, 0, v33
	s_bcnt1_i32_b64 s70, vcc
	v_and_b32_e32 v8, vcc_lo, v2
	v_bcnt_u32_b32 v22, v8, 0
	v_mov_b32_e32 v8, s70
	ds_write_b32 v17, v8
	s_waitcnt lgkmcnt(0)
	s_barrier
	ds_read_b128 v[8:11], v16
	v_and_b32_e32 v7, vcc_hi, v3
	v_bcnt_u32_b32 v7, v7, v22
	ds_read_b128 v[22:25], v16 offset:16
	ds_read_b128 v[26:29], v16 offset:32
	ds_read_b96 v[30:32], v16 offset:48
	s_waitcnt lgkmcnt(3)
	v_cndmask_b32_e64 v8, v8, 0, s[8:9]
	v_add_u32_e32 v7, v8, v7
	v_cndmask_b32_e64 v8, v9, 0, s[10:11]
	v_cndmask_b32_e64 v9, v10, 0, s[12:13]
	v_add3_u32 v7, v7, v8, v9
	v_cndmask_b32_e64 v8, v11, 0, s[14:15]
	s_waitcnt lgkmcnt(2)
	v_cndmask_b32_e64 v9, v22, 0, s[16:17]
	v_add3_u32 v7, v7, v8, v9
	v_cndmask_b32_e64 v8, v23, 0, s[18:19]
	v_cndmask_b32_e64 v9, v24, 0, s[20:21]
	v_add3_u32 v7, v7, v8, v9
	v_cndmask_b32_e64 v8, v25, 0, s[22:23]
	s_waitcnt lgkmcnt(1)
	v_cndmask_b32_e64 v9, v26, 0, s[24:25]
	v_add3_u32 v7, v7, v8, v9
	;; [unrolled: 7-line block ×3, first 2 shown]
	v_cndmask_b32_e64 v8, v31, 0, s[36:37]
	v_cndmask_b32_e64 v9, v32, 0, s[38:39]
	v_add3_u32 v7, v7, v8, v9
	v_and_b32_e32 v8, 1, v33
	v_cmp_eq_u32_e32 vcc, 1, v8
	s_and_saveexec_b64 s[70:71], vcc
	s_cbranch_execz .LBB22_62
; %bb.61:                               ;   in Loop: Header=BB22_60 Depth=2
	v_add3_u32 v8, v20, v7, -1
	v_ashrrev_i32_e32 v9, 31, v8
	v_lshlrev_b64 v[8:9], 2, v[8:9]
	v_mov_b32_e32 v11, s61
	v_add_co_u32_e32 v10, vcc, s60, v8
	v_addc_co_u32_e32 v11, vcc, v11, v9, vcc
	v_add_u32_e32 v22, s72, v5
	v_mov_b32_e32 v23, s63
	v_add_co_u32_e32 v8, vcc, s62, v8
	v_addc_co_u32_e32 v9, vcc, v23, v9, vcc
	global_store_dword v[10:11], v22, off
	global_store_dword v[8:9], v6, off
.LBB22_62:                              ;   in Loop: Header=BB22_60 Depth=2
	s_or_b64 exec, exec, s[70:71]
	s_and_saveexec_b64 s[70:71], s[6:7]
	s_cbranch_execz .LBB22_59
; %bb.63:                               ;   in Loop: Header=BB22_60 Depth=2
	ds_write_b32 v16, v7 offset:60
	s_branch .LBB22_59
.LBB22_64:
	s_endpgm
	.section	.rodata,"a",@progbits
	.p2align	6, 0x0
	.amdhsa_kernel _ZN9rocsparseL36csrgemm_fill_block_per_row_multipassILj512ELj16ELj2048ELj32EiifEEvT4_PKS1_S3_NS_24const_host_device_scalarIT5_EEPKT3_S3_PKS5_S9_S3_SB_S6_S9_S3_SB_S9_PS1_PS5_PS7_21rocsparse_index_base_SF_SF_SF_bbb
		.amdhsa_group_segment_fixed_size 10244
		.amdhsa_private_segment_fixed_size 0
		.amdhsa_kernarg_size 164
		.amdhsa_user_sgpr_count 6
		.amdhsa_user_sgpr_private_segment_buffer 1
		.amdhsa_user_sgpr_dispatch_ptr 0
		.amdhsa_user_sgpr_queue_ptr 0
		.amdhsa_user_sgpr_kernarg_segment_ptr 1
		.amdhsa_user_sgpr_dispatch_id 0
		.amdhsa_user_sgpr_flat_scratch_init 0
		.amdhsa_user_sgpr_kernarg_preload_length 0
		.amdhsa_user_sgpr_kernarg_preload_offset 0
		.amdhsa_user_sgpr_private_segment_size 0
		.amdhsa_uses_dynamic_stack 0
		.amdhsa_system_sgpr_private_segment_wavefront_offset 0
		.amdhsa_system_sgpr_workgroup_id_x 1
		.amdhsa_system_sgpr_workgroup_id_y 0
		.amdhsa_system_sgpr_workgroup_id_z 0
		.amdhsa_system_sgpr_workgroup_info 0
		.amdhsa_system_vgpr_workitem_id 0
		.amdhsa_next_free_vgpr 34
		.amdhsa_next_free_sgpr 96
		.amdhsa_accum_offset 36
		.amdhsa_reserve_vcc 1
		.amdhsa_reserve_flat_scratch 0
		.amdhsa_float_round_mode_32 0
		.amdhsa_float_round_mode_16_64 0
		.amdhsa_float_denorm_mode_32 3
		.amdhsa_float_denorm_mode_16_64 3
		.amdhsa_dx10_clamp 1
		.amdhsa_ieee_mode 1
		.amdhsa_fp16_overflow 0
		.amdhsa_tg_split 0
		.amdhsa_exception_fp_ieee_invalid_op 0
		.amdhsa_exception_fp_denorm_src 0
		.amdhsa_exception_fp_ieee_div_zero 0
		.amdhsa_exception_fp_ieee_overflow 0
		.amdhsa_exception_fp_ieee_underflow 0
		.amdhsa_exception_fp_ieee_inexact 0
		.amdhsa_exception_int_div_zero 0
	.end_amdhsa_kernel
	.section	.text._ZN9rocsparseL36csrgemm_fill_block_per_row_multipassILj512ELj16ELj2048ELj32EiifEEvT4_PKS1_S3_NS_24const_host_device_scalarIT5_EEPKT3_S3_PKS5_S9_S3_SB_S6_S9_S3_SB_S9_PS1_PS5_PS7_21rocsparse_index_base_SF_SF_SF_bbb,"axG",@progbits,_ZN9rocsparseL36csrgemm_fill_block_per_row_multipassILj512ELj16ELj2048ELj32EiifEEvT4_PKS1_S3_NS_24const_host_device_scalarIT5_EEPKT3_S3_PKS5_S9_S3_SB_S6_S9_S3_SB_S9_PS1_PS5_PS7_21rocsparse_index_base_SF_SF_SF_bbb,comdat
.Lfunc_end22:
	.size	_ZN9rocsparseL36csrgemm_fill_block_per_row_multipassILj512ELj16ELj2048ELj32EiifEEvT4_PKS1_S3_NS_24const_host_device_scalarIT5_EEPKT3_S3_PKS5_S9_S3_SB_S6_S9_S3_SB_S9_PS1_PS5_PS7_21rocsparse_index_base_SF_SF_SF_bbb, .Lfunc_end22-_ZN9rocsparseL36csrgemm_fill_block_per_row_multipassILj512ELj16ELj2048ELj32EiifEEvT4_PKS1_S3_NS_24const_host_device_scalarIT5_EEPKT3_S3_PKS5_S9_S3_SB_S6_S9_S3_SB_S9_PS1_PS5_PS7_21rocsparse_index_base_SF_SF_SF_bbb
                                        ; -- End function
	.section	.AMDGPU.csdata,"",@progbits
; Kernel info:
; codeLenInByte = 2504
; NumSgprs: 100
; NumVgprs: 34
; NumAgprs: 0
; TotalNumVgprs: 34
; ScratchSize: 0
; MemoryBound: 0
; FloatMode: 240
; IeeeMode: 1
; LDSByteSize: 10244 bytes/workgroup (compile time only)
; SGPRBlocks: 12
; VGPRBlocks: 4
; NumSGPRsForWavesPerEU: 100
; NumVGPRsForWavesPerEU: 34
; AccumOffset: 36
; Occupancy: 8
; WaveLimiterHint : 1
; COMPUTE_PGM_RSRC2:SCRATCH_EN: 0
; COMPUTE_PGM_RSRC2:USER_SGPR: 6
; COMPUTE_PGM_RSRC2:TRAP_HANDLER: 0
; COMPUTE_PGM_RSRC2:TGID_X_EN: 1
; COMPUTE_PGM_RSRC2:TGID_Y_EN: 0
; COMPUTE_PGM_RSRC2:TGID_Z_EN: 0
; COMPUTE_PGM_RSRC2:TIDIG_COMP_CNT: 0
; COMPUTE_PGM_RSRC3_GFX90A:ACCUM_OFFSET: 8
; COMPUTE_PGM_RSRC3_GFX90A:TG_SPLIT: 0
	.section	.text._ZN9rocsparseL36csrgemm_fill_block_per_row_multipassILj512ELj16ELj2048ELj64EiifEEvT4_PKS1_S3_NS_24const_host_device_scalarIT5_EEPKT3_S3_PKS5_S9_S3_SB_S6_S9_S3_SB_S9_PS1_PS5_PS7_21rocsparse_index_base_SF_SF_SF_bbb,"axG",@progbits,_ZN9rocsparseL36csrgemm_fill_block_per_row_multipassILj512ELj16ELj2048ELj64EiifEEvT4_PKS1_S3_NS_24const_host_device_scalarIT5_EEPKT3_S3_PKS5_S9_S3_SB_S6_S9_S3_SB_S9_PS1_PS5_PS7_21rocsparse_index_base_SF_SF_SF_bbb,comdat
	.globl	_ZN9rocsparseL36csrgemm_fill_block_per_row_multipassILj512ELj16ELj2048ELj64EiifEEvT4_PKS1_S3_NS_24const_host_device_scalarIT5_EEPKT3_S3_PKS5_S9_S3_SB_S6_S9_S3_SB_S9_PS1_PS5_PS7_21rocsparse_index_base_SF_SF_SF_bbb ; -- Begin function _ZN9rocsparseL36csrgemm_fill_block_per_row_multipassILj512ELj16ELj2048ELj64EiifEEvT4_PKS1_S3_NS_24const_host_device_scalarIT5_EEPKT3_S3_PKS5_S9_S3_SB_S6_S9_S3_SB_S9_PS1_PS5_PS7_21rocsparse_index_base_SF_SF_SF_bbb
	.p2align	8
	.type	_ZN9rocsparseL36csrgemm_fill_block_per_row_multipassILj512ELj16ELj2048ELj64EiifEEvT4_PKS1_S3_NS_24const_host_device_scalarIT5_EEPKT3_S3_PKS5_S9_S3_SB_S6_S9_S3_SB_S9_PS1_PS5_PS7_21rocsparse_index_base_SF_SF_SF_bbb,@function
_ZN9rocsparseL36csrgemm_fill_block_per_row_multipassILj512ELj16ELj2048ELj64EiifEEvT4_PKS1_S3_NS_24const_host_device_scalarIT5_EEPKT3_S3_PKS5_S9_S3_SB_S6_S9_S3_SB_S9_PS1_PS5_PS7_21rocsparse_index_base_SF_SF_SF_bbb: ; @_ZN9rocsparseL36csrgemm_fill_block_per_row_multipassILj512ELj16ELj2048ELj64EiifEEvT4_PKS1_S3_NS_24const_host_device_scalarIT5_EEPKT3_S3_PKS5_S9_S3_SB_S6_S9_S3_SB_S9_PS1_PS5_PS7_21rocsparse_index_base_SF_SF_SF_bbb
; %bb.0:
	s_load_dword s7, s[4:5], 0xa0
	s_load_dwordx4 s[12:15], s[4:5], 0x8
	s_load_dwordx2 s[0:1], s[4:5], 0x18
	s_load_dwordx4 s[44:47], s[4:5], 0x90
	s_load_dwordx2 s[2:3], s[4:5], 0x50
	s_waitcnt lgkmcnt(0)
	s_bitcmp1_b32 s7, 0
	s_cselect_b64 s[8:9], -1, 0
	s_bitcmp1_b32 s7, 16
	s_cselect_b64 s[10:11], -1, 0
	s_xor_b64 s[16:17], s[8:9], -1
	s_or_b64 s[16:17], s[16:17], s[10:11]
	s_and_b64 vcc, exec, s[16:17]
	s_cbranch_vccnz .LBB23_2
; %bb.1:
	s_load_dword s0, s[0:1], 0x0
	s_waitcnt lgkmcnt(0)
	v_mov_b32_e32 v1, s0
	s_branch .LBB23_3
.LBB23_2:
	v_mov_b32_e32 v1, s0
	v_cndmask_b32_e64 v1, 0, v1, s[8:9]
.LBB23_3:
	s_load_dwordx2 s[16:17], s[4:5], 0x20
	s_bitcmp1_b32 s7, 8
	s_cselect_b64 s[0:1], -1, 0
	s_xor_b64 s[18:19], s[0:1], -1
	s_or_b64 s[10:11], s[18:19], s[10:11]
	s_mov_b32 s7, 0
	s_and_b64 vcc, exec, s[10:11]
	s_cbranch_vccnz .LBB23_5
; %bb.4:
	s_load_dword s2, s[2:3], 0x0
	s_waitcnt lgkmcnt(0)
	v_mov_b32_e32 v12, s2
	s_branch .LBB23_6
.LBB23_5:
	v_mov_b32_e32 v2, s2
	v_cndmask_b32_e64 v12, 0, v2, s[0:1]
.LBB23_6:
	s_load_dword s2, s[12:13], 0x0
	v_cndmask_b32_e64 v2, 0, 1, s[8:9]
	s_waitcnt lgkmcnt(0)
	s_add_i32 s6, s2, s6
	s_lshl_b64 s[2:3], s[6:7], 2
	s_add_u32 s2, s14, s2
	s_addc_u32 s3, s15, s3
	s_load_dword s10, s[2:3], 0x0
	v_cmp_ne_u32_e64 s[2:3], 1, v2
	s_andn2_b64 vcc, exec, s[8:9]
	s_cbranch_vccz .LBB23_9
; %bb.7:
	s_and_b64 vcc, exec, s[2:3]
	s_mov_b32 s33, 0
	s_cbranch_vccz .LBB23_10
.LBB23_8:
	s_load_dword s72, s[4:5], 0x0
	s_waitcnt lgkmcnt(0)
	s_cmp_lt_i32 s72, 1
	s_cbranch_scc0 .LBB23_11
	s_branch .LBB23_64
.LBB23_9:
	s_waitcnt lgkmcnt(0)
	s_ashr_i32 s11, s10, 31
	s_lshl_b64 s[6:7], s[10:11], 2
	s_add_u32 s6, s16, s6
	s_addc_u32 s7, s17, s7
	s_load_dword s6, s[6:7], 0x0
	s_waitcnt lgkmcnt(0)
	s_sub_i32 s7, s6, s44
	s_and_b64 vcc, exec, s[2:3]
	s_mov_b32 s33, 0
	s_cbranch_vccnz .LBB23_8
.LBB23_10:
	s_waitcnt lgkmcnt(0)
	s_ashr_i32 s11, s10, 31
	s_lshl_b64 s[2:3], s[10:11], 2
	s_add_u32 s2, s16, s2
	s_addc_u32 s3, s17, s3
	s_load_dword s2, s[2:3], 0x4
	s_waitcnt lgkmcnt(0)
	s_sub_i32 s33, s2, s44
	s_load_dword s72, s[4:5], 0x0
	s_waitcnt lgkmcnt(0)
	s_cmp_lt_i32 s72, 1
	s_cbranch_scc1 .LBB23_64
.LBB23_11:
	s_load_dwordx8 s[24:31], s[4:5], 0x58
	s_load_dwordx2 s[34:35], s[4:5], 0x88
	s_load_dwordx4 s[48:51], s[4:5], 0x78
	s_ashr_i32 s11, s10, 31
	s_lshl_b64 s[10:11], s[10:11], 2
	s_waitcnt lgkmcnt(0)
	s_add_u32 s2, s30, s10
	s_addc_u32 s3, s31, s11
	s_load_dword s6, s[2:3], 0x0
	s_load_dwordx2 s[30:31], s[4:5], 0x48
	s_load_dwordx8 s[36:43], s[4:5], 0x28
	v_lshrrev_b32_e32 v4, 4, v0
	v_add_u32_e32 v14, s7, v4
	s_waitcnt lgkmcnt(0)
	s_sub_i32 s22, s6, s46
	v_cmp_gt_i32_e32 vcc, s33, v14
	s_add_u32 s24, s24, s10
	v_mbcnt_lo_u32_b32 v2, -1, 0
	s_addc_u32 s25, s25, s11
	v_mbcnt_hi_u32_b32 v2, -1, v2
	s_and_b64 s[52:53], s[8:9], vcc
	v_and_b32_e32 v13, 15, v0
	v_sub_u32_e32 v2, 63, v2
	s_movk_i32 s6, 0x1ff
	s_movk_i32 s10, 0x80
	;; [unrolled: 1-line block ×7, first 2 shown]
	s_add_u32 s73, s40, 4
	s_mov_b32 s76, 0
	v_cmp_eq_u32_e64 s[2:3], 0, v0
	v_cmp_eq_u32_e64 s[4:5], 15, v13
	v_subrev_u32_e32 v15, s47, v0
	v_mov_b32_e32 v16, 0
	v_lshrrev_b64 v[2:3], v2, -1
	v_and_b32_e32 v17, 28, v4
	v_cmp_eq_u32_e64 s[6:7], s6, v0
	v_cmp_gt_u32_e64 s[8:9], 64, v0
	v_cmp_gt_u32_e64 s[10:11], s10, v0
	;; [unrolled: 1-line block ×7, first 2 shown]
	s_addc_u32 s74, s41, 0
	v_or_b32_e32 v18, 0xfffffe00, v0
	v_lshlrev_b32_e32 v19, 2, v0
	v_mov_b32_e32 v22, 0x800
	v_mov_b32_e32 v20, s22
	s_movk_i32 s75, 0x5ff
	v_mov_b32_e32 v21, 1
	s_branch .LBB23_13
.LBB23_12:                              ;   in Loop: Header=BB23_13 Depth=1
	s_or_b64 exec, exec, s[22:23]
	ds_read_b32 v4, v16 offset:10240
	s_waitcnt lgkmcnt(0)
	s_barrier
	v_cmp_le_i32_e32 vcc, s72, v4
	v_readfirstlane_b32 s76, v4
	v_add_u32_e32 v22, 0x800, v4
	s_cbranch_vccnz .LBB23_64
.LBB23_13:                              ; =>This Loop Header: Depth=1
                                        ;     Child Loop BB23_14 Depth 2
                                        ;     Child Loop BB23_20 Depth 2
                                        ;       Child Loop BB23_26 Depth 3
                                        ;     Child Loop BB23_43 Depth 2
                                        ;     Child Loop BB23_55 Depth 2
	;; [unrolled: 1-line block ×3, first 2 shown]
	s_mov_b64 s[22:23], 0
	v_mov_b32_e32 v4, v19
	v_mov_b32_e32 v5, v18
.LBB23_14:                              ;   Parent Loop BB23_13 Depth=1
                                        ; =>  This Inner Loop Header: Depth=2
	ds_write_b8 v5, v16 offset:8704
	ds_write_b32 v4, v16
	v_add_u32_e32 v5, 0x200, v5
	v_cmp_lt_u32_e32 vcc, s75, v5
	s_or_b64 s[22:23], vcc, s[22:23]
	v_add_u32_e32 v4, 0x800, v4
	s_andn2_b64 exec, exec, s[22:23]
	s_cbranch_execnz .LBB23_14
; %bb.15:                               ;   in Loop: Header=BB23_13 Depth=1
	s_or_b64 exec, exec, s[22:23]
	s_and_saveexec_b64 s[22:23], s[2:3]
	s_cbranch_execz .LBB23_17
; %bb.16:                               ;   in Loop: Header=BB23_13 Depth=1
	v_mov_b32_e32 v4, s72
	ds_write_b32 v16, v4 offset:10240
.LBB23_17:                              ;   in Loop: Header=BB23_13 Depth=1
	s_or_b64 exec, exec, s[22:23]
	v_mov_b32_e32 v23, s72
	s_waitcnt lgkmcnt(0)
	s_barrier
	s_and_saveexec_b64 s[54:55], s[52:53]
	s_cbranch_execz .LBB23_39
; %bb.18:                               ;   in Loop: Header=BB23_13 Depth=1
	s_cmp_lg_u32 s76, 0
	s_mov_b64 s[56:57], 0
	s_cselect_b64 s[58:59], -1, 0
	v_mov_b32_e32 v23, s72
	v_mov_b32_e32 v4, v14
	s_branch .LBB23_20
.LBB23_19:                              ;   in Loop: Header=BB23_20 Depth=2
	s_or_b64 exec, exec, s[22:23]
	v_add_u32_e32 v4, 32, v4
	v_cmp_le_i32_e32 vcc, s33, v4
	s_or_b64 s[56:57], vcc, s[56:57]
	s_andn2_b64 exec, exec, s[56:57]
	s_cbranch_execz .LBB23_38
.LBB23_20:                              ;   Parent Loop BB23_13 Depth=1
                                        ; =>  This Loop Header: Depth=2
                                        ;       Child Loop BB23_26 Depth 3
	v_ashrrev_i32_e32 v5, 31, v4
	v_lshlrev_b64 v[6:7], 2, v[4:5]
	v_mov_b32_e32 v5, s37
	v_add_co_u32_e32 v8, vcc, s36, v6
	v_addc_co_u32_e32 v9, vcc, v5, v7, vcc
	global_load_dword v5, v[8:9], off
	v_mov_b32_e32 v9, s39
	v_add_co_u32_e32 v8, vcc, s38, v6
	v_addc_co_u32_e32 v9, vcc, v9, v7, vcc
	global_load_dword v10, v[8:9], off
	s_and_b64 vcc, exec, s[58:59]
	s_waitcnt vmcnt(1)
	v_subrev_u32_e32 v8, s44, v5
	v_ashrrev_i32_e32 v9, 31, v8
	s_cbranch_vccz .LBB23_37
; %bb.21:                               ;   in Loop: Header=BB23_20 Depth=2
	v_mov_b32_e32 v5, s35
	v_add_co_u32_e32 v24, vcc, s34, v6
	v_addc_co_u32_e32 v25, vcc, v5, v7, vcc
	global_load_dword v5, v[24:25], off
	s_cbranch_execnz .LBB23_23
.LBB23_22:                              ;   in Loop: Header=BB23_20 Depth=2
	v_lshlrev_b64 v[24:25], 2, v[8:9]
	s_waitcnt vmcnt(0)
	v_mov_b32_e32 v5, s41
	v_add_co_u32_e32 v24, vcc, s40, v24
	v_addc_co_u32_e32 v25, vcc, v5, v25, vcc
	global_load_dword v5, v[24:25], off
	s_waitcnt vmcnt(0)
	v_subrev_u32_e32 v5, s45, v5
.LBB23_23:                              ;   in Loop: Header=BB23_20 Depth=2
	v_lshlrev_b64 v[8:9], 2, v[8:9]
	v_mov_b32_e32 v11, s74
	v_add_co_u32_e32 v8, vcc, s73, v8
	v_addc_co_u32_e32 v9, vcc, v11, v9, vcc
	global_load_dword v8, v[8:9], off
	s_waitcnt vmcnt(1)
	v_add_u32_e32 v5, v5, v13
	s_waitcnt vmcnt(0)
	v_subrev_u32_e32 v24, s45, v8
	v_cmp_lt_i32_e32 vcc, v5, v24
	s_and_saveexec_b64 s[60:61], vcc
	s_cbranch_execz .LBB23_35
; %bb.24:                               ;   in Loop: Header=BB23_20 Depth=2
	v_mul_f32_e32 v25, v1, v10
	s_mov_b64 s[64:65], 0
	v_mov_b32_e32 v8, v5
                                        ; implicit-def: $sgpr62_sgpr63
                                        ; implicit-def: $sgpr66_sgpr67
	s_branch .LBB23_26
.LBB23_25:                              ;   in Loop: Header=BB23_26 Depth=3
	s_or_b64 exec, exec, s[68:69]
	s_and_b64 s[22:23], exec, s[70:71]
	s_or_b64 s[64:65], s[22:23], s[64:65]
	s_andn2_b64 s[22:23], s[62:63], exec
	s_and_b64 s[62:63], s[66:67], exec
	s_or_b64 s[62:63], s[22:23], s[62:63]
	v_mov_b32_e32 v8, v11
	s_andn2_b64 exec, exec, s[64:65]
	s_cbranch_execz .LBB23_32
.LBB23_26:                              ;   Parent Loop BB23_13 Depth=1
                                        ;     Parent Loop BB23_20 Depth=2
                                        ; =>    This Inner Loop Header: Depth=3
	v_ashrrev_i32_e32 v9, 31, v8
	v_lshlrev_b64 v[10:11], 2, v[8:9]
	v_mov_b32_e32 v9, s43
	v_add_co_u32_e32 v26, vcc, s42, v10
	v_addc_co_u32_e32 v27, vcc, v9, v11, vcc
	global_load_dword v9, v[26:27], off
                                        ; implicit-def: $sgpr68_sgpr69
	s_waitcnt vmcnt(0)
	v_subrev_u32_e32 v9, s45, v9
	v_cmp_gt_i32_e32 vcc, s76, v9
	v_cmp_ge_i32_e64 s[22:23], v9, v22
	s_or_b64 s[70:71], vcc, s[22:23]
	s_mov_b64 s[22:23], 0
	s_and_saveexec_b64 s[78:79], s[70:71]
	s_xor_b64 s[70:71], exec, s[78:79]
; %bb.27:                               ;   in Loop: Header=BB23_26 Depth=3
	v_cmp_lt_i32_e32 vcc, v9, v22
	s_mov_b64 s[68:69], -1
	s_and_b64 s[22:23], vcc, exec
                                        ; implicit-def: $vgpr10_vgpr11
; %bb.28:                               ;   in Loop: Header=BB23_26 Depth=3
	s_andn2_saveexec_b64 s[70:71], s[70:71]
	s_cbranch_execz .LBB23_30
; %bb.29:                               ;   in Loop: Header=BB23_26 Depth=3
	v_mov_b32_e32 v26, s31
	v_add_co_u32_e32 v10, vcc, s30, v10
	v_addc_co_u32_e32 v11, vcc, v26, v11, vcc
	global_load_dword v10, v[10:11], off
	v_subrev_u32_e32 v11, s76, v9
	ds_write_b8 v11, v21 offset:8192
	v_lshlrev_b32_e32 v11, 2, v11
	s_or_b64 s[22:23], s[22:23], exec
	s_waitcnt vmcnt(0)
	v_mul_f32_e32 v10, v25, v10
	ds_add_f32 v11, v10
.LBB23_30:                              ;   in Loop: Header=BB23_26 Depth=3
	s_or_b64 exec, exec, s[70:71]
	s_andn2_b64 s[66:67], s[66:67], exec
	s_and_b64 s[68:69], s[68:69], exec
	s_mov_b64 s[70:71], -1
	s_or_b64 s[66:67], s[66:67], s[68:69]
	v_mov_b32_e32 v10, v8
                                        ; implicit-def: $vgpr11
	s_and_saveexec_b64 s[68:69], s[22:23]
	s_cbranch_execz .LBB23_25
; %bb.31:                               ;   in Loop: Header=BB23_26 Depth=3
	v_add_u32_e32 v11, 16, v8
	v_cmp_ge_i32_e32 vcc, v11, v24
	s_andn2_b64 s[66:67], s[66:67], exec
	s_orn2_b64 s[70:71], vcc, exec
	v_mov_b32_e32 v10, v8
	s_branch .LBB23_25
.LBB23_32:                              ;   in Loop: Header=BB23_20 Depth=2
	s_or_b64 exec, exec, s[64:65]
	s_and_saveexec_b64 s[22:23], s[62:63]
	s_xor_b64 s[22:23], exec, s[22:23]
; %bb.33:                               ;   in Loop: Header=BB23_20 Depth=2
	v_min_i32_e32 v23, v9, v23
	v_mov_b32_e32 v5, v10
; %bb.34:                               ;   in Loop: Header=BB23_20 Depth=2
	s_or_b64 exec, exec, s[22:23]
.LBB23_35:                              ;   in Loop: Header=BB23_20 Depth=2
	s_or_b64 exec, exec, s[60:61]
	v_mov_b32_dpp v8, v5 row_shr:1 row_mask:0xf bank_mask:0xf
	v_min_i32_e32 v5, v8, v5
	s_nop 1
	v_mov_b32_dpp v8, v5 row_shr:2 row_mask:0xf bank_mask:0xf
	v_min_i32_e32 v5, v8, v5
	s_nop 1
	;; [unrolled: 3-line block ×3, first 2 shown]
	v_mov_b32_dpp v8, v5 row_shr:8 row_mask:0xf bank_mask:0xc
	s_and_saveexec_b64 s[22:23], s[4:5]
	s_cbranch_execz .LBB23_19
; %bb.36:                               ;   in Loop: Header=BB23_20 Depth=2
	v_min_i32_e32 v5, v8, v5
	v_mov_b32_e32 v8, s35
	v_add_co_u32_e32 v6, vcc, s34, v6
	v_addc_co_u32_e32 v7, vcc, v8, v7, vcc
	global_store_dword v[6:7], v5, off
	s_branch .LBB23_19
.LBB23_37:                              ;   in Loop: Header=BB23_20 Depth=2
                                        ; implicit-def: $vgpr5
	s_branch .LBB23_22
.LBB23_38:                              ;   in Loop: Header=BB23_13 Depth=1
	s_or_b64 exec, exec, s[56:57]
.LBB23_39:                              ;   in Loop: Header=BB23_13 Depth=1
	s_or_b64 exec, exec, s[54:55]
	s_andn2_b64 vcc, exec, s[0:1]
	s_cbranch_vccnz .LBB23_53
; %bb.40:                               ;   in Loop: Header=BB23_13 Depth=1
	s_load_dwordx2 s[22:23], s[24:25], 0x0
	s_waitcnt lgkmcnt(0)
	s_sub_i32 s66, s23, s47
	v_add_u32_e32 v4, s22, v15
	v_cmp_gt_i32_e32 vcc, s66, v4
	s_and_saveexec_b64 s[54:55], vcc
	s_cbranch_execz .LBB23_52
; %bb.41:                               ;   in Loop: Header=BB23_13 Depth=1
	s_mov_b64 s[56:57], 0
                                        ; implicit-def: $sgpr58_sgpr59
                                        ; implicit-def: $sgpr60_sgpr61
	s_branch .LBB23_43
.LBB23_42:                              ;   in Loop: Header=BB23_43 Depth=2
	s_or_b64 exec, exec, s[62:63]
	s_and_b64 s[22:23], exec, s[64:65]
	s_or_b64 s[56:57], s[22:23], s[56:57]
	s_andn2_b64 s[22:23], s[58:59], exec
	s_and_b64 s[58:59], s[60:61], exec
	s_or_b64 s[58:59], s[22:23], s[58:59]
	s_andn2_b64 exec, exec, s[56:57]
	s_cbranch_execz .LBB23_49
.LBB23_43:                              ;   Parent Loop BB23_13 Depth=1
                                        ; =>  This Inner Loop Header: Depth=2
	v_ashrrev_i32_e32 v5, 31, v4
	v_lshlrev_b64 v[6:7], 2, v[4:5]
	v_mov_b32_e32 v5, s27
	v_add_co_u32_e32 v8, vcc, s26, v6
	v_addc_co_u32_e32 v9, vcc, v5, v7, vcc
	global_load_dword v5, v[8:9], off
                                        ; implicit-def: $sgpr62_sgpr63
	s_waitcnt vmcnt(0)
	v_subrev_u32_e32 v5, s47, v5
	v_cmp_gt_i32_e32 vcc, s76, v5
	v_cmp_ge_i32_e64 s[22:23], v5, v22
	s_or_b64 s[64:65], vcc, s[22:23]
	s_mov_b64 s[22:23], 0
	s_and_saveexec_b64 s[68:69], s[64:65]
	s_xor_b64 s[64:65], exec, s[68:69]
; %bb.44:                               ;   in Loop: Header=BB23_43 Depth=2
	v_cmp_lt_i32_e32 vcc, v5, v22
	s_mov_b64 s[62:63], -1
	s_and_b64 s[22:23], vcc, exec
                                        ; implicit-def: $vgpr6_vgpr7
; %bb.45:                               ;   in Loop: Header=BB23_43 Depth=2
	s_andn2_saveexec_b64 s[64:65], s[64:65]
	s_cbranch_execz .LBB23_47
; %bb.46:                               ;   in Loop: Header=BB23_43 Depth=2
	v_mov_b32_e32 v8, s29
	v_add_co_u32_e32 v6, vcc, s28, v6
	v_addc_co_u32_e32 v7, vcc, v8, v7, vcc
	global_load_dword v6, v[6:7], off
	v_subrev_u32_e32 v7, s76, v5
	ds_write_b8 v7, v21 offset:8192
	v_lshlrev_b32_e32 v7, 2, v7
	s_or_b64 s[22:23], s[22:23], exec
	s_waitcnt vmcnt(0)
	v_mul_f32_e32 v6, v12, v6
	ds_add_f32 v7, v6
.LBB23_47:                              ;   in Loop: Header=BB23_43 Depth=2
	s_or_b64 exec, exec, s[64:65]
	s_andn2_b64 s[60:61], s[60:61], exec
	s_and_b64 s[62:63], s[62:63], exec
	s_mov_b64 s[64:65], -1
	s_or_b64 s[60:61], s[60:61], s[62:63]
	s_and_saveexec_b64 s[62:63], s[22:23]
	s_cbranch_execz .LBB23_42
; %bb.48:                               ;   in Loop: Header=BB23_43 Depth=2
	v_add_u32_e32 v4, 0x200, v4
	v_cmp_le_i32_e32 vcc, s66, v4
	s_andn2_b64 s[60:61], s[60:61], exec
	s_orn2_b64 s[64:65], vcc, exec
	s_branch .LBB23_42
.LBB23_49:                              ;   in Loop: Header=BB23_13 Depth=1
	s_or_b64 exec, exec, s[56:57]
	s_and_saveexec_b64 s[22:23], s[58:59]
	s_xor_b64 s[22:23], exec, s[22:23]
; %bb.50:                               ;   in Loop: Header=BB23_13 Depth=1
	v_min_i32_e32 v23, v5, v23
; %bb.51:                               ;   in Loop: Header=BB23_13 Depth=1
	s_or_b64 exec, exec, s[22:23]
.LBB23_52:                              ;   in Loop: Header=BB23_13 Depth=1
	s_or_b64 exec, exec, s[54:55]
.LBB23_53:                              ;   in Loop: Header=BB23_13 Depth=1
	v_mov_b32_dpp v4, v23 row_shr:1 row_mask:0xf bank_mask:0xf
	v_min_i32_e32 v4, v4, v23
	s_nop 1
	v_mov_b32_dpp v5, v4 row_shr:2 row_mask:0xf bank_mask:0xf
	v_min_i32_e32 v4, v5, v4
	s_nop 1
	;; [unrolled: 3-line block ×3, first 2 shown]
	v_mov_b32_dpp v5, v4 row_shr:8 row_mask:0xf bank_mask:0xc
	s_and_saveexec_b64 s[22:23], s[4:5]
	s_cbranch_execz .LBB23_58
; %bb.54:                               ;   in Loop: Header=BB23_13 Depth=1
	s_mov_b64 s[54:55], exec
	v_min_i32_e32 v4, v5, v4
	s_brev_b32 s56, -2
.LBB23_55:                              ;   Parent Loop BB23_13 Depth=1
                                        ; =>  This Inner Loop Header: Depth=2
	s_ff1_i32_b64 s57, s[54:55]
	v_readlane_b32 s60, v4, s57
	s_lshl_b64 s[58:59], 1, s57
	s_min_i32 s56, s56, s60
	s_andn2_b64 s[54:55], s[54:55], s[58:59]
	s_cmp_lg_u64 s[54:55], 0
	s_cbranch_scc1 .LBB23_55
; %bb.56:                               ;   in Loop: Header=BB23_13 Depth=1
	v_mbcnt_lo_u32_b32 v4, exec_lo, 0
	v_mbcnt_hi_u32_b32 v4, exec_hi, v4
	v_cmp_eq_u32_e32 vcc, 0, v4
	s_and_saveexec_b64 s[54:55], vcc
	s_xor_b64 s[54:55], exec, s[54:55]
	s_cbranch_execz .LBB23_58
; %bb.57:                               ;   in Loop: Header=BB23_13 Depth=1
	v_mov_b32_e32 v4, s56
	ds_min_i32 v16, v4 offset:10240
.LBB23_58:                              ;   in Loop: Header=BB23_13 Depth=1
	s_or_b64 exec, exec, s[22:23]
	s_add_i32 s56, s46, s76
	s_mov_b64 s[22:23], 0
	v_mov_b32_e32 v4, v19
	v_mov_b32_e32 v5, v0
	s_waitcnt lgkmcnt(0)
	s_barrier
	s_branch .LBB23_60
.LBB23_59:                              ;   in Loop: Header=BB23_60 Depth=2
	s_or_b64 exec, exec, s[54:55]
	s_waitcnt lgkmcnt(0)
	s_barrier
	ds_read_b32 v6, v16 offset:28
	v_add_u32_e32 v7, 0x200, v5
	v_cmp_lt_u32_e32 vcc, s75, v5
	v_add_u32_e32 v4, 0x800, v4
	s_or_b64 s[22:23], vcc, s[22:23]
	s_waitcnt lgkmcnt(0)
	v_add_u32_e32 v20, v6, v20
	v_mov_b32_e32 v5, v7
	s_andn2_b64 exec, exec, s[22:23]
	s_cbranch_execz .LBB23_12
.LBB23_60:                              ;   Parent Loop BB23_13 Depth=1
                                        ; =>  This Inner Loop Header: Depth=2
	ds_read_u8 v25, v5 offset:8192
	ds_read_b32 v6, v4
	s_waitcnt lgkmcnt(0)
	s_barrier
	v_cmp_ne_u16_e32 vcc, 0, v25
	s_bcnt1_i32_b64 s54, vcc
	v_mov_b32_e32 v8, s54
	ds_write_b32 v17, v8
	s_waitcnt lgkmcnt(0)
	s_barrier
	ds_read_b128 v[8:11], v16
	v_and_b32_e32 v22, vcc_lo, v2
	v_and_b32_e32 v7, vcc_hi, v3
	v_bcnt_u32_b32 v22, v22, 0
	v_bcnt_u32_b32 v7, v7, v22
	ds_read_b96 v[22:24], v16 offset:16
	s_waitcnt lgkmcnt(1)
	v_cndmask_b32_e64 v8, v8, 0, s[8:9]
	v_add_u32_e32 v7, v8, v7
	v_cndmask_b32_e64 v8, v9, 0, s[10:11]
	v_cndmask_b32_e64 v9, v10, 0, s[12:13]
	v_add3_u32 v7, v7, v8, v9
	v_cndmask_b32_e64 v8, v11, 0, s[14:15]
	s_waitcnt lgkmcnt(0)
	v_cndmask_b32_e64 v9, v22, 0, s[16:17]
	v_add3_u32 v7, v7, v8, v9
	v_cndmask_b32_e64 v8, v23, 0, s[18:19]
	v_cndmask_b32_e64 v9, v24, 0, s[20:21]
	v_add3_u32 v7, v7, v8, v9
	v_and_b32_e32 v8, 1, v25
	v_cmp_eq_u32_e32 vcc, 1, v8
	s_and_saveexec_b64 s[54:55], vcc
	s_cbranch_execz .LBB23_62
; %bb.61:                               ;   in Loop: Header=BB23_60 Depth=2
	v_add3_u32 v8, v20, v7, -1
	v_ashrrev_i32_e32 v9, 31, v8
	v_lshlrev_b64 v[8:9], 2, v[8:9]
	v_mov_b32_e32 v11, s49
	v_add_co_u32_e32 v10, vcc, s48, v8
	v_addc_co_u32_e32 v11, vcc, v11, v9, vcc
	v_add_u32_e32 v22, s56, v5
	v_mov_b32_e32 v23, s51
	v_add_co_u32_e32 v8, vcc, s50, v8
	v_addc_co_u32_e32 v9, vcc, v23, v9, vcc
	global_store_dword v[10:11], v22, off
	global_store_dword v[8:9], v6, off
.LBB23_62:                              ;   in Loop: Header=BB23_60 Depth=2
	s_or_b64 exec, exec, s[54:55]
	s_and_saveexec_b64 s[54:55], s[6:7]
	s_cbranch_execz .LBB23_59
; %bb.63:                               ;   in Loop: Header=BB23_60 Depth=2
	ds_write_b32 v16, v7 offset:28
	s_branch .LBB23_59
.LBB23_64:
	s_endpgm
	.section	.rodata,"a",@progbits
	.p2align	6, 0x0
	.amdhsa_kernel _ZN9rocsparseL36csrgemm_fill_block_per_row_multipassILj512ELj16ELj2048ELj64EiifEEvT4_PKS1_S3_NS_24const_host_device_scalarIT5_EEPKT3_S3_PKS5_S9_S3_SB_S6_S9_S3_SB_S9_PS1_PS5_PS7_21rocsparse_index_base_SF_SF_SF_bbb
		.amdhsa_group_segment_fixed_size 10244
		.amdhsa_private_segment_fixed_size 0
		.amdhsa_kernarg_size 164
		.amdhsa_user_sgpr_count 6
		.amdhsa_user_sgpr_private_segment_buffer 1
		.amdhsa_user_sgpr_dispatch_ptr 0
		.amdhsa_user_sgpr_queue_ptr 0
		.amdhsa_user_sgpr_kernarg_segment_ptr 1
		.amdhsa_user_sgpr_dispatch_id 0
		.amdhsa_user_sgpr_flat_scratch_init 0
		.amdhsa_user_sgpr_kernarg_preload_length 0
		.amdhsa_user_sgpr_kernarg_preload_offset 0
		.amdhsa_user_sgpr_private_segment_size 0
		.amdhsa_uses_dynamic_stack 0
		.amdhsa_system_sgpr_private_segment_wavefront_offset 0
		.amdhsa_system_sgpr_workgroup_id_x 1
		.amdhsa_system_sgpr_workgroup_id_y 0
		.amdhsa_system_sgpr_workgroup_id_z 0
		.amdhsa_system_sgpr_workgroup_info 0
		.amdhsa_system_vgpr_workitem_id 0
		.amdhsa_next_free_vgpr 28
		.amdhsa_next_free_sgpr 80
		.amdhsa_accum_offset 28
		.amdhsa_reserve_vcc 1
		.amdhsa_reserve_flat_scratch 0
		.amdhsa_float_round_mode_32 0
		.amdhsa_float_round_mode_16_64 0
		.amdhsa_float_denorm_mode_32 3
		.amdhsa_float_denorm_mode_16_64 3
		.amdhsa_dx10_clamp 1
		.amdhsa_ieee_mode 1
		.amdhsa_fp16_overflow 0
		.amdhsa_tg_split 0
		.amdhsa_exception_fp_ieee_invalid_op 0
		.amdhsa_exception_fp_denorm_src 0
		.amdhsa_exception_fp_ieee_div_zero 0
		.amdhsa_exception_fp_ieee_overflow 0
		.amdhsa_exception_fp_ieee_underflow 0
		.amdhsa_exception_fp_ieee_inexact 0
		.amdhsa_exception_int_div_zero 0
	.end_amdhsa_kernel
	.section	.text._ZN9rocsparseL36csrgemm_fill_block_per_row_multipassILj512ELj16ELj2048ELj64EiifEEvT4_PKS1_S3_NS_24const_host_device_scalarIT5_EEPKT3_S3_PKS5_S9_S3_SB_S6_S9_S3_SB_S9_PS1_PS5_PS7_21rocsparse_index_base_SF_SF_SF_bbb,"axG",@progbits,_ZN9rocsparseL36csrgemm_fill_block_per_row_multipassILj512ELj16ELj2048ELj64EiifEEvT4_PKS1_S3_NS_24const_host_device_scalarIT5_EEPKT3_S3_PKS5_S9_S3_SB_S6_S9_S3_SB_S9_PS1_PS5_PS7_21rocsparse_index_base_SF_SF_SF_bbb,comdat
.Lfunc_end23:
	.size	_ZN9rocsparseL36csrgemm_fill_block_per_row_multipassILj512ELj16ELj2048ELj64EiifEEvT4_PKS1_S3_NS_24const_host_device_scalarIT5_EEPKT3_S3_PKS5_S9_S3_SB_S6_S9_S3_SB_S9_PS1_PS5_PS7_21rocsparse_index_base_SF_SF_SF_bbb, .Lfunc_end23-_ZN9rocsparseL36csrgemm_fill_block_per_row_multipassILj512ELj16ELj2048ELj64EiifEEvT4_PKS1_S3_NS_24const_host_device_scalarIT5_EEPKT3_S3_PKS5_S9_S3_SB_S6_S9_S3_SB_S9_PS1_PS5_PS7_21rocsparse_index_base_SF_SF_SF_bbb
                                        ; -- End function
	.section	.AMDGPU.csdata,"",@progbits
; Kernel info:
; codeLenInByte = 2288
; NumSgprs: 84
; NumVgprs: 28
; NumAgprs: 0
; TotalNumVgprs: 28
; ScratchSize: 0
; MemoryBound: 0
; FloatMode: 240
; IeeeMode: 1
; LDSByteSize: 10244 bytes/workgroup (compile time only)
; SGPRBlocks: 10
; VGPRBlocks: 3
; NumSGPRsForWavesPerEU: 84
; NumVGPRsForWavesPerEU: 28
; AccumOffset: 28
; Occupancy: 8
; WaveLimiterHint : 1
; COMPUTE_PGM_RSRC2:SCRATCH_EN: 0
; COMPUTE_PGM_RSRC2:USER_SGPR: 6
; COMPUTE_PGM_RSRC2:TRAP_HANDLER: 0
; COMPUTE_PGM_RSRC2:TGID_X_EN: 1
; COMPUTE_PGM_RSRC2:TGID_Y_EN: 0
; COMPUTE_PGM_RSRC2:TGID_Z_EN: 0
; COMPUTE_PGM_RSRC2:TIDIG_COMP_CNT: 0
; COMPUTE_PGM_RSRC3_GFX90A:ACCUM_OFFSET: 6
; COMPUTE_PGM_RSRC3_GFX90A:TG_SPLIT: 0
	.section	.text._ZN9rocsparseL26csrgemm_group_reduce_part2ILj256ELj11EdiiEEvT3_PKT2_PS1_Pij,"axG",@progbits,_ZN9rocsparseL26csrgemm_group_reduce_part2ILj256ELj11EdiiEEvT3_PKT2_PS1_Pij,comdat
	.globl	_ZN9rocsparseL26csrgemm_group_reduce_part2ILj256ELj11EdiiEEvT3_PKT2_PS1_Pij ; -- Begin function _ZN9rocsparseL26csrgemm_group_reduce_part2ILj256ELj11EdiiEEvT3_PKT2_PS1_Pij
	.p2align	8
	.type	_ZN9rocsparseL26csrgemm_group_reduce_part2ILj256ELj11EdiiEEvT3_PKT2_PS1_Pij,@function
_ZN9rocsparseL26csrgemm_group_reduce_part2ILj256ELj11EdiiEEvT3_PKT2_PS1_Pij: ; @_ZN9rocsparseL26csrgemm_group_reduce_part2ILj256ELj11EdiiEEvT3_PKT2_PS1_Pij
; %bb.0:
	s_load_dword s7, s[4:5], 0x0
	s_load_dwordx2 s[0:1], s[4:5], 0x10
	v_mul_u32_u24_e32 v1, 11, v0
	v_lshl_or_b32 v2, s6, 8, v0
	v_lshlrev_b32_e32 v1, 2, v1
	v_mov_b32_e32 v6, 0
	s_waitcnt lgkmcnt(0)
	v_cmp_gt_i32_e32 vcc, s7, v2
	ds_write2_b32 v1, v6, v6 offset1:1
	ds_write2_b32 v1, v6, v6 offset0:2 offset1:3
	ds_write2_b32 v1, v6, v6 offset0:4 offset1:5
	;; [unrolled: 1-line block ×4, first 2 shown]
	ds_write_b32 v1, v6 offset:40
	s_waitcnt lgkmcnt(0)
	s_and_saveexec_b64 s[2:3], vcc
	s_cbranch_execz .LBB24_43
; %bb.1:
	s_load_dword s18, s[4:5], 0x20
	s_load_dwordx2 s[8:9], s[4:5], 0x8
	s_load_dwordx2 s[10:11], s[4:5], 0x18
	s_load_dword s20, s[4:5], 0x28
	s_mov_b64 s[4:5], 0
	s_waitcnt lgkmcnt(0)
	s_cmpk_lt_u32 s18, 0xc084
	s_cselect_b64 s[12:13], -1, 0
	s_cmp_lt_u32 s18, 0x18084
	s_cselect_b64 s[14:15], -1, 0
	s_cmp_lt_u32 s18, 0x30084
	;; [unrolled: 2-line block ×3, first 2 shown]
	s_cselect_b64 s[18:19], -1, 0
	s_lshl_b32 s33, s20, 8
	v_mov_b32_e32 v7, s9
	s_movk_i32 s9, 0x100
	s_movk_i32 s42, 0x200
	;; [unrolled: 1-line block ×5, first 2 shown]
	s_xor_b64 s[12:13], s[12:13], -1
	v_mov_b32_e32 v8, 6
	s_movk_i32 s46, 0x2001
	s_xor_b64 s[14:15], s[14:15], -1
	v_mov_b32_e32 v9, 7
	s_movk_i32 s47, 0x4001
	s_xor_b64 s[16:17], s[16:17], -1
	v_mov_b32_e32 v10, 8
	s_mov_b32 s48, 0x8001
	s_xor_b64 s[18:19], s[18:19], -1
	v_mov_b32_e32 v11, 9
	v_mov_b32_e32 v12, 10
	;; [unrolled: 1-line block ×7, first 2 shown]
	s_branch .LBB24_3
.LBB24_2:                               ;   in Loop: Header=BB24_3 Depth=1
	s_or_b64 exec, exec, s[20:21]
	v_add_u32_e32 v2, s33, v2
	v_cmp_le_i32_e32 vcc, s7, v2
	s_or_b64 s[4:5], vcc, s[4:5]
	s_andn2_b64 exec, exec, s[4:5]
	s_cbranch_execz .LBB24_43
.LBB24_3:                               ; =>This Inner Loop Header: Depth=1
	v_ashrrev_i32_e32 v3, 31, v2
	v_lshlrev_b64 v[4:5], 2, v[2:3]
	v_add_co_u32_e32 v18, vcc, s8, v4
	v_addc_co_u32_e32 v19, vcc, v7, v5, vcc
	global_load_dwordx2 v[18:19], v[18:19], off
	s_waitcnt vmcnt(0)
	v_sub_u32_e32 v3, v19, v18
	v_cmp_lt_i32_e32 vcc, 16, v3
	s_and_saveexec_b64 s[20:21], vcc
	s_xor_b64 s[20:21], exec, s[20:21]
	s_cbranch_execz .LBB24_41
; %bb.4:                                ;   in Loop: Header=BB24_3 Depth=1
	v_cmp_lt_u32_e32 vcc, 32, v3
	s_and_saveexec_b64 s[22:23], vcc
	s_xor_b64 s[22:23], exec, s[22:23]
	s_cbranch_execz .LBB24_38
; %bb.5:                                ;   in Loop: Header=BB24_3 Depth=1
	v_cmp_lt_u32_e32 vcc, s9, v3
	;; [unrolled: 5-line block ×5, first 2 shown]
	s_and_saveexec_b64 s[30:31], vcc
	s_xor_b64 s[30:31], exec, s[30:31]
	s_cbranch_execz .LBB24_26
; %bb.9:                                ;   in Loop: Header=BB24_3 Depth=1
	v_cmp_gt_u32_e32 vcc, s45, v3
	s_and_b64 s[34:35], s[12:13], vcc
	s_and_saveexec_b64 s[36:37], s[34:35]
	s_xor_b64 s[34:35], exec, s[36:37]
	s_cbranch_execz .LBB24_11
; %bb.10:                               ;   in Loop: Header=BB24_3 Depth=1
	ds_read_b32 v3, v1 offset:24
	v_mov_b32_e32 v18, s11
	v_add_co_u32_e32 v4, vcc, s10, v4
	v_addc_co_u32_e32 v5, vcc, v18, v5, vcc
	s_waitcnt lgkmcnt(0)
	v_add_u32_e32 v3, 1, v3
	ds_write_b32 v1, v3 offset:24
	global_store_dword v[4:5], v8, off
                                        ; implicit-def: $vgpr3
                                        ; implicit-def: $vgpr4_vgpr5
.LBB24_11:                              ;   in Loop: Header=BB24_3 Depth=1
	s_andn2_saveexec_b64 s[34:35], s[34:35]
	s_cbranch_execz .LBB24_25
; %bb.12:                               ;   in Loop: Header=BB24_3 Depth=1
	v_cmp_gt_u32_e32 vcc, s46, v3
	s_and_b64 s[36:37], s[14:15], vcc
	s_and_saveexec_b64 s[38:39], s[36:37]
	s_xor_b64 s[36:37], exec, s[38:39]
	s_cbranch_execz .LBB24_14
; %bb.13:                               ;   in Loop: Header=BB24_3 Depth=1
	ds_read_b32 v3, v1 offset:28
	v_mov_b32_e32 v18, s11
	v_add_co_u32_e32 v4, vcc, s10, v4
	v_addc_co_u32_e32 v5, vcc, v18, v5, vcc
	s_waitcnt lgkmcnt(0)
	v_add_u32_e32 v3, 1, v3
	ds_write_b32 v1, v3 offset:28
	global_store_dword v[4:5], v9, off
                                        ; implicit-def: $vgpr3
                                        ; implicit-def: $vgpr4_vgpr5
.LBB24_14:                              ;   in Loop: Header=BB24_3 Depth=1
	s_andn2_saveexec_b64 s[36:37], s[36:37]
	s_cbranch_execz .LBB24_24
; %bb.15:                               ;   in Loop: Header=BB24_3 Depth=1
	;; [unrolled: 20-line block ×3, first 2 shown]
	v_cmp_gt_u32_e32 vcc, s48, v3
	s_and_b64 s[40:41], s[18:19], vcc
	v_mov_b32_e32 v3, s11
	v_add_co_u32_e32 v4, vcc, s10, v4
	v_addc_co_u32_e32 v5, vcc, v3, v5, vcc
	s_and_saveexec_b64 s[50:51], s[40:41]
	s_xor_b64 s[40:41], exec, s[50:51]
	s_cbranch_execz .LBB24_20
; %bb.19:                               ;   in Loop: Header=BB24_3 Depth=1
	ds_read_b32 v3, v1 offset:36
	global_store_dword v[4:5], v11, off
                                        ; implicit-def: $vgpr4_vgpr5
	s_waitcnt lgkmcnt(0)
	v_add_u32_e32 v3, 1, v3
	ds_write_b32 v1, v3 offset:36
.LBB24_20:                              ;   in Loop: Header=BB24_3 Depth=1
	s_andn2_saveexec_b64 s[40:41], s[40:41]
	s_cbranch_execz .LBB24_22
; %bb.21:                               ;   in Loop: Header=BB24_3 Depth=1
	ds_read_b32 v3, v1 offset:40
	global_store_dword v[4:5], v12, off
	s_waitcnt lgkmcnt(0)
	v_add_u32_e32 v3, 1, v3
	ds_write_b32 v1, v3 offset:40
.LBB24_22:                              ;   in Loop: Header=BB24_3 Depth=1
	s_or_b64 exec, exec, s[40:41]
.LBB24_23:                              ;   in Loop: Header=BB24_3 Depth=1
	s_or_b64 exec, exec, s[38:39]
.LBB24_24:                              ;   in Loop: Header=BB24_3 Depth=1
	s_or_b64 exec, exec, s[36:37]
.LBB24_25:                              ;   in Loop: Header=BB24_3 Depth=1
	s_or_b64 exec, exec, s[34:35]
                                        ; implicit-def: $vgpr4_vgpr5
.LBB24_26:                              ;   in Loop: Header=BB24_3 Depth=1
	s_andn2_saveexec_b64 s[30:31], s[30:31]
	s_cbranch_execz .LBB24_28
; %bb.27:                               ;   in Loop: Header=BB24_3 Depth=1
	ds_read_b32 v3, v1 offset:20
	v_mov_b32_e32 v18, s11
	v_add_co_u32_e32 v4, vcc, s10, v4
	v_addc_co_u32_e32 v5, vcc, v18, v5, vcc
	s_waitcnt lgkmcnt(0)
	v_add_u32_e32 v3, 1, v3
	ds_write_b32 v1, v3 offset:20
	global_store_dword v[4:5], v13, off
.LBB24_28:                              ;   in Loop: Header=BB24_3 Depth=1
	s_or_b64 exec, exec, s[30:31]
                                        ; implicit-def: $vgpr4_vgpr5
.LBB24_29:                              ;   in Loop: Header=BB24_3 Depth=1
	s_andn2_saveexec_b64 s[28:29], s[28:29]
	s_cbranch_execz .LBB24_31
; %bb.30:                               ;   in Loop: Header=BB24_3 Depth=1
	ds_read_b32 v3, v1 offset:16
	v_mov_b32_e32 v18, s11
	v_add_co_u32_e32 v4, vcc, s10, v4
	v_addc_co_u32_e32 v5, vcc, v18, v5, vcc
	s_waitcnt lgkmcnt(0)
	v_add_u32_e32 v3, 1, v3
	ds_write_b32 v1, v3 offset:16
	global_store_dword v[4:5], v14, off
.LBB24_31:                              ;   in Loop: Header=BB24_3 Depth=1
	s_or_b64 exec, exec, s[28:29]
                                        ; implicit-def: $vgpr4_vgpr5
.LBB24_32:                              ;   in Loop: Header=BB24_3 Depth=1
	s_andn2_saveexec_b64 s[26:27], s[26:27]
	s_cbranch_execz .LBB24_34
; %bb.33:                               ;   in Loop: Header=BB24_3 Depth=1
	ds_read_b32 v3, v1 offset:12
	v_mov_b32_e32 v18, s11
	v_add_co_u32_e32 v4, vcc, s10, v4
	v_addc_co_u32_e32 v5, vcc, v18, v5, vcc
	s_waitcnt lgkmcnt(0)
	v_add_u32_e32 v3, 1, v3
	ds_write_b32 v1, v3 offset:12
	global_store_dword v[4:5], v15, off
.LBB24_34:                              ;   in Loop: Header=BB24_3 Depth=1
	s_or_b64 exec, exec, s[26:27]
                                        ; implicit-def: $vgpr4_vgpr5
.LBB24_35:                              ;   in Loop: Header=BB24_3 Depth=1
	s_andn2_saveexec_b64 s[24:25], s[24:25]
	s_cbranch_execz .LBB24_37
; %bb.36:                               ;   in Loop: Header=BB24_3 Depth=1
	ds_read_b32 v3, v1 offset:8
	v_mov_b32_e32 v18, s11
	v_add_co_u32_e32 v4, vcc, s10, v4
	v_addc_co_u32_e32 v5, vcc, v18, v5, vcc
	s_waitcnt lgkmcnt(0)
	v_add_u32_e32 v3, 1, v3
	ds_write_b32 v1, v3 offset:8
	global_store_dword v[4:5], v16, off
.LBB24_37:                              ;   in Loop: Header=BB24_3 Depth=1
	s_or_b64 exec, exec, s[24:25]
                                        ; implicit-def: $vgpr4_vgpr5
.LBB24_38:                              ;   in Loop: Header=BB24_3 Depth=1
	s_andn2_saveexec_b64 s[22:23], s[22:23]
	s_cbranch_execz .LBB24_40
; %bb.39:                               ;   in Loop: Header=BB24_3 Depth=1
	ds_read_b32 v3, v1 offset:4
	v_mov_b32_e32 v18, s11
	v_add_co_u32_e32 v4, vcc, s10, v4
	v_addc_co_u32_e32 v5, vcc, v18, v5, vcc
	s_waitcnt lgkmcnt(0)
	v_add_u32_e32 v3, 1, v3
	ds_write_b32 v1, v3 offset:4
	global_store_dword v[4:5], v17, off
.LBB24_40:                              ;   in Loop: Header=BB24_3 Depth=1
	s_or_b64 exec, exec, s[22:23]
                                        ; implicit-def: $vgpr4_vgpr5
.LBB24_41:                              ;   in Loop: Header=BB24_3 Depth=1
	s_andn2_saveexec_b64 s[20:21], s[20:21]
	s_cbranch_execz .LBB24_2
; %bb.42:                               ;   in Loop: Header=BB24_3 Depth=1
	ds_read_b32 v3, v1
	v_mov_b32_e32 v18, s11
	v_add_co_u32_e32 v4, vcc, s10, v4
	v_addc_co_u32_e32 v5, vcc, v18, v5, vcc
	s_waitcnt lgkmcnt(0)
	v_add_u32_e32 v3, 1, v3
	ds_write_b32 v1, v3
	global_store_dword v[4:5], v6, off
	s_branch .LBB24_2
.LBB24_43:
	s_or_b64 exec, exec, s[2:3]
	s_movk_i32 s2, 0x80
	v_cmp_gt_u32_e32 vcc, s2, v0
	s_waitcnt lgkmcnt(0)
	s_barrier
	s_barrier
	s_barrier
	s_and_saveexec_b64 s[2:3], vcc
	s_cbranch_execz .LBB24_45
; %bb.44:
	v_add_u32_e32 v2, 0x1600, v1
	v_add_u32_e32 v4, 0x1608, v1
	;; [unrolled: 1-line block ×3, first 2 shown]
	ds_read2_b32 v[2:3], v2 offset1:1
	ds_read2_b32 v[4:5], v4 offset1:1
	;; [unrolled: 1-line block ×4, first 2 shown]
	ds_read2_b32 v[10:11], v1 offset0:2 offset1:3
	ds_read2_b32 v[12:13], v1 offset0:4 offset1:5
	;; [unrolled: 1-line block ×4, first 2 shown]
	s_waitcnt lgkmcnt(4)
	v_add_u32_e32 v3, v9, v3
	v_add_u32_e32 v2, v8, v2
	ds_write2_b32 v1, v2, v3 offset1:1
	s_waitcnt lgkmcnt(4)
	v_add_u32_e32 v2, v11, v5
	v_add_u32_e32 v3, v10, v4
	ds_write2_b32 v1, v3, v2 offset0:2 offset1:3
	v_add_u32_e32 v2, 0x1618, v1
	ds_read2_b32 v[2:3], v2 offset1:1
	s_waitcnt lgkmcnt(5)
	v_add_u32_e32 v4, v13, v7
	v_add_u32_e32 v5, v12, v6
	ds_write2_b32 v1, v5, v4 offset0:4 offset1:5
	v_add_u32_e32 v4, 0x1620, v1
	ds_read2_b32 v[4:5], v4 offset1:1
	s_waitcnt lgkmcnt(2)
	v_add_u32_e32 v7, v14, v2
	v_add_u32_e32 v2, 40, v1
	;; [unrolled: 1-line block ×3, first 2 shown]
	ds_read2st64_b32 v[2:3], v2 offset1:22
	s_waitcnt lgkmcnt(1)
	v_add_u32_e32 v5, v17, v5
	v_add_u32_e32 v4, v16, v4
	ds_write2_b32 v1, v7, v6 offset0:6 offset1:7
	ds_write2_b32 v1, v4, v5 offset0:8 offset1:9
	s_waitcnt lgkmcnt(2)
	v_add_u32_e32 v2, v2, v3
	ds_write_b32 v1, v2 offset:40
.LBB24_45:
	s_or_b64 exec, exec, s[2:3]
	v_cmp_gt_u32_e32 vcc, 64, v0
	s_waitcnt lgkmcnt(0)
	s_barrier
	s_and_saveexec_b64 s[2:3], vcc
	s_cbranch_execz .LBB24_47
; %bb.46:
	v_add_u32_e32 v2, 0xb00, v1
	v_add_u32_e32 v4, 0xb08, v1
	;; [unrolled: 1-line block ×3, first 2 shown]
	ds_read2_b32 v[2:3], v2 offset1:1
	ds_read2_b32 v[4:5], v4 offset1:1
	;; [unrolled: 1-line block ×4, first 2 shown]
	ds_read2_b32 v[10:11], v1 offset0:2 offset1:3
	ds_read2_b32 v[12:13], v1 offset0:4 offset1:5
	;; [unrolled: 1-line block ×4, first 2 shown]
	s_waitcnt lgkmcnt(4)
	v_add_u32_e32 v3, v9, v3
	v_add_u32_e32 v2, v8, v2
	ds_write2_b32 v1, v2, v3 offset1:1
	s_waitcnt lgkmcnt(4)
	v_add_u32_e32 v2, v11, v5
	v_add_u32_e32 v3, v10, v4
	ds_write2_b32 v1, v3, v2 offset0:2 offset1:3
	v_add_u32_e32 v2, 0xb18, v1
	ds_read2_b32 v[2:3], v2 offset1:1
	s_waitcnt lgkmcnt(5)
	v_add_u32_e32 v4, v13, v7
	v_add_u32_e32 v5, v12, v6
	ds_write2_b32 v1, v5, v4 offset0:4 offset1:5
	v_add_u32_e32 v4, 0xb20, v1
	ds_read2_b32 v[4:5], v4 offset1:1
	s_waitcnt lgkmcnt(2)
	v_add_u32_e32 v7, v14, v2
	v_add_u32_e32 v2, 40, v1
	;; [unrolled: 1-line block ×3, first 2 shown]
	ds_read2st64_b32 v[2:3], v2 offset1:11
	s_waitcnt lgkmcnt(1)
	v_add_u32_e32 v5, v17, v5
	v_add_u32_e32 v4, v16, v4
	ds_write2_b32 v1, v7, v6 offset0:6 offset1:7
	ds_write2_b32 v1, v4, v5 offset0:8 offset1:9
	s_waitcnt lgkmcnt(2)
	v_add_u32_e32 v2, v2, v3
	ds_write_b32 v1, v2 offset:40
.LBB24_47:
	s_or_b64 exec, exec, s[2:3]
	v_cmp_gt_u32_e32 vcc, 32, v0
	s_waitcnt lgkmcnt(0)
	s_barrier
	s_and_saveexec_b64 s[2:3], vcc
	s_cbranch_execz .LBB24_49
; %bb.48:
	v_add_u32_e32 v2, 0x580, v1
	ds_read2_b32 v[2:3], v2 offset1:1
	ds_read2_b32 v[4:5], v1 offset1:1
	ds_read2_b32 v[6:7], v1 offset0:2 offset1:3
	ds_read2_b32 v[8:9], v1 offset0:4 offset1:5
	;; [unrolled: 1-line block ×3, first 2 shown]
	ds_read_b32 v16, v1 offset:1448
	s_waitcnt lgkmcnt(4)
	v_add_u32_e32 v3, v5, v3
	v_add_u32_e32 v2, v4, v2
	ds_write2_b32 v1, v2, v3 offset1:1
	v_add_u32_e32 v2, 0x588, v1
	ds_read2_b32 v[2:3], v2 offset1:1
	v_add_u32_e32 v4, 0x590, v1
	v_add_u32_e32 v12, 0x598, v1
	;; [unrolled: 1-line block ×3, first 2 shown]
	ds_read2_b32 v[4:5], v4 offset1:1
	ds_read2_b32 v[12:13], v12 offset1:1
	;; [unrolled: 1-line block ×3, first 2 shown]
	s_waitcnt lgkmcnt(3)
	v_add_u32_e32 v3, v7, v3
	v_add_u32_e32 v2, v6, v2
	ds_write2_b32 v1, v2, v3 offset0:2 offset1:3
	s_waitcnt lgkmcnt(3)
	v_add_u32_e32 v2, v9, v5
	v_add_u32_e32 v3, v8, v4
	ds_write2_b32 v1, v3, v2 offset0:4 offset1:5
	ds_read2_b32 v[2:3], v1 offset0:8 offset1:9
	ds_read_b32 v6, v1 offset:40
	s_waitcnt lgkmcnt(5)
	v_add_u32_e32 v4, v11, v13
	v_add_u32_e32 v5, v10, v12
	ds_write2_b32 v1, v5, v4 offset0:6 offset1:7
	s_waitcnt lgkmcnt(2)
	v_add_u32_e32 v3, v3, v15
	v_add_u32_e32 v2, v2, v14
	ds_write2_b32 v1, v2, v3 offset0:8 offset1:9
	s_waitcnt lgkmcnt(2)
	v_add_u32_e32 v2, v6, v16
	ds_write_b32 v1, v2 offset:40
.LBB24_49:
	s_or_b64 exec, exec, s[2:3]
	v_cmp_gt_u32_e32 vcc, 16, v0
	s_waitcnt lgkmcnt(0)
	s_barrier
	s_and_saveexec_b64 s[2:3], vcc
	s_cbranch_execz .LBB24_51
; %bb.50:
	ds_read2_b32 v[2:3], v1 offset0:176 offset1:177
	ds_read2_b32 v[4:5], v1 offset0:178 offset1:179
	ds_read2_b32 v[6:7], v1 offset0:180 offset1:181
	ds_read2_b32 v[8:9], v1 offset1:1
	ds_read2_b32 v[10:11], v1 offset0:2 offset1:3
	ds_read2_b32 v[12:13], v1 offset0:4 offset1:5
	ds_read2_b32 v[14:15], v1 offset0:6 offset1:7
	ds_read2_b32 v[16:17], v1 offset0:8 offset1:9
	s_waitcnt lgkmcnt(4)
	v_add_u32_e32 v3, v9, v3
	v_add_u32_e32 v2, v8, v2
	ds_write2_b32 v1, v2, v3 offset1:1
	s_waitcnt lgkmcnt(4)
	v_add_u32_e32 v2, v11, v5
	v_add_u32_e32 v3, v10, v4
	ds_write2_b32 v1, v3, v2 offset0:2 offset1:3
	ds_read2_b32 v[2:3], v1 offset0:182 offset1:183
	s_waitcnt lgkmcnt(5)
	v_add_u32_e32 v4, v13, v7
	v_add_u32_e32 v5, v12, v6
	ds_write2_b32 v1, v5, v4 offset0:4 offset1:5
	ds_read2_b32 v[4:5], v1 offset0:184 offset1:185
	s_waitcnt lgkmcnt(2)
	v_add_u32_e32 v6, v15, v3
	v_add_u32_e32 v7, v14, v2
	ds_read2_b32 v[2:3], v1 offset0:10 offset1:186
	ds_write2_b32 v1, v7, v6 offset0:6 offset1:7
	s_waitcnt lgkmcnt(2)
	v_add_u32_e32 v5, v17, v5
	v_add_u32_e32 v4, v16, v4
	ds_write2_b32 v1, v4, v5 offset0:8 offset1:9
	s_waitcnt lgkmcnt(2)
	v_add_u32_e32 v2, v2, v3
	ds_write_b32 v1, v2 offset:40
.LBB24_51:
	s_or_b64 exec, exec, s[2:3]
	v_cmp_gt_u32_e32 vcc, 8, v0
	s_waitcnt lgkmcnt(0)
	s_barrier
	s_and_saveexec_b64 s[2:3], vcc
	s_cbranch_execz .LBB24_53
; %bb.52:
	ds_read2_b32 v[2:3], v1 offset0:88 offset1:89
	ds_read2_b32 v[4:5], v1 offset0:90 offset1:91
	ds_read2_b32 v[6:7], v1 offset0:92 offset1:93
	ds_read2_b32 v[8:9], v1 offset1:1
	ds_read2_b32 v[10:11], v1 offset0:2 offset1:3
	ds_read2_b32 v[12:13], v1 offset0:4 offset1:5
	ds_read2_b32 v[14:15], v1 offset0:6 offset1:7
	ds_read2_b32 v[16:17], v1 offset0:8 offset1:9
	s_waitcnt lgkmcnt(4)
	v_add_u32_e32 v3, v9, v3
	v_add_u32_e32 v2, v8, v2
	ds_write2_b32 v1, v2, v3 offset1:1
	s_waitcnt lgkmcnt(4)
	v_add_u32_e32 v2, v11, v5
	v_add_u32_e32 v3, v10, v4
	ds_write2_b32 v1, v3, v2 offset0:2 offset1:3
	ds_read2_b32 v[2:3], v1 offset0:94 offset1:95
	s_waitcnt lgkmcnt(5)
	v_add_u32_e32 v4, v13, v7
	v_add_u32_e32 v5, v12, v6
	ds_write2_b32 v1, v5, v4 offset0:4 offset1:5
	ds_read2_b32 v[4:5], v1 offset0:96 offset1:97
	s_waitcnt lgkmcnt(2)
	v_add_u32_e32 v6, v15, v3
	v_add_u32_e32 v7, v14, v2
	ds_read2_b32 v[2:3], v1 offset0:10 offset1:98
	ds_write2_b32 v1, v7, v6 offset0:6 offset1:7
	s_waitcnt lgkmcnt(2)
	v_add_u32_e32 v5, v17, v5
	v_add_u32_e32 v4, v16, v4
	ds_write2_b32 v1, v4, v5 offset0:8 offset1:9
	s_waitcnt lgkmcnt(2)
	v_add_u32_e32 v2, v2, v3
	ds_write_b32 v1, v2 offset:40
.LBB24_53:
	;; [unrolled: 42-line block ×4, first 2 shown]
	s_or_b64 exec, exec, s[2:3]
	v_cmp_eq_u32_e32 vcc, 0, v0
	s_waitcnt lgkmcnt(0)
	s_barrier
	s_and_saveexec_b64 s[2:3], vcc
	s_cbranch_execz .LBB24_59
; %bb.58:
	v_mov_b32_e32 v1, 0
	ds_read2_b32 v[14:15], v1 offset0:11 offset1:12
	ds_read_b128 v[2:5], v1
	ds_read_b128 v[6:9], v1 offset:16
	ds_read_b96 v[10:12], v1 offset:32
	ds_read2_b32 v[16:17], v1 offset0:13 offset1:14
	s_waitcnt lgkmcnt(3)
	v_add_u32_e32 v3, v3, v15
	v_add_u32_e32 v2, v2, v14
	ds_read2_b32 v[14:15], v1 offset0:15 offset1:16
	ds_read2_b32 v[18:19], v1 offset0:17 offset1:18
	;; [unrolled: 1-line block ×3, first 2 shown]
	s_waitcnt lgkmcnt(3)
	v_add_u32_e32 v5, v5, v17
	v_add_u32_e32 v4, v4, v16
	ds_write_b128 v1, v[2:5]
	s_waitcnt lgkmcnt(3)
	v_add_u32_e32 v2, v6, v14
	ds_read_b32 v6, v1 offset:84
	v_add_u32_e32 v3, v7, v15
	s_waitcnt lgkmcnt(3)
	v_add_u32_e32 v5, v9, v19
	v_add_u32_e32 v4, v8, v18
	ds_write_b128 v1, v[2:5] offset:16
	s_waitcnt lgkmcnt(3)
	v_add_u32_e32 v3, v11, v21
	v_add_u32_e32 v2, v10, v20
	s_waitcnt lgkmcnt(1)
	v_add_u32_e32 v4, v12, v6
	ds_write_b96 v1, v[2:4] offset:32
.LBB24_59:
	s_or_b64 exec, exec, s[2:3]
	v_cmp_gt_u32_e32 vcc, 11, v0
	s_waitcnt lgkmcnt(0)
	s_barrier
	s_and_saveexec_b64 s[2:3], vcc
	s_cbranch_execz .LBB24_61
; %bb.60:
	v_mad_u64_u32 v[2:3], s[2:3], s6, 11, v[0:1]
	v_lshlrev_b32_e32 v0, 2, v0
	ds_read_b32 v4, v0
	v_mov_b32_e32 v3, 0
	v_lshlrev_b64 v[2:3], 2, v[2:3]
	v_mov_b32_e32 v1, s1
	v_add_co_u32_e32 v0, vcc, s0, v2
	v_addc_co_u32_e32 v1, vcc, v1, v3, vcc
	s_waitcnt lgkmcnt(0)
	global_store_dword v[0:1], v4, off
.LBB24_61:
	s_endpgm
	.section	.rodata,"a",@progbits
	.p2align	6, 0x0
	.amdhsa_kernel _ZN9rocsparseL26csrgemm_group_reduce_part2ILj256ELj11EdiiEEvT3_PKT2_PS1_Pij
		.amdhsa_group_segment_fixed_size 11264
		.amdhsa_private_segment_fixed_size 0
		.amdhsa_kernarg_size 296
		.amdhsa_user_sgpr_count 6
		.amdhsa_user_sgpr_private_segment_buffer 1
		.amdhsa_user_sgpr_dispatch_ptr 0
		.amdhsa_user_sgpr_queue_ptr 0
		.amdhsa_user_sgpr_kernarg_segment_ptr 1
		.amdhsa_user_sgpr_dispatch_id 0
		.amdhsa_user_sgpr_flat_scratch_init 0
		.amdhsa_user_sgpr_kernarg_preload_length 0
		.amdhsa_user_sgpr_kernarg_preload_offset 0
		.amdhsa_user_sgpr_private_segment_size 0
		.amdhsa_uses_dynamic_stack 0
		.amdhsa_system_sgpr_private_segment_wavefront_offset 0
		.amdhsa_system_sgpr_workgroup_id_x 1
		.amdhsa_system_sgpr_workgroup_id_y 0
		.amdhsa_system_sgpr_workgroup_id_z 0
		.amdhsa_system_sgpr_workgroup_info 0
		.amdhsa_system_vgpr_workitem_id 0
		.amdhsa_next_free_vgpr 22
		.amdhsa_next_free_sgpr 52
		.amdhsa_accum_offset 24
		.amdhsa_reserve_vcc 1
		.amdhsa_reserve_flat_scratch 0
		.amdhsa_float_round_mode_32 0
		.amdhsa_float_round_mode_16_64 0
		.amdhsa_float_denorm_mode_32 3
		.amdhsa_float_denorm_mode_16_64 3
		.amdhsa_dx10_clamp 1
		.amdhsa_ieee_mode 1
		.amdhsa_fp16_overflow 0
		.amdhsa_tg_split 0
		.amdhsa_exception_fp_ieee_invalid_op 0
		.amdhsa_exception_fp_denorm_src 0
		.amdhsa_exception_fp_ieee_div_zero 0
		.amdhsa_exception_fp_ieee_overflow 0
		.amdhsa_exception_fp_ieee_underflow 0
		.amdhsa_exception_fp_ieee_inexact 0
		.amdhsa_exception_int_div_zero 0
	.end_amdhsa_kernel
	.section	.text._ZN9rocsparseL26csrgemm_group_reduce_part2ILj256ELj11EdiiEEvT3_PKT2_PS1_Pij,"axG",@progbits,_ZN9rocsparseL26csrgemm_group_reduce_part2ILj256ELj11EdiiEEvT3_PKT2_PS1_Pij,comdat
.Lfunc_end24:
	.size	_ZN9rocsparseL26csrgemm_group_reduce_part2ILj256ELj11EdiiEEvT3_PKT2_PS1_Pij, .Lfunc_end24-_ZN9rocsparseL26csrgemm_group_reduce_part2ILj256ELj11EdiiEEvT3_PKT2_PS1_Pij
                                        ; -- End function
	.section	.AMDGPU.csdata,"",@progbits
; Kernel info:
; codeLenInByte = 3140
; NumSgprs: 56
; NumVgprs: 22
; NumAgprs: 0
; TotalNumVgprs: 22
; ScratchSize: 0
; MemoryBound: 0
; FloatMode: 240
; IeeeMode: 1
; LDSByteSize: 11264 bytes/workgroup (compile time only)
; SGPRBlocks: 6
; VGPRBlocks: 2
; NumSGPRsForWavesPerEU: 56
; NumVGPRsForWavesPerEU: 22
; AccumOffset: 24
; Occupancy: 5
; WaveLimiterHint : 0
; COMPUTE_PGM_RSRC2:SCRATCH_EN: 0
; COMPUTE_PGM_RSRC2:USER_SGPR: 6
; COMPUTE_PGM_RSRC2:TRAP_HANDLER: 0
; COMPUTE_PGM_RSRC2:TGID_X_EN: 1
; COMPUTE_PGM_RSRC2:TGID_Y_EN: 0
; COMPUTE_PGM_RSRC2:TGID_Z_EN: 0
; COMPUTE_PGM_RSRC2:TIDIG_COMP_CNT: 0
; COMPUTE_PGM_RSRC3_GFX90A:ACCUM_OFFSET: 5
; COMPUTE_PGM_RSRC3_GFX90A:TG_SPLIT: 0
	.section	.text._ZN9rocsparseL23csrgemm_fill_wf_per_rowILj256ELj8ELj16ELj137EiidEEvT4_S1_PKS1_S3_NS_24const_host_device_scalarIT5_EEPKT3_S3_PKS5_S9_S3_SB_S6_S9_S3_SB_S9_PS1_PS5_21rocsparse_index_base_SE_SE_SE_bbb,"axG",@progbits,_ZN9rocsparseL23csrgemm_fill_wf_per_rowILj256ELj8ELj16ELj137EiidEEvT4_S1_PKS1_S3_NS_24const_host_device_scalarIT5_EEPKT3_S3_PKS5_S9_S3_SB_S6_S9_S3_SB_S9_PS1_PS5_21rocsparse_index_base_SE_SE_SE_bbb,comdat
	.globl	_ZN9rocsparseL23csrgemm_fill_wf_per_rowILj256ELj8ELj16ELj137EiidEEvT4_S1_PKS1_S3_NS_24const_host_device_scalarIT5_EEPKT3_S3_PKS5_S9_S3_SB_S6_S9_S3_SB_S9_PS1_PS5_21rocsparse_index_base_SE_SE_SE_bbb ; -- Begin function _ZN9rocsparseL23csrgemm_fill_wf_per_rowILj256ELj8ELj16ELj137EiidEEvT4_S1_PKS1_S3_NS_24const_host_device_scalarIT5_EEPKT3_S3_PKS5_S9_S3_SB_S6_S9_S3_SB_S9_PS1_PS5_21rocsparse_index_base_SE_SE_SE_bbb
	.p2align	8
	.type	_ZN9rocsparseL23csrgemm_fill_wf_per_rowILj256ELj8ELj16ELj137EiidEEvT4_S1_PKS1_S3_NS_24const_host_device_scalarIT5_EEPKT3_S3_PKS5_S9_S3_SB_S6_S9_S3_SB_S9_PS1_PS5_21rocsparse_index_base_SE_SE_SE_bbb,@function
_ZN9rocsparseL23csrgemm_fill_wf_per_rowILj256ELj8ELj16ELj137EiidEEvT4_S1_PKS1_S3_NS_24const_host_device_scalarIT5_EEPKT3_S3_PKS5_S9_S3_SB_S6_S9_S3_SB_S9_PS1_PS5_21rocsparse_index_base_SE_SE_SE_bbb: ; @_ZN9rocsparseL23csrgemm_fill_wf_per_rowILj256ELj8ELj16ELj137EiidEEvT4_S1_PKS1_S3_NS_24const_host_device_scalarIT5_EEPKT3_S3_PKS5_S9_S3_SB_S6_S9_S3_SB_S9_PS1_PS5_21rocsparse_index_base_SE_SE_SE_bbb
; %bb.0:
	s_load_dword s7, s[4:5], 0x98
	s_load_dwordx4 s[0:3], s[4:5], 0x88
	s_load_dwordx2 s[8:9], s[4:5], 0x18
	s_load_dwordx2 s[42:43], s[4:5], 0x50
	s_waitcnt lgkmcnt(0)
	s_and_b32 s10, 1, s7
	s_bitcmp1_b32 s7, 16
	s_cselect_b64 s[44:45], -1, 0
	s_cmp_eq_u32 s10, 1
	s_cselect_b64 s[40:41], -1, 0
	s_and_b64 s[10:11], s[40:41], exec
	s_cselect_b32 s11, s9, 0
	s_cselect_b32 s10, s8, 0
	s_xor_b64 s[12:13], s[40:41], -1
	s_or_b64 s[12:13], s[12:13], s[44:45]
	s_and_b64 vcc, exec, s[12:13]
	v_pk_mov_b32 v[4:5], s[10:11], s[10:11] op_sel:[0,1]
	s_cbranch_vccnz .LBB25_2
; %bb.1:
	v_pk_mov_b32 v[2:3], s[8:9], s[8:9] op_sel:[0,1]
	flat_load_dwordx2 v[4:5], v[2:3]
.LBB25_2:
	s_load_dwordx4 s[24:27], s[4:5], 0x78
	s_load_dwordx8 s[8:15], s[4:5], 0x58
	s_load_dwordx4 s[28:31], s[4:5], 0x40
	s_load_dwordx4 s[36:39], s[4:5], 0x8
	s_load_dwordx8 s[16:23], s[4:5], 0x20
	s_bitcmp1_b32 s7, 8
	s_cselect_b64 s[34:35], -1, 0
	s_and_b64 s[46:47], s[34:35], exec
	s_cselect_b32 s47, s43, 0
	s_cselect_b32 s46, s42, 0
	s_xor_b64 s[48:49], s[34:35], -1
	s_or_b64 s[44:45], s[48:49], s[44:45]
	s_and_b64 vcc, exec, s[44:45]
	v_pk_mov_b32 v[2:3], s[46:47], s[46:47] op_sel:[0,1]
	s_cbranch_vccnz .LBB25_4
; %bb.3:
	v_pk_mov_b32 v[2:3], s[42:43], s[42:43] op_sel:[0,1]
	flat_load_dwordx2 v[2:3], v[2:3]
.LBB25_4:
	s_load_dwordx2 s[4:5], s[4:5], 0x0
	v_and_b32_e32 v19, 7, v0
	v_lshrrev_b32_e32 v6, 3, v0
	v_lshlrev_b32_e32 v0, 3, v19
	v_lshl_or_b32 v15, v6, 7, v0
	v_lshlrev_b32_e32 v0, 6, v6
	v_lshlrev_b32_e32 v1, 2, v19
	s_movk_i32 s7, 0x1000
	v_or_b32_e32 v14, -8, v19
	v_or3_b32 v16, v0, v1, s7
	v_mov_b32_e32 v0, 0
	s_mov_b64 s[42:43], 0
	s_waitcnt lgkmcnt(0)
	v_mov_b32_e32 v7, s5
	v_mov_b32_e32 v1, v0
	;; [unrolled: 1-line block ×5, first 2 shown]
.LBB25_5:                               ; =>This Inner Loop Header: Depth=1
	v_add_co_u32_e32 v10, vcc, 8, v10
	s_xor_b64 s[44:45], vcc, -1
	s_and_b64 s[44:45], exec, s[44:45]
	ds_write_b32 v8, v7
	ds_write_b64 v9, v[0:1]
	v_add_u32_e32 v9, 64, v9
	s_or_b64 s[42:43], s[44:45], s[42:43]
	v_add_u32_e32 v8, 32, v8
	s_andn2_b64 exec, exec, s[42:43]
	s_cbranch_execnz .LBB25_5
; %bb.6:
	s_or_b64 exec, exec, s[42:43]
	s_lshl_b32 s6, s6, 5
	s_and_b32 s6, s6, 0x1fffffe0
	v_or_b32_e32 v0, s6, v6
	v_cmp_gt_i32_e32 vcc, s4, v0
	s_waitcnt lgkmcnt(0)
	s_and_saveexec_b64 s[6:7], vcc
	s_cbranch_execz .LBB25_50
; %bb.7:
	s_cmp_eq_u64 s[38:39], 0
	s_cbranch_scc1 .LBB25_9
; %bb.8:
	s_load_dword s4, s[36:37], 0x0
	v_mov_b32_e32 v7, s39
	s_waitcnt lgkmcnt(0)
	v_add_u32_e32 v0, s4, v0
	v_ashrrev_i32_e32 v1, 31, v0
	v_lshlrev_b64 v[0:1], 2, v[0:1]
	v_add_co_u32_e32 v0, vcc, s38, v0
	v_addc_co_u32_e32 v1, vcc, v7, v1, vcc
	global_load_dword v0, v[0:1], off
.LBB25_9:
	v_mov_b32_e32 v1, 0x1000
	v_lshl_or_b32 v17, v6, 6, v1
	s_waitcnt vmcnt(0)
	v_ashrrev_i32_e32 v1, 31, v0
	v_lshlrev_b32_e32 v18, 7, v6
	s_andn2_b64 vcc, exec, s[40:41]
	v_lshlrev_b64 v[0:1], 2, v[0:1]
	s_cbranch_vccnz .LBB25_29
; %bb.10:
	v_mov_b32_e32 v7, s17
	v_add_co_u32_e32 v6, vcc, s16, v0
	v_addc_co_u32_e32 v7, vcc, v7, v1, vcc
	global_load_dwordx2 v[6:7], v[6:7], off
	v_subrev_u32_e32 v8, s0, v19
	s_waitcnt vmcnt(0)
	v_subrev_u32_e32 v20, s0, v7
	v_add_u32_e32 v6, v6, v8
	v_cmp_lt_i32_e32 vcc, v6, v20
	s_and_saveexec_b64 s[6:7], vcc
	s_cbranch_execz .LBB25_28
; %bb.11:
	s_mov_b64 s[16:17], 0
	v_mov_b32_e32 v21, s19
	v_mov_b32_e32 v22, s23
	s_branch .LBB25_13
.LBB25_12:                              ;   in Loop: Header=BB25_13 Depth=1
	s_or_b64 exec, exec, s[36:37]
	v_add_u32_e32 v6, 8, v6
	v_cmp_ge_i32_e32 vcc, v6, v20
	s_or_b64 s[16:17], vcc, s[16:17]
	s_andn2_b64 exec, exec, s[16:17]
	s_cbranch_execz .LBB25_28
.LBB25_13:                              ; =>This Loop Header: Depth=1
                                        ;     Child Loop BB25_16 Depth 2
                                        ;       Child Loop BB25_18 Depth 3
	v_ashrrev_i32_e32 v7, 31, v6
	v_lshlrev_b64 v[8:9], 2, v[6:7]
	v_add_co_u32_e32 v8, vcc, s18, v8
	v_addc_co_u32_e32 v9, vcc, v21, v9, vcc
	global_load_dword v8, v[8:9], off
	s_waitcnt vmcnt(0)
	v_subrev_u32_e32 v8, s0, v8
	v_ashrrev_i32_e32 v9, 31, v8
	v_lshlrev_b64 v[8:9], 2, v[8:9]
	v_add_co_u32_e32 v8, vcc, s22, v8
	v_addc_co_u32_e32 v9, vcc, v22, v9, vcc
	global_load_dwordx2 v[8:9], v[8:9], off
	s_waitcnt vmcnt(0)
	v_cmp_lt_i32_e32 vcc, v8, v9
	s_and_saveexec_b64 s[36:37], vcc
	s_cbranch_execz .LBB25_12
; %bb.14:                               ;   in Loop: Header=BB25_13 Depth=1
	v_lshlrev_b64 v[10:11], 3, v[6:7]
	v_mov_b32_e32 v7, s21
	v_add_co_u32_e32 v10, vcc, s20, v10
	v_addc_co_u32_e32 v11, vcc, v7, v11, vcc
	global_load_dwordx2 v[10:11], v[10:11], off
	v_subrev_u32_e32 v7, s1, v9
	v_subrev_u32_e32 v8, s1, v8
	s_mov_b64 s[38:39], 0
	s_waitcnt vmcnt(0)
	v_mul_f64 v[10:11], v[4:5], v[10:11]
	s_branch .LBB25_16
.LBB25_15:                              ;   in Loop: Header=BB25_16 Depth=2
	s_or_b64 exec, exec, s[40:41]
	v_add_u32_e32 v8, 1, v8
	v_cmp_ge_i32_e32 vcc, v8, v7
	s_or_b64 s[38:39], vcc, s[38:39]
	s_andn2_b64 exec, exec, s[38:39]
	s_cbranch_execz .LBB25_12
.LBB25_16:                              ;   Parent Loop BB25_13 Depth=1
                                        ; =>  This Loop Header: Depth=2
                                        ;       Child Loop BB25_18 Depth 3
	v_ashrrev_i32_e32 v9, 31, v8
	v_lshlrev_b64 v[12:13], 2, v[8:9]
	v_mov_b32_e32 v23, s29
	v_add_co_u32_e32 v12, vcc, s28, v12
	v_addc_co_u32_e32 v13, vcc, v23, v13, vcc
	global_load_dword v23, v[12:13], off
	v_lshlrev_b64 v[12:13], 3, v[8:9]
	v_mov_b32_e32 v9, s31
	v_add_co_u32_e32 v12, vcc, s30, v12
	v_addc_co_u32_e32 v13, vcc, v9, v13, vcc
	global_load_dwordx2 v[12:13], v[12:13], off
	s_mov_b64 s[40:41], 0
	s_waitcnt vmcnt(1)
	v_subrev_u32_e32 v9, s1, v23
	v_lshl_add_u32 v23, v9, 3, v9
	v_and_b32_e32 v23, 15, v23
	s_waitcnt vmcnt(0)
	v_mul_f64 v[12:13], v[10:11], v[12:13]
	s_branch .LBB25_18
.LBB25_17:                              ;   in Loop: Header=BB25_18 Depth=3
	s_or_b64 exec, exec, s[42:43]
	s_xor_b64 s[42:43], s[44:45], -1
	s_and_b64 s[42:43], exec, s[42:43]
	s_or_b64 s[40:41], s[42:43], s[40:41]
	s_andn2_b64 exec, exec, s[40:41]
	s_cbranch_execz .LBB25_15
.LBB25_18:                              ;   Parent Loop BB25_13 Depth=1
                                        ;     Parent Loop BB25_16 Depth=2
                                        ; =>    This Inner Loop Header: Depth=3
	v_lshl_add_u32 v24, v23, 2, v17
	ds_read_b32 v25, v24
                                        ; implicit-def: $sgpr44_sgpr45
	s_waitcnt lgkmcnt(0)
	v_cmp_ne_u32_e32 vcc, v25, v9
	s_and_saveexec_b64 s[42:43], vcc
	s_xor_b64 s[42:43], exec, s[42:43]
	s_cbranch_execz .LBB25_26
; %bb.19:                               ;   in Loop: Header=BB25_18 Depth=3
	v_cmp_ne_u32_e32 vcc, s5, v25
                                        ; implicit-def: $sgpr44_sgpr45
	s_and_saveexec_b64 s[46:47], vcc
	s_xor_b64 s[46:47], exec, s[46:47]
; %bb.20:                               ;   in Loop: Header=BB25_18 Depth=3
	v_add_u32_e32 v23, 1, v23
	v_and_b32_e32 v23, 15, v23
	s_mov_b64 s[44:45], -1
                                        ; implicit-def: $vgpr24
; %bb.21:                               ;   in Loop: Header=BB25_18 Depth=3
	s_andn2_saveexec_b64 s[46:47], s[46:47]
	s_cbranch_execz .LBB25_25
; %bb.22:                               ;   in Loop: Header=BB25_18 Depth=3
	v_mov_b32_e32 v25, s5
	ds_cmpst_rtn_b32 v24, v24, v25, v9
	s_mov_b64 s[48:49], -1
	s_waitcnt lgkmcnt(0)
	v_cmp_eq_u32_e32 vcc, s5, v24
	s_and_saveexec_b64 s[50:51], vcc
	s_cbranch_execz .LBB25_24
; %bb.23:                               ;   in Loop: Header=BB25_18 Depth=3
	v_lshl_add_u32 v24, v23, 3, v18
	ds_add_f64 v24, v[12:13]
	s_xor_b64 s[48:49], exec, -1
.LBB25_24:                              ;   in Loop: Header=BB25_18 Depth=3
	s_or_b64 exec, exec, s[50:51]
	s_andn2_b64 s[44:45], s[44:45], exec
	s_and_b64 s[48:49], s[48:49], exec
	s_or_b64 s[44:45], s[44:45], s[48:49]
.LBB25_25:                              ;   in Loop: Header=BB25_18 Depth=3
	s_or_b64 exec, exec, s[46:47]
	s_and_b64 s[44:45], s[44:45], exec
.LBB25_26:                              ;   in Loop: Header=BB25_18 Depth=3
	s_andn2_saveexec_b64 s[42:43], s[42:43]
	s_cbranch_execz .LBB25_17
; %bb.27:                               ;   in Loop: Header=BB25_18 Depth=3
	v_lshl_add_u32 v24, v23, 3, v18
	ds_add_f64 v24, v[12:13]
	s_andn2_b64 s[44:45], s[44:45], exec
	s_branch .LBB25_17
.LBB25_28:
	s_or_b64 exec, exec, s[6:7]
.LBB25_29:
	s_andn2_b64 vcc, exec, s[34:35]
	s_cbranch_vccnz .LBB25_46
; %bb.30:
	v_mov_b32_e32 v5, s9
	v_add_co_u32_e32 v4, vcc, s8, v0
	v_addc_co_u32_e32 v5, vcc, v5, v1, vcc
	global_load_dwordx2 v[4:5], v[4:5], off
	v_subrev_u32_e32 v6, s3, v19
	s_waitcnt vmcnt(0)
	v_subrev_u32_e32 v8, s3, v5
	v_add_u32_e32 v4, v4, v6
	v_cmp_lt_i32_e32 vcc, v4, v8
	s_and_saveexec_b64 s[0:1], vcc
	s_cbranch_execz .LBB25_45
; %bb.31:
	s_mov_b64 s[6:7], 0
	v_mov_b32_e32 v9, s11
	v_mov_b32_e32 v10, s13
	s_branch .LBB25_33
.LBB25_32:                              ;   in Loop: Header=BB25_33 Depth=1
	s_or_b64 exec, exec, s[8:9]
	v_add_u32_e32 v4, 8, v4
	v_cmp_ge_i32_e32 vcc, v4, v8
	s_or_b64 s[6:7], vcc, s[6:7]
	s_andn2_b64 exec, exec, s[6:7]
	s_cbranch_execz .LBB25_45
.LBB25_33:                              ; =>This Loop Header: Depth=1
                                        ;     Child Loop BB25_35 Depth 2
	v_ashrrev_i32_e32 v5, 31, v4
	v_lshlrev_b64 v[6:7], 2, v[4:5]
	v_add_co_u32_e32 v6, vcc, s10, v6
	v_addc_co_u32_e32 v7, vcc, v9, v7, vcc
	global_load_dword v11, v[6:7], off
	v_lshlrev_b64 v[6:7], 3, v[4:5]
	v_add_co_u32_e32 v6, vcc, s12, v6
	v_addc_co_u32_e32 v7, vcc, v10, v7, vcc
	global_load_dwordx2 v[6:7], v[6:7], off
	s_mov_b64 s[8:9], 0
	s_waitcnt vmcnt(1)
	v_subrev_u32_e32 v5, s3, v11
	v_lshl_add_u32 v11, v5, 3, v5
	v_and_b32_e32 v11, 15, v11
	s_waitcnt vmcnt(0)
	v_mul_f64 v[6:7], v[2:3], v[6:7]
	s_branch .LBB25_35
.LBB25_34:                              ;   in Loop: Header=BB25_35 Depth=2
	s_or_b64 exec, exec, s[16:17]
	s_xor_b64 s[16:17], s[18:19], -1
	s_and_b64 s[16:17], exec, s[16:17]
	s_or_b64 s[8:9], s[16:17], s[8:9]
	s_andn2_b64 exec, exec, s[8:9]
	s_cbranch_execz .LBB25_32
.LBB25_35:                              ;   Parent Loop BB25_33 Depth=1
                                        ; =>  This Inner Loop Header: Depth=2
	v_lshl_add_u32 v12, v11, 2, v17
	ds_read_b32 v13, v12
                                        ; implicit-def: $sgpr18_sgpr19
	s_waitcnt lgkmcnt(0)
	v_cmp_ne_u32_e32 vcc, v13, v5
	s_and_saveexec_b64 s[16:17], vcc
	s_xor_b64 s[16:17], exec, s[16:17]
	s_cbranch_execz .LBB25_43
; %bb.36:                               ;   in Loop: Header=BB25_35 Depth=2
	v_cmp_ne_u32_e32 vcc, s5, v13
                                        ; implicit-def: $sgpr18_sgpr19
	s_and_saveexec_b64 s[20:21], vcc
	s_xor_b64 s[20:21], exec, s[20:21]
; %bb.37:                               ;   in Loop: Header=BB25_35 Depth=2
	v_add_u32_e32 v11, 1, v11
	v_and_b32_e32 v11, 15, v11
	s_mov_b64 s[18:19], -1
                                        ; implicit-def: $vgpr12
; %bb.38:                               ;   in Loop: Header=BB25_35 Depth=2
	s_andn2_saveexec_b64 s[20:21], s[20:21]
	s_cbranch_execz .LBB25_42
; %bb.39:                               ;   in Loop: Header=BB25_35 Depth=2
	v_mov_b32_e32 v13, s5
	ds_cmpst_rtn_b32 v12, v12, v13, v5
	s_mov_b64 s[22:23], -1
	s_waitcnt lgkmcnt(0)
	v_cmp_eq_u32_e32 vcc, s5, v12
	s_and_saveexec_b64 s[28:29], vcc
	s_cbranch_execz .LBB25_41
; %bb.40:                               ;   in Loop: Header=BB25_35 Depth=2
	v_lshl_add_u32 v12, v11, 3, v18
	ds_add_f64 v12, v[6:7]
	s_xor_b64 s[22:23], exec, -1
.LBB25_41:                              ;   in Loop: Header=BB25_35 Depth=2
	s_or_b64 exec, exec, s[28:29]
	s_andn2_b64 s[18:19], s[18:19], exec
	s_and_b64 s[22:23], s[22:23], exec
	s_or_b64 s[18:19], s[18:19], s[22:23]
.LBB25_42:                              ;   in Loop: Header=BB25_35 Depth=2
	s_or_b64 exec, exec, s[20:21]
	s_and_b64 s[18:19], s[18:19], exec
.LBB25_43:                              ;   in Loop: Header=BB25_35 Depth=2
	s_andn2_saveexec_b64 s[16:17], s[16:17]
	s_cbranch_execz .LBB25_34
; %bb.44:                               ;   in Loop: Header=BB25_35 Depth=2
	v_lshl_add_u32 v12, v11, 3, v18
	ds_add_f64 v12, v[6:7]
	s_andn2_b64 s[18:19], s[18:19], exec
	s_branch .LBB25_34
.LBB25_45:
	s_or_b64 exec, exec, s[0:1]
.LBB25_46:
	v_mov_b32_e32 v2, s15
	v_add_co_u32_e32 v0, vcc, s14, v0
	v_addc_co_u32_e32 v1, vcc, v2, v1, vcc
	s_waitcnt lgkmcnt(0)
	global_load_dword v0, v[0:1], off
	s_mov_b64 s[0:1], 0
	s_waitcnt vmcnt(0)
	v_subrev_u32_e32 v0, s2, v0
	s_branch .LBB25_48
.LBB25_47:                              ;   in Loop: Header=BB25_48 Depth=1
	s_or_b64 exec, exec, s[6:7]
	v_add_co_u32_e32 v14, vcc, 8, v14
	s_xor_b64 s[6:7], vcc, -1
	s_and_b64 s[6:7], exec, s[6:7]
	v_add_u32_e32 v15, 64, v15
	s_or_b64 s[0:1], s[6:7], s[0:1]
	v_add_u32_e32 v16, 32, v16
	s_andn2_b64 exec, exec, s[0:1]
	s_cbranch_execz .LBB25_50
.LBB25_48:                              ; =>This Inner Loop Header: Depth=1
	ds_read_b32 v1, v16
	s_waitcnt lgkmcnt(0)
	v_cmp_gt_i32_e32 vcc, s5, v1
	s_and_saveexec_b64 s[6:7], vcc
	s_cbranch_execz .LBB25_47
; %bb.49:                               ;   in Loop: Header=BB25_48 Depth=1
	ds_read_b128 v[2:5], v17
	ds_read_b128 v[6:9], v17 offset:16
	ds_read_b128 v[10:13], v17 offset:32
	;; [unrolled: 1-line block ×3, first 2 shown]
	s_waitcnt lgkmcnt(3)
	v_cmp_gt_i32_e32 vcc, v1, v2
	v_cndmask_b32_e64 v2, 0, 1, vcc
	v_cmp_gt_i32_e32 vcc, v1, v3
	v_addc_co_u32_e32 v2, vcc, v0, v2, vcc
	v_cmp_gt_i32_e32 vcc, v1, v4
	v_cndmask_b32_e64 v3, 0, 1, vcc
	v_cmp_gt_i32_e32 vcc, v1, v5
	v_addc_co_u32_e32 v2, vcc, v2, v3, vcc
	s_waitcnt lgkmcnt(2)
	v_cmp_gt_i32_e32 vcc, v1, v6
	v_cndmask_b32_e64 v3, 0, 1, vcc
	v_cmp_gt_i32_e32 vcc, v1, v7
	v_addc_co_u32_e32 v2, vcc, v2, v3, vcc
	v_cmp_gt_i32_e32 vcc, v1, v8
	v_cndmask_b32_e64 v3, 0, 1, vcc
	v_cmp_gt_i32_e32 vcc, v1, v9
	v_addc_co_u32_e32 v2, vcc, v2, v3, vcc
	;; [unrolled: 9-line block ×4, first 2 shown]
	v_ashrrev_i32_e32 v3, 31, v2
	v_lshlrev_b64 v[4:5], 2, v[2:3]
	v_mov_b32_e32 v6, s25
	v_add_co_u32_e32 v4, vcc, s24, v4
	v_add_u32_e32 v1, s2, v1
	v_addc_co_u32_e32 v5, vcc, v6, v5, vcc
	global_store_dword v[4:5], v1, off
	ds_read_b64 v[4:5], v15
	v_lshlrev_b64 v[2:3], 3, v[2:3]
	v_mov_b32_e32 v1, s27
	v_add_co_u32_e32 v2, vcc, s26, v2
	v_addc_co_u32_e32 v3, vcc, v1, v3, vcc
	s_waitcnt lgkmcnt(0)
	global_store_dwordx2 v[2:3], v[4:5], off
	s_branch .LBB25_47
.LBB25_50:
	s_endpgm
	.section	.rodata,"a",@progbits
	.p2align	6, 0x0
	.amdhsa_kernel _ZN9rocsparseL23csrgemm_fill_wf_per_rowILj256ELj8ELj16ELj137EiidEEvT4_S1_PKS1_S3_NS_24const_host_device_scalarIT5_EEPKT3_S3_PKS5_S9_S3_SB_S6_S9_S3_SB_S9_PS1_PS5_21rocsparse_index_base_SE_SE_SE_bbb
		.amdhsa_group_segment_fixed_size 6144
		.amdhsa_private_segment_fixed_size 0
		.amdhsa_kernarg_size 156
		.amdhsa_user_sgpr_count 6
		.amdhsa_user_sgpr_private_segment_buffer 1
		.amdhsa_user_sgpr_dispatch_ptr 0
		.amdhsa_user_sgpr_queue_ptr 0
		.amdhsa_user_sgpr_kernarg_segment_ptr 1
		.amdhsa_user_sgpr_dispatch_id 0
		.amdhsa_user_sgpr_flat_scratch_init 0
		.amdhsa_user_sgpr_kernarg_preload_length 0
		.amdhsa_user_sgpr_kernarg_preload_offset 0
		.amdhsa_user_sgpr_private_segment_size 0
		.amdhsa_uses_dynamic_stack 0
		.amdhsa_system_sgpr_private_segment_wavefront_offset 0
		.amdhsa_system_sgpr_workgroup_id_x 1
		.amdhsa_system_sgpr_workgroup_id_y 0
		.amdhsa_system_sgpr_workgroup_id_z 0
		.amdhsa_system_sgpr_workgroup_info 0
		.amdhsa_system_vgpr_workitem_id 0
		.amdhsa_next_free_vgpr 26
		.amdhsa_next_free_sgpr 52
		.amdhsa_accum_offset 28
		.amdhsa_reserve_vcc 1
		.amdhsa_reserve_flat_scratch 0
		.amdhsa_float_round_mode_32 0
		.amdhsa_float_round_mode_16_64 0
		.amdhsa_float_denorm_mode_32 3
		.amdhsa_float_denorm_mode_16_64 3
		.amdhsa_dx10_clamp 1
		.amdhsa_ieee_mode 1
		.amdhsa_fp16_overflow 0
		.amdhsa_tg_split 0
		.amdhsa_exception_fp_ieee_invalid_op 0
		.amdhsa_exception_fp_denorm_src 0
		.amdhsa_exception_fp_ieee_div_zero 0
		.amdhsa_exception_fp_ieee_overflow 0
		.amdhsa_exception_fp_ieee_underflow 0
		.amdhsa_exception_fp_ieee_inexact 0
		.amdhsa_exception_int_div_zero 0
	.end_amdhsa_kernel
	.section	.text._ZN9rocsparseL23csrgemm_fill_wf_per_rowILj256ELj8ELj16ELj137EiidEEvT4_S1_PKS1_S3_NS_24const_host_device_scalarIT5_EEPKT3_S3_PKS5_S9_S3_SB_S6_S9_S3_SB_S9_PS1_PS5_21rocsparse_index_base_SE_SE_SE_bbb,"axG",@progbits,_ZN9rocsparseL23csrgemm_fill_wf_per_rowILj256ELj8ELj16ELj137EiidEEvT4_S1_PKS1_S3_NS_24const_host_device_scalarIT5_EEPKT3_S3_PKS5_S9_S3_SB_S6_S9_S3_SB_S9_PS1_PS5_21rocsparse_index_base_SE_SE_SE_bbb,comdat
.Lfunc_end25:
	.size	_ZN9rocsparseL23csrgemm_fill_wf_per_rowILj256ELj8ELj16ELj137EiidEEvT4_S1_PKS1_S3_NS_24const_host_device_scalarIT5_EEPKT3_S3_PKS5_S9_S3_SB_S6_S9_S3_SB_S9_PS1_PS5_21rocsparse_index_base_SE_SE_SE_bbb, .Lfunc_end25-_ZN9rocsparseL23csrgemm_fill_wf_per_rowILj256ELj8ELj16ELj137EiidEEvT4_S1_PKS1_S3_NS_24const_host_device_scalarIT5_EEPKT3_S3_PKS5_S9_S3_SB_S6_S9_S3_SB_S9_PS1_PS5_21rocsparse_index_base_SE_SE_SE_bbb
                                        ; -- End function
	.section	.AMDGPU.csdata,"",@progbits
; Kernel info:
; codeLenInByte = 1812
; NumSgprs: 56
; NumVgprs: 26
; NumAgprs: 0
; TotalNumVgprs: 26
; ScratchSize: 0
; MemoryBound: 0
; FloatMode: 240
; IeeeMode: 1
; LDSByteSize: 6144 bytes/workgroup (compile time only)
; SGPRBlocks: 6
; VGPRBlocks: 3
; NumSGPRsForWavesPerEU: 56
; NumVGPRsForWavesPerEU: 26
; AccumOffset: 28
; Occupancy: 8
; WaveLimiterHint : 1
; COMPUTE_PGM_RSRC2:SCRATCH_EN: 0
; COMPUTE_PGM_RSRC2:USER_SGPR: 6
; COMPUTE_PGM_RSRC2:TRAP_HANDLER: 0
; COMPUTE_PGM_RSRC2:TGID_X_EN: 1
; COMPUTE_PGM_RSRC2:TGID_Y_EN: 0
; COMPUTE_PGM_RSRC2:TGID_Z_EN: 0
; COMPUTE_PGM_RSRC2:TIDIG_COMP_CNT: 0
; COMPUTE_PGM_RSRC3_GFX90A:ACCUM_OFFSET: 6
; COMPUTE_PGM_RSRC3_GFX90A:TG_SPLIT: 0
	.section	.text._ZN9rocsparseL23csrgemm_fill_wf_per_rowILj256ELj16ELj32ELj137EiidEEvT4_S1_PKS1_S3_NS_24const_host_device_scalarIT5_EEPKT3_S3_PKS5_S9_S3_SB_S6_S9_S3_SB_S9_PS1_PS5_21rocsparse_index_base_SE_SE_SE_bbb,"axG",@progbits,_ZN9rocsparseL23csrgemm_fill_wf_per_rowILj256ELj16ELj32ELj137EiidEEvT4_S1_PKS1_S3_NS_24const_host_device_scalarIT5_EEPKT3_S3_PKS5_S9_S3_SB_S6_S9_S3_SB_S9_PS1_PS5_21rocsparse_index_base_SE_SE_SE_bbb,comdat
	.globl	_ZN9rocsparseL23csrgemm_fill_wf_per_rowILj256ELj16ELj32ELj137EiidEEvT4_S1_PKS1_S3_NS_24const_host_device_scalarIT5_EEPKT3_S3_PKS5_S9_S3_SB_S6_S9_S3_SB_S9_PS1_PS5_21rocsparse_index_base_SE_SE_SE_bbb ; -- Begin function _ZN9rocsparseL23csrgemm_fill_wf_per_rowILj256ELj16ELj32ELj137EiidEEvT4_S1_PKS1_S3_NS_24const_host_device_scalarIT5_EEPKT3_S3_PKS5_S9_S3_SB_S6_S9_S3_SB_S9_PS1_PS5_21rocsparse_index_base_SE_SE_SE_bbb
	.p2align	8
	.type	_ZN9rocsparseL23csrgemm_fill_wf_per_rowILj256ELj16ELj32ELj137EiidEEvT4_S1_PKS1_S3_NS_24const_host_device_scalarIT5_EEPKT3_S3_PKS5_S9_S3_SB_S6_S9_S3_SB_S9_PS1_PS5_21rocsparse_index_base_SE_SE_SE_bbb,@function
_ZN9rocsparseL23csrgemm_fill_wf_per_rowILj256ELj16ELj32ELj137EiidEEvT4_S1_PKS1_S3_NS_24const_host_device_scalarIT5_EEPKT3_S3_PKS5_S9_S3_SB_S6_S9_S3_SB_S9_PS1_PS5_21rocsparse_index_base_SE_SE_SE_bbb: ; @_ZN9rocsparseL23csrgemm_fill_wf_per_rowILj256ELj16ELj32ELj137EiidEEvT4_S1_PKS1_S3_NS_24const_host_device_scalarIT5_EEPKT3_S3_PKS5_S9_S3_SB_S6_S9_S3_SB_S9_PS1_PS5_21rocsparse_index_base_SE_SE_SE_bbb
; %bb.0:
	s_load_dword s7, s[4:5], 0x98
	s_load_dwordx4 s[0:3], s[4:5], 0x88
	s_load_dwordx2 s[8:9], s[4:5], 0x18
	s_load_dwordx2 s[42:43], s[4:5], 0x50
	s_waitcnt lgkmcnt(0)
	s_and_b32 s10, 1, s7
	s_bitcmp1_b32 s7, 16
	s_cselect_b64 s[44:45], -1, 0
	s_cmp_eq_u32 s10, 1
	s_cselect_b64 s[40:41], -1, 0
	s_and_b64 s[10:11], s[40:41], exec
	s_cselect_b32 s11, s9, 0
	s_cselect_b32 s10, s8, 0
	s_xor_b64 s[12:13], s[40:41], -1
	s_or_b64 s[12:13], s[12:13], s[44:45]
	s_and_b64 vcc, exec, s[12:13]
	v_pk_mov_b32 v[4:5], s[10:11], s[10:11] op_sel:[0,1]
	s_cbranch_vccnz .LBB26_2
; %bb.1:
	v_pk_mov_b32 v[2:3], s[8:9], s[8:9] op_sel:[0,1]
	flat_load_dwordx2 v[4:5], v[2:3]
.LBB26_2:
	s_load_dwordx4 s[24:27], s[4:5], 0x78
	s_load_dwordx8 s[8:15], s[4:5], 0x58
	s_load_dwordx4 s[28:31], s[4:5], 0x40
	s_load_dwordx4 s[36:39], s[4:5], 0x8
	s_load_dwordx8 s[16:23], s[4:5], 0x20
	s_bitcmp1_b32 s7, 8
	s_cselect_b64 s[34:35], -1, 0
	s_and_b64 s[46:47], s[34:35], exec
	s_cselect_b32 s47, s43, 0
	s_cselect_b32 s46, s42, 0
	s_xor_b64 s[48:49], s[34:35], -1
	s_or_b64 s[44:45], s[48:49], s[44:45]
	s_and_b64 vcc, exec, s[44:45]
	v_pk_mov_b32 v[2:3], s[46:47], s[46:47] op_sel:[0,1]
	s_cbranch_vccnz .LBB26_4
; %bb.3:
	v_pk_mov_b32 v[2:3], s[42:43], s[42:43] op_sel:[0,1]
	flat_load_dwordx2 v[2:3], v[2:3]
.LBB26_4:
	s_load_dwordx2 s[4:5], s[4:5], 0x0
	v_and_b32_e32 v19, 15, v0
	v_lshrrev_b32_e32 v6, 4, v0
	v_lshlrev_b32_e32 v0, 3, v19
	v_lshl_or_b32 v15, v6, 8, v0
	v_lshlrev_b32_e32 v0, 7, v6
	v_lshlrev_b32_e32 v1, 2, v19
	s_movk_i32 s7, 0x1000
	v_or_b32_e32 v14, -16, v19
	v_or3_b32 v16, v0, v1, s7
	v_mov_b32_e32 v0, 0
	s_mov_b64 s[42:43], 0
	s_waitcnt lgkmcnt(0)
	v_mov_b32_e32 v7, s5
	v_mov_b32_e32 v1, v0
	;; [unrolled: 1-line block ×5, first 2 shown]
.LBB26_5:                               ; =>This Inner Loop Header: Depth=1
	v_add_co_u32_e32 v10, vcc, 16, v10
	s_xor_b64 s[44:45], vcc, -1
	s_and_b64 s[44:45], exec, s[44:45]
	ds_write_b32 v8, v7
	ds_write_b64 v9, v[0:1]
	v_add_u32_e32 v9, 0x80, v9
	s_or_b64 s[42:43], s[44:45], s[42:43]
	v_add_u32_e32 v8, 64, v8
	s_andn2_b64 exec, exec, s[42:43]
	s_cbranch_execnz .LBB26_5
; %bb.6:
	s_or_b64 exec, exec, s[42:43]
	s_lshl_b32 s6, s6, 4
	s_and_b32 s6, s6, 0xffffff0
	v_or_b32_e32 v0, s6, v6
	v_cmp_gt_i32_e32 vcc, s4, v0
	s_waitcnt lgkmcnt(0)
	s_and_saveexec_b64 s[6:7], vcc
	s_cbranch_execz .LBB26_50
; %bb.7:
	s_cmp_eq_u64 s[38:39], 0
	s_cbranch_scc1 .LBB26_9
; %bb.8:
	s_load_dword s4, s[36:37], 0x0
	v_mov_b32_e32 v7, s39
	s_waitcnt lgkmcnt(0)
	v_add_u32_e32 v0, s4, v0
	v_ashrrev_i32_e32 v1, 31, v0
	v_lshlrev_b64 v[0:1], 2, v[0:1]
	v_add_co_u32_e32 v0, vcc, s38, v0
	v_addc_co_u32_e32 v1, vcc, v7, v1, vcc
	global_load_dword v0, v[0:1], off
.LBB26_9:
	v_mov_b32_e32 v1, 0x1000
	v_lshl_or_b32 v17, v6, 7, v1
	s_waitcnt vmcnt(0)
	v_ashrrev_i32_e32 v1, 31, v0
	v_lshlrev_b32_e32 v18, 8, v6
	s_andn2_b64 vcc, exec, s[40:41]
	v_lshlrev_b64 v[0:1], 2, v[0:1]
	s_cbranch_vccnz .LBB26_29
; %bb.10:
	v_mov_b32_e32 v7, s17
	v_add_co_u32_e32 v6, vcc, s16, v0
	v_addc_co_u32_e32 v7, vcc, v7, v1, vcc
	global_load_dwordx2 v[6:7], v[6:7], off
	v_subrev_u32_e32 v8, s0, v19
	s_waitcnt vmcnt(0)
	v_subrev_u32_e32 v20, s0, v7
	v_add_u32_e32 v6, v6, v8
	v_cmp_lt_i32_e32 vcc, v6, v20
	s_and_saveexec_b64 s[6:7], vcc
	s_cbranch_execz .LBB26_28
; %bb.11:
	s_mov_b64 s[16:17], 0
	v_mov_b32_e32 v21, s19
	v_mov_b32_e32 v22, s23
	s_branch .LBB26_13
.LBB26_12:                              ;   in Loop: Header=BB26_13 Depth=1
	s_or_b64 exec, exec, s[36:37]
	v_add_u32_e32 v6, 16, v6
	v_cmp_ge_i32_e32 vcc, v6, v20
	s_or_b64 s[16:17], vcc, s[16:17]
	s_andn2_b64 exec, exec, s[16:17]
	s_cbranch_execz .LBB26_28
.LBB26_13:                              ; =>This Loop Header: Depth=1
                                        ;     Child Loop BB26_16 Depth 2
                                        ;       Child Loop BB26_18 Depth 3
	v_ashrrev_i32_e32 v7, 31, v6
	v_lshlrev_b64 v[8:9], 2, v[6:7]
	v_add_co_u32_e32 v8, vcc, s18, v8
	v_addc_co_u32_e32 v9, vcc, v21, v9, vcc
	global_load_dword v8, v[8:9], off
	s_waitcnt vmcnt(0)
	v_subrev_u32_e32 v8, s0, v8
	v_ashrrev_i32_e32 v9, 31, v8
	v_lshlrev_b64 v[8:9], 2, v[8:9]
	v_add_co_u32_e32 v8, vcc, s22, v8
	v_addc_co_u32_e32 v9, vcc, v22, v9, vcc
	global_load_dwordx2 v[8:9], v[8:9], off
	s_waitcnt vmcnt(0)
	v_cmp_lt_i32_e32 vcc, v8, v9
	s_and_saveexec_b64 s[36:37], vcc
	s_cbranch_execz .LBB26_12
; %bb.14:                               ;   in Loop: Header=BB26_13 Depth=1
	v_lshlrev_b64 v[10:11], 3, v[6:7]
	v_mov_b32_e32 v7, s21
	v_add_co_u32_e32 v10, vcc, s20, v10
	v_addc_co_u32_e32 v11, vcc, v7, v11, vcc
	global_load_dwordx2 v[10:11], v[10:11], off
	v_subrev_u32_e32 v7, s1, v9
	v_subrev_u32_e32 v8, s1, v8
	s_mov_b64 s[38:39], 0
	s_waitcnt vmcnt(0)
	v_mul_f64 v[10:11], v[4:5], v[10:11]
	s_branch .LBB26_16
.LBB26_15:                              ;   in Loop: Header=BB26_16 Depth=2
	s_or_b64 exec, exec, s[40:41]
	v_add_u32_e32 v8, 1, v8
	v_cmp_ge_i32_e32 vcc, v8, v7
	s_or_b64 s[38:39], vcc, s[38:39]
	s_andn2_b64 exec, exec, s[38:39]
	s_cbranch_execz .LBB26_12
.LBB26_16:                              ;   Parent Loop BB26_13 Depth=1
                                        ; =>  This Loop Header: Depth=2
                                        ;       Child Loop BB26_18 Depth 3
	v_ashrrev_i32_e32 v9, 31, v8
	v_lshlrev_b64 v[12:13], 2, v[8:9]
	v_mov_b32_e32 v23, s29
	v_add_co_u32_e32 v12, vcc, s28, v12
	v_addc_co_u32_e32 v13, vcc, v23, v13, vcc
	global_load_dword v23, v[12:13], off
	v_lshlrev_b64 v[12:13], 3, v[8:9]
	v_mov_b32_e32 v9, s31
	v_add_co_u32_e32 v12, vcc, s30, v12
	v_addc_co_u32_e32 v13, vcc, v9, v13, vcc
	global_load_dwordx2 v[12:13], v[12:13], off
	s_mov_b64 s[40:41], 0
	s_waitcnt vmcnt(1)
	v_subrev_u32_e32 v9, s1, v23
	v_lshl_add_u32 v23, v9, 3, v9
	v_and_b32_e32 v23, 31, v23
	s_waitcnt vmcnt(0)
	v_mul_f64 v[12:13], v[10:11], v[12:13]
	s_branch .LBB26_18
.LBB26_17:                              ;   in Loop: Header=BB26_18 Depth=3
	s_or_b64 exec, exec, s[42:43]
	s_xor_b64 s[42:43], s[44:45], -1
	s_and_b64 s[42:43], exec, s[42:43]
	s_or_b64 s[40:41], s[42:43], s[40:41]
	s_andn2_b64 exec, exec, s[40:41]
	s_cbranch_execz .LBB26_15
.LBB26_18:                              ;   Parent Loop BB26_13 Depth=1
                                        ;     Parent Loop BB26_16 Depth=2
                                        ; =>    This Inner Loop Header: Depth=3
	v_lshl_add_u32 v24, v23, 2, v17
	ds_read_b32 v25, v24
                                        ; implicit-def: $sgpr44_sgpr45
	s_waitcnt lgkmcnt(0)
	v_cmp_ne_u32_e32 vcc, v25, v9
	s_and_saveexec_b64 s[42:43], vcc
	s_xor_b64 s[42:43], exec, s[42:43]
	s_cbranch_execz .LBB26_26
; %bb.19:                               ;   in Loop: Header=BB26_18 Depth=3
	v_cmp_ne_u32_e32 vcc, s5, v25
                                        ; implicit-def: $sgpr44_sgpr45
	s_and_saveexec_b64 s[46:47], vcc
	s_xor_b64 s[46:47], exec, s[46:47]
; %bb.20:                               ;   in Loop: Header=BB26_18 Depth=3
	v_add_u32_e32 v23, 1, v23
	v_and_b32_e32 v23, 31, v23
	s_mov_b64 s[44:45], -1
                                        ; implicit-def: $vgpr24
; %bb.21:                               ;   in Loop: Header=BB26_18 Depth=3
	s_andn2_saveexec_b64 s[46:47], s[46:47]
	s_cbranch_execz .LBB26_25
; %bb.22:                               ;   in Loop: Header=BB26_18 Depth=3
	v_mov_b32_e32 v25, s5
	ds_cmpst_rtn_b32 v24, v24, v25, v9
	s_mov_b64 s[48:49], -1
	s_waitcnt lgkmcnt(0)
	v_cmp_eq_u32_e32 vcc, s5, v24
	s_and_saveexec_b64 s[50:51], vcc
	s_cbranch_execz .LBB26_24
; %bb.23:                               ;   in Loop: Header=BB26_18 Depth=3
	v_lshl_add_u32 v24, v23, 3, v18
	ds_add_f64 v24, v[12:13]
	s_xor_b64 s[48:49], exec, -1
.LBB26_24:                              ;   in Loop: Header=BB26_18 Depth=3
	s_or_b64 exec, exec, s[50:51]
	s_andn2_b64 s[44:45], s[44:45], exec
	s_and_b64 s[48:49], s[48:49], exec
	s_or_b64 s[44:45], s[44:45], s[48:49]
.LBB26_25:                              ;   in Loop: Header=BB26_18 Depth=3
	s_or_b64 exec, exec, s[46:47]
	s_and_b64 s[44:45], s[44:45], exec
.LBB26_26:                              ;   in Loop: Header=BB26_18 Depth=3
	s_andn2_saveexec_b64 s[42:43], s[42:43]
	s_cbranch_execz .LBB26_17
; %bb.27:                               ;   in Loop: Header=BB26_18 Depth=3
	v_lshl_add_u32 v24, v23, 3, v18
	ds_add_f64 v24, v[12:13]
	s_andn2_b64 s[44:45], s[44:45], exec
	s_branch .LBB26_17
.LBB26_28:
	s_or_b64 exec, exec, s[6:7]
.LBB26_29:
	s_andn2_b64 vcc, exec, s[34:35]
	s_cbranch_vccnz .LBB26_46
; %bb.30:
	v_mov_b32_e32 v5, s9
	v_add_co_u32_e32 v4, vcc, s8, v0
	v_addc_co_u32_e32 v5, vcc, v5, v1, vcc
	global_load_dwordx2 v[4:5], v[4:5], off
	v_subrev_u32_e32 v6, s3, v19
	s_waitcnt vmcnt(0)
	v_subrev_u32_e32 v8, s3, v5
	v_add_u32_e32 v4, v4, v6
	v_cmp_lt_i32_e32 vcc, v4, v8
	s_and_saveexec_b64 s[0:1], vcc
	s_cbranch_execz .LBB26_45
; %bb.31:
	s_mov_b64 s[6:7], 0
	v_mov_b32_e32 v9, s11
	v_mov_b32_e32 v10, s13
	s_branch .LBB26_33
.LBB26_32:                              ;   in Loop: Header=BB26_33 Depth=1
	s_or_b64 exec, exec, s[8:9]
	v_add_u32_e32 v4, 16, v4
	v_cmp_ge_i32_e32 vcc, v4, v8
	s_or_b64 s[6:7], vcc, s[6:7]
	s_andn2_b64 exec, exec, s[6:7]
	s_cbranch_execz .LBB26_45
.LBB26_33:                              ; =>This Loop Header: Depth=1
                                        ;     Child Loop BB26_35 Depth 2
	v_ashrrev_i32_e32 v5, 31, v4
	v_lshlrev_b64 v[6:7], 2, v[4:5]
	v_add_co_u32_e32 v6, vcc, s10, v6
	v_addc_co_u32_e32 v7, vcc, v9, v7, vcc
	global_load_dword v11, v[6:7], off
	v_lshlrev_b64 v[6:7], 3, v[4:5]
	v_add_co_u32_e32 v6, vcc, s12, v6
	v_addc_co_u32_e32 v7, vcc, v10, v7, vcc
	global_load_dwordx2 v[6:7], v[6:7], off
	s_mov_b64 s[8:9], 0
	s_waitcnt vmcnt(1)
	v_subrev_u32_e32 v5, s3, v11
	v_lshl_add_u32 v11, v5, 3, v5
	v_and_b32_e32 v11, 31, v11
	s_waitcnt vmcnt(0)
	v_mul_f64 v[6:7], v[2:3], v[6:7]
	s_branch .LBB26_35
.LBB26_34:                              ;   in Loop: Header=BB26_35 Depth=2
	s_or_b64 exec, exec, s[16:17]
	s_xor_b64 s[16:17], s[18:19], -1
	s_and_b64 s[16:17], exec, s[16:17]
	s_or_b64 s[8:9], s[16:17], s[8:9]
	s_andn2_b64 exec, exec, s[8:9]
	s_cbranch_execz .LBB26_32
.LBB26_35:                              ;   Parent Loop BB26_33 Depth=1
                                        ; =>  This Inner Loop Header: Depth=2
	v_lshl_add_u32 v12, v11, 2, v17
	ds_read_b32 v13, v12
                                        ; implicit-def: $sgpr18_sgpr19
	s_waitcnt lgkmcnt(0)
	v_cmp_ne_u32_e32 vcc, v13, v5
	s_and_saveexec_b64 s[16:17], vcc
	s_xor_b64 s[16:17], exec, s[16:17]
	s_cbranch_execz .LBB26_43
; %bb.36:                               ;   in Loop: Header=BB26_35 Depth=2
	v_cmp_ne_u32_e32 vcc, s5, v13
                                        ; implicit-def: $sgpr18_sgpr19
	s_and_saveexec_b64 s[20:21], vcc
	s_xor_b64 s[20:21], exec, s[20:21]
; %bb.37:                               ;   in Loop: Header=BB26_35 Depth=2
	v_add_u32_e32 v11, 1, v11
	v_and_b32_e32 v11, 31, v11
	s_mov_b64 s[18:19], -1
                                        ; implicit-def: $vgpr12
; %bb.38:                               ;   in Loop: Header=BB26_35 Depth=2
	s_andn2_saveexec_b64 s[20:21], s[20:21]
	s_cbranch_execz .LBB26_42
; %bb.39:                               ;   in Loop: Header=BB26_35 Depth=2
	v_mov_b32_e32 v13, s5
	ds_cmpst_rtn_b32 v12, v12, v13, v5
	s_mov_b64 s[22:23], -1
	s_waitcnt lgkmcnt(0)
	v_cmp_eq_u32_e32 vcc, s5, v12
	s_and_saveexec_b64 s[28:29], vcc
	s_cbranch_execz .LBB26_41
; %bb.40:                               ;   in Loop: Header=BB26_35 Depth=2
	v_lshl_add_u32 v12, v11, 3, v18
	ds_add_f64 v12, v[6:7]
	s_xor_b64 s[22:23], exec, -1
.LBB26_41:                              ;   in Loop: Header=BB26_35 Depth=2
	s_or_b64 exec, exec, s[28:29]
	s_andn2_b64 s[18:19], s[18:19], exec
	s_and_b64 s[22:23], s[22:23], exec
	s_or_b64 s[18:19], s[18:19], s[22:23]
.LBB26_42:                              ;   in Loop: Header=BB26_35 Depth=2
	s_or_b64 exec, exec, s[20:21]
	s_and_b64 s[18:19], s[18:19], exec
.LBB26_43:                              ;   in Loop: Header=BB26_35 Depth=2
	s_andn2_saveexec_b64 s[16:17], s[16:17]
	s_cbranch_execz .LBB26_34
; %bb.44:                               ;   in Loop: Header=BB26_35 Depth=2
	v_lshl_add_u32 v12, v11, 3, v18
	ds_add_f64 v12, v[6:7]
	s_andn2_b64 s[18:19], s[18:19], exec
	s_branch .LBB26_34
.LBB26_45:
	s_or_b64 exec, exec, s[0:1]
.LBB26_46:
	v_mov_b32_e32 v2, s15
	v_add_co_u32_e32 v0, vcc, s14, v0
	v_addc_co_u32_e32 v1, vcc, v2, v1, vcc
	s_waitcnt lgkmcnt(0)
	global_load_dword v0, v[0:1], off
	s_mov_b64 s[0:1], 0
	s_waitcnt vmcnt(0)
	v_subrev_u32_e32 v0, s2, v0
	s_branch .LBB26_48
.LBB26_47:                              ;   in Loop: Header=BB26_48 Depth=1
	s_or_b64 exec, exec, s[6:7]
	v_add_co_u32_e32 v14, vcc, 16, v14
	s_xor_b64 s[6:7], vcc, -1
	s_and_b64 s[6:7], exec, s[6:7]
	v_add_u32_e32 v15, 0x80, v15
	s_or_b64 s[0:1], s[6:7], s[0:1]
	v_add_u32_e32 v16, 64, v16
	s_andn2_b64 exec, exec, s[0:1]
	s_cbranch_execz .LBB26_50
.LBB26_48:                              ; =>This Inner Loop Header: Depth=1
	ds_read_b32 v1, v16
	s_waitcnt lgkmcnt(0)
	v_cmp_gt_i32_e32 vcc, s5, v1
	s_and_saveexec_b64 s[6:7], vcc
	s_cbranch_execz .LBB26_47
; %bb.49:                               ;   in Loop: Header=BB26_48 Depth=1
	ds_read_b128 v[2:5], v17
	ds_read_b128 v[6:9], v17 offset:16
	ds_read_b128 v[10:13], v17 offset:32
	;; [unrolled: 1-line block ×3, first 2 shown]
	s_waitcnt lgkmcnt(3)
	v_cmp_gt_i32_e32 vcc, v1, v2
	v_cndmask_b32_e64 v2, 0, 1, vcc
	v_cmp_gt_i32_e32 vcc, v1, v3
	v_addc_co_u32_e32 v2, vcc, v0, v2, vcc
	v_cmp_gt_i32_e32 vcc, v1, v4
	v_cndmask_b32_e64 v3, 0, 1, vcc
	v_cmp_gt_i32_e32 vcc, v1, v5
	v_addc_co_u32_e32 v2, vcc, v2, v3, vcc
	s_waitcnt lgkmcnt(2)
	v_cmp_gt_i32_e32 vcc, v1, v6
	v_cndmask_b32_e64 v3, 0, 1, vcc
	v_cmp_gt_i32_e32 vcc, v1, v7
	v_addc_co_u32_e32 v2, vcc, v2, v3, vcc
	v_cmp_gt_i32_e32 vcc, v1, v8
	v_cndmask_b32_e64 v3, 0, 1, vcc
	v_cmp_gt_i32_e32 vcc, v1, v9
	v_addc_co_u32_e32 v2, vcc, v2, v3, vcc
	s_waitcnt lgkmcnt(1)
	v_cmp_gt_i32_e32 vcc, v1, v10
	v_cndmask_b32_e64 v3, 0, 1, vcc
	v_cmp_gt_i32_e32 vcc, v1, v11
	v_addc_co_u32_e32 v2, vcc, v2, v3, vcc
	v_cmp_gt_i32_e32 vcc, v1, v12
	v_cndmask_b32_e64 v3, 0, 1, vcc
	v_cmp_gt_i32_e32 vcc, v1, v13
	v_addc_co_u32_e32 v2, vcc, v2, v3, vcc
	s_waitcnt lgkmcnt(0)
	v_cmp_gt_i32_e32 vcc, v1, v18
	v_cndmask_b32_e64 v3, 0, 1, vcc
	v_cmp_gt_i32_e32 vcc, v1, v19
	v_addc_co_u32_e32 v6, vcc, v2, v3, vcc
	ds_read_b128 v[2:5], v17 offset:64
	v_cmp_gt_i32_e32 vcc, v1, v20
	v_cndmask_b32_e64 v7, 0, 1, vcc
	v_cmp_gt_i32_e32 vcc, v1, v21
	v_addc_co_u32_e32 v10, vcc, v6, v7, vcc
	ds_read_b128 v[6:9], v17 offset:80
	s_waitcnt lgkmcnt(1)
	v_cmp_gt_i32_e32 vcc, v1, v2
	v_cndmask_b32_e64 v2, 0, 1, vcc
	v_cmp_gt_i32_e32 vcc, v1, v3
	v_addc_co_u32_e32 v2, vcc, v10, v2, vcc
	v_cmp_gt_i32_e32 vcc, v1, v4
	v_cndmask_b32_e64 v3, 0, 1, vcc
	v_cmp_gt_i32_e32 vcc, v1, v5
	v_addc_co_u32_e32 v2, vcc, v2, v3, vcc
	s_waitcnt lgkmcnt(0)
	v_cmp_gt_i32_e32 vcc, v1, v6
	v_cndmask_b32_e64 v3, 0, 1, vcc
	v_cmp_gt_i32_e32 vcc, v1, v7
	v_addc_co_u32_e32 v6, vcc, v2, v3, vcc
	ds_read_b128 v[2:5], v17 offset:96
	v_cmp_gt_i32_e32 vcc, v1, v8
	v_cndmask_b32_e64 v7, 0, 1, vcc
	v_cmp_gt_i32_e32 vcc, v1, v9
	v_addc_co_u32_e32 v10, vcc, v6, v7, vcc
	ds_read_b128 v[6:9], v17 offset:112
	s_waitcnt lgkmcnt(1)
	v_cmp_gt_i32_e32 vcc, v1, v2
	v_cndmask_b32_e64 v2, 0, 1, vcc
	v_cmp_gt_i32_e32 vcc, v1, v3
	v_addc_co_u32_e32 v2, vcc, v10, v2, vcc
	v_cmp_gt_i32_e32 vcc, v1, v4
	v_cndmask_b32_e64 v3, 0, 1, vcc
	v_cmp_gt_i32_e32 vcc, v1, v5
	v_addc_co_u32_e32 v2, vcc, v2, v3, vcc
	s_waitcnt lgkmcnt(0)
	v_cmp_gt_i32_e32 vcc, v1, v6
	v_cndmask_b32_e64 v3, 0, 1, vcc
	v_cmp_gt_i32_e32 vcc, v1, v7
	v_addc_co_u32_e32 v2, vcc, v2, v3, vcc
	v_cmp_gt_i32_e32 vcc, v1, v8
	v_cndmask_b32_e64 v3, 0, 1, vcc
	v_cmp_gt_i32_e32 vcc, v1, v9
	v_addc_co_u32_e32 v2, vcc, v2, v3, vcc
	v_ashrrev_i32_e32 v3, 31, v2
	v_lshlrev_b64 v[4:5], 2, v[2:3]
	v_mov_b32_e32 v6, s25
	v_add_co_u32_e32 v4, vcc, s24, v4
	v_add_u32_e32 v1, s2, v1
	v_addc_co_u32_e32 v5, vcc, v6, v5, vcc
	global_store_dword v[4:5], v1, off
	ds_read_b64 v[4:5], v15
	v_lshlrev_b64 v[2:3], 3, v[2:3]
	v_mov_b32_e32 v1, s27
	v_add_co_u32_e32 v2, vcc, s26, v2
	v_addc_co_u32_e32 v3, vcc, v1, v3, vcc
	s_waitcnt lgkmcnt(0)
	global_store_dwordx2 v[2:3], v[4:5], off
	s_branch .LBB26_47
.LBB26_50:
	s_endpgm
	.section	.rodata,"a",@progbits
	.p2align	6, 0x0
	.amdhsa_kernel _ZN9rocsparseL23csrgemm_fill_wf_per_rowILj256ELj16ELj32ELj137EiidEEvT4_S1_PKS1_S3_NS_24const_host_device_scalarIT5_EEPKT3_S3_PKS5_S9_S3_SB_S6_S9_S3_SB_S9_PS1_PS5_21rocsparse_index_base_SE_SE_SE_bbb
		.amdhsa_group_segment_fixed_size 6144
		.amdhsa_private_segment_fixed_size 0
		.amdhsa_kernarg_size 156
		.amdhsa_user_sgpr_count 6
		.amdhsa_user_sgpr_private_segment_buffer 1
		.amdhsa_user_sgpr_dispatch_ptr 0
		.amdhsa_user_sgpr_queue_ptr 0
		.amdhsa_user_sgpr_kernarg_segment_ptr 1
		.amdhsa_user_sgpr_dispatch_id 0
		.amdhsa_user_sgpr_flat_scratch_init 0
		.amdhsa_user_sgpr_kernarg_preload_length 0
		.amdhsa_user_sgpr_kernarg_preload_offset 0
		.amdhsa_user_sgpr_private_segment_size 0
		.amdhsa_uses_dynamic_stack 0
		.amdhsa_system_sgpr_private_segment_wavefront_offset 0
		.amdhsa_system_sgpr_workgroup_id_x 1
		.amdhsa_system_sgpr_workgroup_id_y 0
		.amdhsa_system_sgpr_workgroup_id_z 0
		.amdhsa_system_sgpr_workgroup_info 0
		.amdhsa_system_vgpr_workitem_id 0
		.amdhsa_next_free_vgpr 26
		.amdhsa_next_free_sgpr 52
		.amdhsa_accum_offset 28
		.amdhsa_reserve_vcc 1
		.amdhsa_reserve_flat_scratch 0
		.amdhsa_float_round_mode_32 0
		.amdhsa_float_round_mode_16_64 0
		.amdhsa_float_denorm_mode_32 3
		.amdhsa_float_denorm_mode_16_64 3
		.amdhsa_dx10_clamp 1
		.amdhsa_ieee_mode 1
		.amdhsa_fp16_overflow 0
		.amdhsa_tg_split 0
		.amdhsa_exception_fp_ieee_invalid_op 0
		.amdhsa_exception_fp_denorm_src 0
		.amdhsa_exception_fp_ieee_div_zero 0
		.amdhsa_exception_fp_ieee_overflow 0
		.amdhsa_exception_fp_ieee_underflow 0
		.amdhsa_exception_fp_ieee_inexact 0
		.amdhsa_exception_int_div_zero 0
	.end_amdhsa_kernel
	.section	.text._ZN9rocsparseL23csrgemm_fill_wf_per_rowILj256ELj16ELj32ELj137EiidEEvT4_S1_PKS1_S3_NS_24const_host_device_scalarIT5_EEPKT3_S3_PKS5_S9_S3_SB_S6_S9_S3_SB_S9_PS1_PS5_21rocsparse_index_base_SE_SE_SE_bbb,"axG",@progbits,_ZN9rocsparseL23csrgemm_fill_wf_per_rowILj256ELj16ELj32ELj137EiidEEvT4_S1_PKS1_S3_NS_24const_host_device_scalarIT5_EEPKT3_S3_PKS5_S9_S3_SB_S6_S9_S3_SB_S9_PS1_PS5_21rocsparse_index_base_SE_SE_SE_bbb,comdat
.Lfunc_end26:
	.size	_ZN9rocsparseL23csrgemm_fill_wf_per_rowILj256ELj16ELj32ELj137EiidEEvT4_S1_PKS1_S3_NS_24const_host_device_scalarIT5_EEPKT3_S3_PKS5_S9_S3_SB_S6_S9_S3_SB_S9_PS1_PS5_21rocsparse_index_base_SE_SE_SE_bbb, .Lfunc_end26-_ZN9rocsparseL23csrgemm_fill_wf_per_rowILj256ELj16ELj32ELj137EiidEEvT4_S1_PKS1_S3_NS_24const_host_device_scalarIT5_EEPKT3_S3_PKS5_S9_S3_SB_S6_S9_S3_SB_S9_PS1_PS5_21rocsparse_index_base_SE_SE_SE_bbb
                                        ; -- End function
	.section	.AMDGPU.csdata,"",@progbits
; Kernel info:
; codeLenInByte = 2028
; NumSgprs: 56
; NumVgprs: 26
; NumAgprs: 0
; TotalNumVgprs: 26
; ScratchSize: 0
; MemoryBound: 0
; FloatMode: 240
; IeeeMode: 1
; LDSByteSize: 6144 bytes/workgroup (compile time only)
; SGPRBlocks: 6
; VGPRBlocks: 3
; NumSGPRsForWavesPerEU: 56
; NumVGPRsForWavesPerEU: 26
; AccumOffset: 28
; Occupancy: 8
; WaveLimiterHint : 1
; COMPUTE_PGM_RSRC2:SCRATCH_EN: 0
; COMPUTE_PGM_RSRC2:USER_SGPR: 6
; COMPUTE_PGM_RSRC2:TRAP_HANDLER: 0
; COMPUTE_PGM_RSRC2:TGID_X_EN: 1
; COMPUTE_PGM_RSRC2:TGID_Y_EN: 0
; COMPUTE_PGM_RSRC2:TGID_Z_EN: 0
; COMPUTE_PGM_RSRC2:TIDIG_COMP_CNT: 0
; COMPUTE_PGM_RSRC3_GFX90A:ACCUM_OFFSET: 6
; COMPUTE_PGM_RSRC3_GFX90A:TG_SPLIT: 0
	.section	.text._ZN9rocsparseL26csrgemm_fill_block_per_rowILj128ELj16ELj256ELj137ELj32EiidEEvT5_PKS1_S3_NS_24const_host_device_scalarIT6_EEPKT4_S3_PKS5_S9_S3_SB_S6_S9_S3_SB_S9_PS1_PS5_21rocsparse_index_base_SE_SE_SE_bbb,"axG",@progbits,_ZN9rocsparseL26csrgemm_fill_block_per_rowILj128ELj16ELj256ELj137ELj32EiidEEvT5_PKS1_S3_NS_24const_host_device_scalarIT6_EEPKT4_S3_PKS5_S9_S3_SB_S6_S9_S3_SB_S9_PS1_PS5_21rocsparse_index_base_SE_SE_SE_bbb,comdat
	.globl	_ZN9rocsparseL26csrgemm_fill_block_per_rowILj128ELj16ELj256ELj137ELj32EiidEEvT5_PKS1_S3_NS_24const_host_device_scalarIT6_EEPKT4_S3_PKS5_S9_S3_SB_S6_S9_S3_SB_S9_PS1_PS5_21rocsparse_index_base_SE_SE_SE_bbb ; -- Begin function _ZN9rocsparseL26csrgemm_fill_block_per_rowILj128ELj16ELj256ELj137ELj32EiidEEvT5_PKS1_S3_NS_24const_host_device_scalarIT6_EEPKT4_S3_PKS5_S9_S3_SB_S6_S9_S3_SB_S9_PS1_PS5_21rocsparse_index_base_SE_SE_SE_bbb
	.p2align	8
	.type	_ZN9rocsparseL26csrgemm_fill_block_per_rowILj128ELj16ELj256ELj137ELj32EiidEEvT5_PKS1_S3_NS_24const_host_device_scalarIT6_EEPKT4_S3_PKS5_S9_S3_SB_S6_S9_S3_SB_S9_PS1_PS5_21rocsparse_index_base_SE_SE_SE_bbb,@function
_ZN9rocsparseL26csrgemm_fill_block_per_rowILj128ELj16ELj256ELj137ELj32EiidEEvT5_PKS1_S3_NS_24const_host_device_scalarIT6_EEPKT4_S3_PKS5_S9_S3_SB_S6_S9_S3_SB_S9_PS1_PS5_21rocsparse_index_base_SE_SE_SE_bbb: ; @_ZN9rocsparseL26csrgemm_fill_block_per_rowILj128ELj16ELj256ELj137ELj32EiidEEvT5_PKS1_S3_NS_24const_host_device_scalarIT6_EEPKT4_S3_PKS5_S9_S3_SB_S6_S9_S3_SB_S9_PS1_PS5_21rocsparse_index_base_SE_SE_SE_bbb
; %bb.0:
	s_load_dword s7, s[4:5], 0x98
	s_load_dwordx2 s[2:3], s[4:5], 0x18
	s_load_dwordx2 s[0:1], s[4:5], 0x50
	s_waitcnt lgkmcnt(0)
	s_and_b32 s10, 1, s7
	s_bitcmp1_b32 s7, 16
	s_cselect_b64 s[8:9], -1, 0
	s_cmp_eq_u32 s10, 1
	s_cselect_b64 s[44:45], -1, 0
	s_and_b64 s[10:11], s[44:45], exec
	s_cselect_b32 s11, s3, 0
	s_cselect_b32 s10, s2, 0
	s_xor_b64 s[12:13], s[44:45], -1
	s_or_b64 s[12:13], s[12:13], s[8:9]
	s_and_b64 vcc, exec, s[12:13]
	v_pk_mov_b32 v[4:5], s[10:11], s[10:11] op_sel:[0,1]
	s_cbranch_vccnz .LBB27_2
; %bb.1:
	v_pk_mov_b32 v[2:3], s[2:3], s[2:3] op_sel:[0,1]
	flat_load_dwordx2 v[4:5], v[2:3]
.LBB27_2:
	s_bitcmp1_b32 s7, 8
	s_load_dwordx4 s[24:27], s[4:5], 0x88
	s_cselect_b64 s[2:3], -1, 0
	s_and_b64 s[10:11], s[2:3], exec
	s_cselect_b32 s11, s1, 0
	s_cselect_b32 s10, s0, 0
	s_xor_b64 s[12:13], s[2:3], -1
	s_or_b64 s[8:9], s[12:13], s[8:9]
	s_and_b64 vcc, exec, s[8:9]
	v_pk_mov_b32 v[2:3], s[10:11], s[10:11] op_sel:[0,1]
	s_cbranch_vccnz .LBB27_4
; %bb.3:
	v_pk_mov_b32 v[2:3], s[0:1], s[0:1] op_sel:[0,1]
	flat_load_dwordx2 v[2:3], v[2:3]
.LBB27_4:
	s_load_dwordx4 s[28:31], s[4:5], 0x78
	s_load_dwordx8 s[8:15], s[4:5], 0x58
	s_load_dwordx4 s[36:39], s[4:5], 0x40
	s_load_dwordx8 s[16:23], s[4:5], 0x20
	s_load_dwordx4 s[40:43], s[4:5], 0x8
	s_load_dword s33, s[4:5], 0x0
	s_movk_i32 s0, 0x100
	v_cmp_gt_u32_e64 s[0:1], s0, v0
	v_lshl_add_u32 v14, v0, 3, 0
	v_lshl_add_u32 v1, v0, 2, 0
	s_and_saveexec_b64 s[4:5], s[0:1]
	s_cbranch_execz .LBB27_7
; %bb.5:
	v_mov_b32_e32 v6, 0
	v_add_u32_e32 v8, 0x400, v14
	v_or_b32_e32 v9, 0xffffff80, v0
	v_lshl_add_u32 v10, v0, 2, 0
	s_mov_b64 s[34:35], 0
	s_waitcnt lgkmcnt(0)
	v_mov_b32_e32 v11, s33
	v_mov_b32_e32 v7, v6
.LBB27_6:                               ; =>This Inner Loop Header: Depth=1
	v_add_co_u32_e32 v9, vcc, 0x80, v9
	s_xor_b64 s[46:47], vcc, -1
	s_and_b64 s[46:47], exec, s[46:47]
	ds_write_b32 v10, v11
	ds_write_b64 v8, v[6:7]
	v_add_u32_e32 v8, 0x400, v8
	s_or_b64 s[34:35], s[46:47], s[34:35]
	v_add_u32_e32 v10, 0x200, v10
	s_andn2_b64 exec, exec, s[34:35]
	s_cbranch_execnz .LBB27_6
.LBB27_7:
	s_or_b64 exec, exec, s[4:5]
	s_waitcnt lgkmcnt(0)
	s_barrier
	s_load_dword s4, s[40:41], 0x0
	s_mov_b32 s5, 0
	s_waitcnt lgkmcnt(0)
	s_add_i32 s4, s4, s6
	s_lshl_b64 s[4:5], s[4:5], 2
	s_add_u32 s4, s42, s4
	s_addc_u32 s5, s43, s5
	s_load_dword s34, s[4:5], 0x0
	s_and_b64 vcc, exec, s[44:45]
	s_cbranch_vccz .LBB27_27
; %bb.8:
	s_waitcnt lgkmcnt(0)
	s_ashr_i32 s35, s34, 31
	s_lshl_b64 s[4:5], s[34:35], 2
	s_add_u32 s4, s16, s4
	s_addc_u32 s5, s17, s5
	s_load_dwordx2 s[4:5], s[4:5], 0x0
	v_lshrrev_b32_e32 v6, 4, v0
	v_subrev_u32_e32 v6, s24, v6
	s_waitcnt lgkmcnt(0)
	s_sub_i32 s35, s5, s24
	v_add_u32_e32 v6, s4, v6
	v_cmp_gt_i32_e32 vcc, s35, v6
	s_and_saveexec_b64 s[4:5], vcc
	s_cbranch_execz .LBB27_26
; %bb.9:
	v_and_b32_e32 v7, 15, v0
	v_subrev_u32_e32 v15, s25, v7
	s_mov_b64 s[6:7], 0
	v_mov_b32_e32 v16, s19
	v_mov_b32_e32 v17, s23
	s_movk_i32 s19, 0x89
	s_branch .LBB27_11
.LBB27_10:                              ;   in Loop: Header=BB27_11 Depth=1
	s_or_b64 exec, exec, s[16:17]
	v_add_u32_e32 v6, 8, v6
	v_cmp_le_i32_e32 vcc, s35, v6
	s_or_b64 s[6:7], vcc, s[6:7]
	s_andn2_b64 exec, exec, s[6:7]
	s_cbranch_execz .LBB27_26
.LBB27_11:                              ; =>This Loop Header: Depth=1
                                        ;     Child Loop BB27_14 Depth 2
                                        ;       Child Loop BB27_16 Depth 3
	v_ashrrev_i32_e32 v7, 31, v6
	v_lshlrev_b64 v[8:9], 2, v[6:7]
	v_add_co_u32_e32 v8, vcc, s18, v8
	v_addc_co_u32_e32 v9, vcc, v16, v9, vcc
	global_load_dword v8, v[8:9], off
	s_waitcnt vmcnt(0)
	v_subrev_u32_e32 v8, s24, v8
	v_ashrrev_i32_e32 v9, 31, v8
	v_lshlrev_b64 v[8:9], 2, v[8:9]
	v_add_co_u32_e32 v8, vcc, s22, v8
	v_addc_co_u32_e32 v9, vcc, v17, v9, vcc
	global_load_dwordx2 v[8:9], v[8:9], off
	s_waitcnt vmcnt(0)
	v_subrev_u32_e32 v18, s25, v9
	v_add_u32_e32 v8, v8, v15
	v_cmp_lt_i32_e32 vcc, v8, v18
	s_and_saveexec_b64 s[16:17], vcc
	s_cbranch_execz .LBB27_10
; %bb.12:                               ;   in Loop: Header=BB27_11 Depth=1
	v_lshlrev_b64 v[10:11], 3, v[6:7]
	v_mov_b32_e32 v7, s21
	v_add_co_u32_e32 v10, vcc, s20, v10
	v_addc_co_u32_e32 v11, vcc, v7, v11, vcc
	global_load_dwordx2 v[10:11], v[10:11], off
	s_mov_b64 s[40:41], 0
	s_waitcnt vmcnt(0)
	v_mul_f64 v[10:11], v[4:5], v[10:11]
	s_branch .LBB27_14
.LBB27_13:                              ;   in Loop: Header=BB27_14 Depth=2
	s_or_b64 exec, exec, s[42:43]
	v_add_u32_e32 v8, 16, v8
	v_cmp_ge_i32_e32 vcc, v8, v18
	s_or_b64 s[40:41], vcc, s[40:41]
	s_andn2_b64 exec, exec, s[40:41]
	s_cbranch_execz .LBB27_10
.LBB27_14:                              ;   Parent Loop BB27_11 Depth=1
                                        ; =>  This Loop Header: Depth=2
                                        ;       Child Loop BB27_16 Depth 3
	v_ashrrev_i32_e32 v9, 31, v8
	v_lshlrev_b64 v[12:13], 2, v[8:9]
	v_mov_b32_e32 v7, s37
	v_add_co_u32_e32 v12, vcc, s36, v12
	v_addc_co_u32_e32 v13, vcc, v7, v13, vcc
	global_load_dword v7, v[12:13], off
	v_lshlrev_b64 v[12:13], 3, v[8:9]
	v_mov_b32_e32 v9, s39
	v_add_co_u32_e32 v12, vcc, s38, v12
	v_addc_co_u32_e32 v13, vcc, v9, v13, vcc
	global_load_dwordx2 v[12:13], v[12:13], off
	s_mov_b64 s[42:43], 0
	s_waitcnt vmcnt(1)
	v_subrev_u32_e32 v7, s25, v7
	v_mul_lo_u32 v9, v7, s19
	v_and_b32_e32 v9, 0xff, v9
	s_waitcnt vmcnt(0)
	v_mul_f64 v[12:13], v[10:11], v[12:13]
	s_branch .LBB27_16
.LBB27_15:                              ;   in Loop: Header=BB27_16 Depth=3
	s_or_b64 exec, exec, s[44:45]
	s_xor_b64 s[44:45], s[46:47], -1
	s_and_b64 s[44:45], exec, s[44:45]
	s_or_b64 s[42:43], s[44:45], s[42:43]
	s_andn2_b64 exec, exec, s[42:43]
	s_cbranch_execz .LBB27_13
.LBB27_16:                              ;   Parent Loop BB27_11 Depth=1
                                        ;     Parent Loop BB27_14 Depth=2
                                        ; =>    This Inner Loop Header: Depth=3
	v_lshl_add_u32 v19, v9, 2, 0
	ds_read_b32 v20, v19
                                        ; implicit-def: $sgpr46_sgpr47
	s_waitcnt lgkmcnt(0)
	v_cmp_ne_u32_e32 vcc, v20, v7
	s_and_saveexec_b64 s[44:45], vcc
	s_xor_b64 s[44:45], exec, s[44:45]
	s_cbranch_execz .LBB27_24
; %bb.17:                               ;   in Loop: Header=BB27_16 Depth=3
	v_cmp_ne_u32_e32 vcc, s33, v20
                                        ; implicit-def: $sgpr46_sgpr47
	s_and_saveexec_b64 s[48:49], vcc
	s_xor_b64 s[48:49], exec, s[48:49]
; %bb.18:                               ;   in Loop: Header=BB27_16 Depth=3
	v_add_u32_e32 v9, 1, v9
	v_and_b32_e32 v9, 0xff, v9
	s_mov_b64 s[46:47], -1
                                        ; implicit-def: $vgpr19
; %bb.19:                               ;   in Loop: Header=BB27_16 Depth=3
	s_andn2_saveexec_b64 s[48:49], s[48:49]
	s_cbranch_execz .LBB27_23
; %bb.20:                               ;   in Loop: Header=BB27_16 Depth=3
	v_mov_b32_e32 v20, s33
	ds_cmpst_rtn_b32 v20, v19, v20, v7
	s_mov_b64 s[50:51], -1
	s_waitcnt lgkmcnt(0)
	v_cmp_eq_u32_e32 vcc, s33, v20
	s_and_saveexec_b64 s[52:53], vcc
	s_cbranch_execz .LBB27_22
; %bb.21:                               ;   in Loop: Header=BB27_16 Depth=3
	v_lshl_add_u32 v19, v9, 2, v19
	ds_add_f64 v19, v[12:13] offset:1024
	s_xor_b64 s[50:51], exec, -1
.LBB27_22:                              ;   in Loop: Header=BB27_16 Depth=3
	s_or_b64 exec, exec, s[52:53]
	s_andn2_b64 s[46:47], s[46:47], exec
	s_and_b64 s[50:51], s[50:51], exec
	s_or_b64 s[46:47], s[46:47], s[50:51]
.LBB27_23:                              ;   in Loop: Header=BB27_16 Depth=3
	s_or_b64 exec, exec, s[48:49]
	s_and_b64 s[46:47], s[46:47], exec
                                        ; implicit-def: $vgpr19
.LBB27_24:                              ;   in Loop: Header=BB27_16 Depth=3
	s_andn2_saveexec_b64 s[44:45], s[44:45]
	s_cbranch_execz .LBB27_15
; %bb.25:                               ;   in Loop: Header=BB27_16 Depth=3
	v_lshl_add_u32 v19, v9, 2, v19
	ds_add_f64 v19, v[12:13] offset:1024
	s_andn2_b64 s[46:47], s[46:47], exec
	s_branch .LBB27_15
.LBB27_26:
	s_or_b64 exec, exec, s[4:5]
.LBB27_27:
	s_andn2_b64 vcc, exec, s[2:3]
	s_cbranch_vccnz .LBB27_44
; %bb.28:
	s_waitcnt lgkmcnt(0)
	s_ashr_i32 s35, s34, 31
	s_lshl_b64 s[2:3], s[34:35], 2
	s_add_u32 s2, s8, s2
	s_addc_u32 s3, s9, s3
	s_load_dwordx2 s[2:3], s[2:3], 0x0
	s_waitcnt vmcnt(0)
	v_subrev_u32_e32 v4, s27, v0
	s_waitcnt lgkmcnt(0)
	s_sub_i32 s24, s3, s27
	v_add_u32_e32 v4, s2, v4
	v_cmp_gt_i32_e32 vcc, s24, v4
	s_and_saveexec_b64 s[2:3], vcc
	s_cbranch_execz .LBB27_43
; %bb.29:
	s_mov_b64 s[4:5], 0
	v_mov_b32_e32 v8, s11
	v_mov_b32_e32 v9, s13
	s_movk_i32 s11, 0x89
	s_branch .LBB27_31
.LBB27_30:                              ;   in Loop: Header=BB27_31 Depth=1
	s_or_b64 exec, exec, s[6:7]
	v_add_u32_e32 v4, 0x80, v4
	v_cmp_le_i32_e32 vcc, s24, v4
	s_or_b64 s[4:5], vcc, s[4:5]
	s_andn2_b64 exec, exec, s[4:5]
	s_cbranch_execz .LBB27_43
.LBB27_31:                              ; =>This Loop Header: Depth=1
                                        ;     Child Loop BB27_33 Depth 2
	v_ashrrev_i32_e32 v5, 31, v4
	v_lshlrev_b64 v[6:7], 2, v[4:5]
	v_add_co_u32_e32 v6, vcc, s10, v6
	v_addc_co_u32_e32 v7, vcc, v8, v7, vcc
	global_load_dword v10, v[6:7], off
	v_lshlrev_b64 v[6:7], 3, v[4:5]
	v_add_co_u32_e32 v6, vcc, s12, v6
	v_addc_co_u32_e32 v7, vcc, v9, v7, vcc
	global_load_dwordx2 v[6:7], v[6:7], off
	s_mov_b64 s[6:7], 0
	s_waitcnt vmcnt(1)
	v_subrev_u32_e32 v5, s27, v10
	v_mul_lo_u32 v10, v5, s11
	v_and_b32_e32 v10, 0xff, v10
	s_waitcnt vmcnt(0)
	v_mul_f64 v[6:7], v[2:3], v[6:7]
	s_branch .LBB27_33
.LBB27_32:                              ;   in Loop: Header=BB27_33 Depth=2
	s_or_b64 exec, exec, s[8:9]
	s_xor_b64 s[8:9], s[16:17], -1
	s_and_b64 s[8:9], exec, s[8:9]
	s_or_b64 s[6:7], s[8:9], s[6:7]
	s_andn2_b64 exec, exec, s[6:7]
	s_cbranch_execz .LBB27_30
.LBB27_33:                              ;   Parent Loop BB27_31 Depth=1
                                        ; =>  This Inner Loop Header: Depth=2
	v_lshl_add_u32 v11, v10, 2, 0
	ds_read_b32 v12, v11
                                        ; implicit-def: $sgpr16_sgpr17
	s_waitcnt lgkmcnt(0)
	v_cmp_ne_u32_e32 vcc, v12, v5
	s_and_saveexec_b64 s[8:9], vcc
	s_xor_b64 s[8:9], exec, s[8:9]
	s_cbranch_execz .LBB27_41
; %bb.34:                               ;   in Loop: Header=BB27_33 Depth=2
	v_cmp_ne_u32_e32 vcc, s33, v12
                                        ; implicit-def: $sgpr16_sgpr17
	s_and_saveexec_b64 s[18:19], vcc
	s_xor_b64 s[18:19], exec, s[18:19]
; %bb.35:                               ;   in Loop: Header=BB27_33 Depth=2
	v_add_u32_e32 v10, 1, v10
	v_and_b32_e32 v10, 0xff, v10
	s_mov_b64 s[16:17], -1
                                        ; implicit-def: $vgpr11
; %bb.36:                               ;   in Loop: Header=BB27_33 Depth=2
	s_andn2_saveexec_b64 s[18:19], s[18:19]
	s_cbranch_execz .LBB27_40
; %bb.37:                               ;   in Loop: Header=BB27_33 Depth=2
	v_mov_b32_e32 v12, s33
	ds_cmpst_rtn_b32 v12, v11, v12, v5
	s_mov_b64 s[20:21], -1
	s_waitcnt lgkmcnt(0)
	v_cmp_eq_u32_e32 vcc, s33, v12
	s_and_saveexec_b64 s[22:23], vcc
	s_cbranch_execz .LBB27_39
; %bb.38:                               ;   in Loop: Header=BB27_33 Depth=2
	v_lshl_add_u32 v11, v10, 2, v11
	ds_add_f64 v11, v[6:7] offset:1024
	s_xor_b64 s[20:21], exec, -1
.LBB27_39:                              ;   in Loop: Header=BB27_33 Depth=2
	s_or_b64 exec, exec, s[22:23]
	s_andn2_b64 s[16:17], s[16:17], exec
	s_and_b64 s[20:21], s[20:21], exec
	s_or_b64 s[16:17], s[16:17], s[20:21]
.LBB27_40:                              ;   in Loop: Header=BB27_33 Depth=2
	s_or_b64 exec, exec, s[18:19]
	s_and_b64 s[16:17], s[16:17], exec
                                        ; implicit-def: $vgpr11
.LBB27_41:                              ;   in Loop: Header=BB27_33 Depth=2
	s_andn2_saveexec_b64 s[8:9], s[8:9]
	s_cbranch_execz .LBB27_32
; %bb.42:                               ;   in Loop: Header=BB27_33 Depth=2
	v_lshl_add_u32 v11, v10, 2, v11
	ds_add_f64 v11, v[6:7] offset:1024
	s_andn2_b64 s[16:17], s[16:17], exec
	s_branch .LBB27_32
.LBB27_43:
	s_or_b64 exec, exec, s[2:3]
.LBB27_44:
	s_waitcnt lgkmcnt(0)
	s_barrier
	s_and_saveexec_b64 s[8:9], s[0:1]
	s_cbranch_execz .LBB27_57
; %bb.45:
	s_waitcnt vmcnt(0)
	v_mbcnt_lo_u32_b32 v2, -1, 0
	v_mbcnt_hi_u32_b32 v2, -1, v2
	v_lshrrev_b32_e32 v4, 3, v0
	v_sub_u32_e32 v2, 63, v2
	v_and_b32_e32 v4, 12, v4
	s_movk_i32 s0, 0x7f
	s_movk_i32 s6, 0x5f
	v_mov_b32_e32 v6, 0
	v_lshrrev_b64 v[2:3], v2, -1
	v_add_u32_e32 v7, 0, v4
	v_cmp_eq_u32_e64 s[0:1], s0, v0
	v_cmp_lt_u32_e64 s[2:3], 31, v0
	v_cmp_lt_u32_e64 s[4:5], 63, v0
	;; [unrolled: 1-line block ×3, first 2 shown]
	v_add_u32_e32 v8, 0x400, v14
	v_or_b32_e32 v9, 0xffffff80, v0
	s_mov_b64 s[10:11], 0
	v_mov_b32_e32 v10, 0
	s_branch .LBB27_47
.LBB27_46:                              ;   in Loop: Header=BB27_47 Depth=1
	s_or_b64 exec, exec, s[12:13]
	s_waitcnt lgkmcnt(0)
	s_barrier
	ds_read_b32 v4, v6 offset:3084
	v_add_co_u32_e32 v9, vcc, 0x80, v9
	s_xor_b64 s[12:13], vcc, -1
	s_and_b64 s[12:13], exec, s[12:13]
	v_add_u32_e32 v8, 0x400, v8
	s_waitcnt lgkmcnt(0)
	v_add_u32_e32 v10, v4, v10
	s_or_b64 s[10:11], s[12:13], s[10:11]
	v_add_u32_e32 v1, 0x200, v1
	s_andn2_b64 exec, exec, s[10:11]
	s_cbranch_execz .LBB27_57
.LBB27_47:                              ; =>This Inner Loop Header: Depth=1
	ds_read_b32 v11, v1
	ds_read_b64 v[4:5], v8
	s_waitcnt lgkmcnt(0)
	s_barrier
	v_cmp_gt_i32_e32 vcc, s33, v11
	v_and_b32_e32 v13, vcc_lo, v2
	s_bcnt1_i32_b64 s12, vcc
	v_and_b32_e32 v12, vcc_hi, v3
	v_bcnt_u32_b32 v13, v13, 0
	v_bcnt_u32_b32 v12, v12, v13
	v_mov_b32_e32 v13, s12
	ds_write_b32 v7, v13 offset:3072
	s_waitcnt lgkmcnt(0)
	s_barrier
	s_and_saveexec_b64 s[12:13], s[2:3]
	s_cbranch_execnz .LBB27_52
; %bb.48:                               ;   in Loop: Header=BB27_47 Depth=1
	s_or_b64 exec, exec, s[12:13]
	s_and_saveexec_b64 s[12:13], s[4:5]
	s_cbranch_execnz .LBB27_53
.LBB27_49:                              ;   in Loop: Header=BB27_47 Depth=1
	s_or_b64 exec, exec, s[12:13]
	s_and_saveexec_b64 s[12:13], s[6:7]
	s_cbranch_execnz .LBB27_54
.LBB27_50:                              ;   in Loop: Header=BB27_47 Depth=1
	s_or_b64 exec, exec, s[12:13]
	s_and_saveexec_b64 s[12:13], vcc
	s_cbranch_execnz .LBB27_55
.LBB27_51:                              ;   in Loop: Header=BB27_47 Depth=1
	s_or_b64 exec, exec, s[12:13]
	s_and_saveexec_b64 s[12:13], s[0:1]
	s_cbranch_execz .LBB27_46
	s_branch .LBB27_56
.LBB27_52:                              ;   in Loop: Header=BB27_47 Depth=1
	ds_read_b32 v13, v6 offset:3072
	s_waitcnt lgkmcnt(0)
	v_add_u32_e32 v12, v13, v12
	s_or_b64 exec, exec, s[12:13]
	s_and_saveexec_b64 s[12:13], s[4:5]
	s_cbranch_execz .LBB27_49
.LBB27_53:                              ;   in Loop: Header=BB27_47 Depth=1
	ds_read_b32 v13, v6 offset:3076
	s_waitcnt lgkmcnt(0)
	v_add_u32_e32 v12, v13, v12
	s_or_b64 exec, exec, s[12:13]
	s_and_saveexec_b64 s[12:13], s[6:7]
	s_cbranch_execz .LBB27_50
.LBB27_54:                              ;   in Loop: Header=BB27_47 Depth=1
	ds_read_b32 v13, v6 offset:3080
	s_waitcnt lgkmcnt(0)
	v_add_u32_e32 v12, v13, v12
	s_or_b64 exec, exec, s[12:13]
	s_and_saveexec_b64 s[12:13], vcc
	s_cbranch_execz .LBB27_51
.LBB27_55:                              ;   in Loop: Header=BB27_47 Depth=1
	v_add3_u32 v13, v10, -1, v12
	v_lshl_add_u32 v14, v13, 2, 0
	v_lshl_add_u32 v13, v13, 3, 0
	ds_write_b32 v14, v11
	ds_write_b64 v13, v[4:5] offset:1024
	s_or_b64 exec, exec, s[12:13]
	s_and_saveexec_b64 s[12:13], s[0:1]
	s_cbranch_execz .LBB27_46
.LBB27_56:                              ;   in Loop: Header=BB27_47 Depth=1
	ds_write_b32 v6, v12 offset:3084
	s_branch .LBB27_46
.LBB27_57:
	s_or_b64 exec, exec, s[8:9]
	s_ashr_i32 s35, s34, 31
	s_lshl_b64 s[0:1], s[34:35], 2
	s_add_u32 s0, s14, s0
	s_addc_u32 s1, s15, s1
	s_load_dwordx2 s[0:1], s[0:1], 0x0
	s_waitcnt lgkmcnt(0)
	s_sub_i32 s14, s1, s0
	v_cmp_gt_i32_e32 vcc, s14, v0
	s_and_saveexec_b64 s[2:3], vcc
	s_cbranch_execz .LBB27_72
; %bb.58:
	s_sub_i32 s6, s0, s26
	s_add_i32 s0, s14, -2
	s_lshr_b32 s1, s0, 1
	s_add_i32 s2, s1, 1
	s_cmp_gt_u32 s14, 1
	s_cselect_b64 s[8:9], -1, 0
	s_and_b32 s15, s14, -2
	s_and_b32 s4, s2, 7
	s_cmp_gt_u32 s0, 13
	s_cselect_b64 s[0:1], -1, 0
	s_and_b32 s16, s2, -8
	s_cmp_lg_u32 s4, 0
	s_cselect_b64 s[2:3], -1, 0
	v_cndmask_b32_e64 v1, 0, 1, s[0:1]
	s_cmp_lg_u32 s14, s15
	v_cmp_ne_u32_e64 s[0:1], 1, v1
	v_cndmask_b32_e64 v1, 0, 1, s[2:3]
	s_mov_b32 s7, 0
	s_cselect_b64 s[10:11], -1, 0
	s_lshl_b32 s17, s4, 3
	s_mov_b64 s[12:13], 0
	v_cmp_ne_u32_e64 s[2:3], 1, v1
	v_mov_b32_e32 v1, s29
	v_mov_b32_e32 v6, s31
	s_waitcnt vmcnt(0)
	s_branch .LBB27_60
.LBB27_59:                              ;   in Loop: Header=BB27_60 Depth=1
	v_ashrrev_i32_e32 v5, 31, v4
	v_lshlrev_b64 v[8:9], 2, v[4:5]
	v_add_co_u32_e32 v8, vcc, s28, v8
	v_addc_co_u32_e32 v9, vcc, v1, v9, vcc
	v_lshlrev_b64 v[4:5], 3, v[4:5]
	v_add_co_u32_e32 v4, vcc, s30, v4
	v_addc_co_u32_e32 v5, vcc, v6, v5, vcc
	v_add_u32_e32 v0, 0x80, v0
	v_cmp_le_i32_e32 vcc, s14, v0
	s_waitcnt lgkmcnt(1)
	v_add_u32_e32 v7, s26, v7
	s_or_b64 s[12:13], vcc, s[12:13]
	global_store_dword v[8:9], v7, off
	s_waitcnt lgkmcnt(0)
	global_store_dwordx2 v[4:5], v[2:3], off
	s_andn2_b64 exec, exec, s[12:13]
	s_cbranch_execz .LBB27_72
.LBB27_60:                              ; =>This Loop Header: Depth=1
                                        ;     Child Loop BB27_63 Depth 2
                                        ;     Child Loop BB27_68 Depth 2
	;; [unrolled: 1-line block ×3, first 2 shown]
	v_lshlrev_b32_e32 v2, 2, v0
	v_add_u32_e32 v3, 0, v2
	v_add_u32_e32 v2, v3, v2
	ds_read_b32 v7, v3
	ds_read_b64 v[2:3], v2 offset:1024
	s_and_b64 vcc, exec, s[8:9]
	s_cbranch_vccz .LBB27_65
; %bb.61:                               ;   in Loop: Header=BB27_60 Depth=1
	s_and_b64 vcc, exec, s[0:1]
	s_cbranch_vccnz .LBB27_66
; %bb.62:                               ;   in Loop: Header=BB27_60 Depth=1
	s_mov_b32 s19, 0
	v_mov_b32_e32 v4, s6
	v_mov_b32_e32 v5, 0
	s_mov_b32 s20, s16
	s_mov_b32 s18, 0
.LBB27_63:                              ;   Parent Loop BB27_60 Depth=1
                                        ; =>  This Inner Loop Header: Depth=2
	v_mov_b32_e32 v22, s19
	ds_read2_b32 v[8:9], v22 offset1:1
	ds_read2_b32 v[10:11], v22 offset0:2 offset1:3
	ds_read2_b32 v[12:13], v22 offset0:4 offset1:5
	;; [unrolled: 1-line block ×7, first 2 shown]
	s_waitcnt lgkmcnt(7)
	v_cmp_gt_i32_e32 vcc, v7, v9
	v_cndmask_b32_e64 v9, 0, 1, vcc
	v_cmp_gt_i32_e32 vcc, v7, v8
	s_waitcnt lgkmcnt(5)
	v_cmp_gt_i32_e64 s[4:5], v7, v12
	v_cndmask_b32_e64 v8, 0, 1, vcc
	v_cmp_gt_i32_e32 vcc, v7, v11
	v_cndmask_b32_e64 v11, 0, 1, s[4:5]
	v_cmp_gt_i32_e64 s[4:5], v7, v13
	v_cndmask_b32_e64 v12, 0, 1, s[4:5]
	s_waitcnt lgkmcnt(3)
	v_cmp_gt_i32_e64 s[4:5], v7, v17
	v_cndmask_b32_e64 v13, 0, 1, s[4:5]
	v_cmp_gt_i32_e64 s[4:5], v7, v16
	v_cndmask_b32_e64 v16, 0, 1, s[4:5]
	s_waitcnt lgkmcnt(1)
	v_cmp_gt_i32_e64 s[4:5], v7, v20
	v_cndmask_b32_e64 v17, 0, 1, s[4:5]
	v_cmp_gt_i32_e64 s[4:5], v7, v21
	v_cndmask_b32_e64 v20, 0, 1, s[4:5]
	v_cmp_gt_i32_e64 s[4:5], v7, v10
	v_addc_co_u32_e64 v4, s[4:5], v4, v8, s[4:5]
	v_addc_co_u32_e32 v5, vcc, v5, v9, vcc
	v_cmp_gt_i32_e32 vcc, v7, v14
	v_cmp_gt_i32_e64 s[4:5], v7, v15
	v_addc_co_u32_e64 v5, s[4:5], v5, v12, s[4:5]
	v_addc_co_u32_e32 v4, vcc, v4, v11, vcc
	v_cmp_gt_i32_e32 vcc, v7, v19
	v_cmp_gt_i32_e64 s[4:5], v7, v18
	v_addc_co_u32_e64 v4, s[4:5], v4, v16, s[4:5]
	v_addc_co_u32_e32 v5, vcc, v5, v13, vcc
	s_add_i32 s18, s18, 16
	s_add_i32 s19, s19, 64
	s_add_i32 s20, s20, -8
	s_waitcnt lgkmcnt(0)
	v_cmp_gt_i32_e32 vcc, v7, v22
	v_cmp_gt_i32_e64 s[4:5], v7, v23
	s_cmp_lg_u32 s20, 0
	v_addc_co_u32_e64 v5, s[4:5], v5, v20, s[4:5]
	v_addc_co_u32_e32 v4, vcc, v4, v17, vcc
	s_cbranch_scc1 .LBB27_63
; %bb.64:                               ;   in Loop: Header=BB27_60 Depth=1
	s_and_b64 vcc, exec, s[2:3]
	s_cbranch_vccz .LBB27_67
	s_branch .LBB27_69
.LBB27_65:                              ;   in Loop: Header=BB27_60 Depth=1
	v_mov_b32_e32 v4, s6
	s_mov_b32 s18, 0
	s_cbranch_execz .LBB27_59
	s_branch .LBB27_70
.LBB27_66:                              ;   in Loop: Header=BB27_60 Depth=1
	v_pk_mov_b32 v[4:5], s[6:7], s[6:7] op_sel:[0,1]
	s_mov_b32 s18, 0
	s_and_b64 vcc, exec, s[2:3]
	s_cbranch_vccnz .LBB27_69
.LBB27_67:                              ;   in Loop: Header=BB27_60 Depth=1
	s_lshl_b32 s4, s18, 2
	s_add_i32 s4, s4, 0
	s_mov_b32 s5, s17
.LBB27_68:                              ;   Parent Loop BB27_60 Depth=1
                                        ; =>  This Inner Loop Header: Depth=2
	v_mov_b32_e32 v8, s4
	ds_read2_b32 v[8:9], v8 offset1:1
	s_add_i32 s4, s4, 8
	s_add_i32 s5, s5, -8
	s_cmp_lg_u32 s5, 0
	s_waitcnt lgkmcnt(0)
	v_cmp_gt_i32_e32 vcc, v7, v9
	v_addc_co_u32_e32 v5, vcc, 0, v5, vcc
	v_cmp_gt_i32_e32 vcc, v7, v8
	v_addc_co_u32_e32 v4, vcc, 0, v4, vcc
	s_cbranch_scc1 .LBB27_68
.LBB27_69:                              ;   in Loop: Header=BB27_60 Depth=1
	v_add_u32_e32 v4, v4, v5
	s_mov_b32 s18, s15
	s_mov_b64 s[4:5], s[10:11]
	s_and_b64 vcc, exec, s[4:5]
	s_cbranch_vccz .LBB27_59
.LBB27_70:                              ;   in Loop: Header=BB27_60 Depth=1
	s_lshl_b32 s4, s18, 2
	s_add_i32 s4, s4, 0
.LBB27_71:                              ;   Parent Loop BB27_60 Depth=1
                                        ; =>  This Inner Loop Header: Depth=2
	v_mov_b32_e32 v5, s4
	ds_read_b32 v5, v5
	s_add_i32 s18, s18, 1
	s_add_i32 s4, s4, 4
	s_cmp_ge_i32 s18, s14
	s_waitcnt lgkmcnt(0)
	v_cmp_gt_i32_e32 vcc, v7, v5
	v_addc_co_u32_e32 v4, vcc, 0, v4, vcc
	s_cbranch_scc0 .LBB27_71
	s_branch .LBB27_59
.LBB27_72:
	s_endpgm
	.section	.rodata,"a",@progbits
	.p2align	6, 0x0
	.amdhsa_kernel _ZN9rocsparseL26csrgemm_fill_block_per_rowILj128ELj16ELj256ELj137ELj32EiidEEvT5_PKS1_S3_NS_24const_host_device_scalarIT6_EEPKT4_S3_PKS5_S9_S3_SB_S6_S9_S3_SB_S9_PS1_PS5_21rocsparse_index_base_SE_SE_SE_bbb
		.amdhsa_group_segment_fixed_size 0
		.amdhsa_private_segment_fixed_size 0
		.amdhsa_kernarg_size 156
		.amdhsa_user_sgpr_count 6
		.amdhsa_user_sgpr_private_segment_buffer 1
		.amdhsa_user_sgpr_dispatch_ptr 0
		.amdhsa_user_sgpr_queue_ptr 0
		.amdhsa_user_sgpr_kernarg_segment_ptr 1
		.amdhsa_user_sgpr_dispatch_id 0
		.amdhsa_user_sgpr_flat_scratch_init 0
		.amdhsa_user_sgpr_kernarg_preload_length 0
		.amdhsa_user_sgpr_kernarg_preload_offset 0
		.amdhsa_user_sgpr_private_segment_size 0
		.amdhsa_uses_dynamic_stack 0
		.amdhsa_system_sgpr_private_segment_wavefront_offset 0
		.amdhsa_system_sgpr_workgroup_id_x 1
		.amdhsa_system_sgpr_workgroup_id_y 0
		.amdhsa_system_sgpr_workgroup_id_z 0
		.amdhsa_system_sgpr_workgroup_info 0
		.amdhsa_system_vgpr_workitem_id 0
		.amdhsa_next_free_vgpr 24
		.amdhsa_next_free_sgpr 54
		.amdhsa_accum_offset 24
		.amdhsa_reserve_vcc 1
		.amdhsa_reserve_flat_scratch 0
		.amdhsa_float_round_mode_32 0
		.amdhsa_float_round_mode_16_64 0
		.amdhsa_float_denorm_mode_32 3
		.amdhsa_float_denorm_mode_16_64 3
		.amdhsa_dx10_clamp 1
		.amdhsa_ieee_mode 1
		.amdhsa_fp16_overflow 0
		.amdhsa_tg_split 0
		.amdhsa_exception_fp_ieee_invalid_op 0
		.amdhsa_exception_fp_denorm_src 0
		.amdhsa_exception_fp_ieee_div_zero 0
		.amdhsa_exception_fp_ieee_overflow 0
		.amdhsa_exception_fp_ieee_underflow 0
		.amdhsa_exception_fp_ieee_inexact 0
		.amdhsa_exception_int_div_zero 0
	.end_amdhsa_kernel
	.section	.text._ZN9rocsparseL26csrgemm_fill_block_per_rowILj128ELj16ELj256ELj137ELj32EiidEEvT5_PKS1_S3_NS_24const_host_device_scalarIT6_EEPKT4_S3_PKS5_S9_S3_SB_S6_S9_S3_SB_S9_PS1_PS5_21rocsparse_index_base_SE_SE_SE_bbb,"axG",@progbits,_ZN9rocsparseL26csrgemm_fill_block_per_rowILj128ELj16ELj256ELj137ELj32EiidEEvT5_PKS1_S3_NS_24const_host_device_scalarIT6_EEPKT4_S3_PKS5_S9_S3_SB_S6_S9_S3_SB_S9_PS1_PS5_21rocsparse_index_base_SE_SE_SE_bbb,comdat
.Lfunc_end27:
	.size	_ZN9rocsparseL26csrgemm_fill_block_per_rowILj128ELj16ELj256ELj137ELj32EiidEEvT5_PKS1_S3_NS_24const_host_device_scalarIT6_EEPKT4_S3_PKS5_S9_S3_SB_S6_S9_S3_SB_S9_PS1_PS5_21rocsparse_index_base_SE_SE_SE_bbb, .Lfunc_end27-_ZN9rocsparseL26csrgemm_fill_block_per_rowILj128ELj16ELj256ELj137ELj32EiidEEvT5_PKS1_S3_NS_24const_host_device_scalarIT6_EEPKT4_S3_PKS5_S9_S3_SB_S6_S9_S3_SB_S9_PS1_PS5_21rocsparse_index_base_SE_SE_SE_bbb
                                        ; -- End function
	.section	.AMDGPU.csdata,"",@progbits
; Kernel info:
; codeLenInByte = 2736
; NumSgprs: 58
; NumVgprs: 24
; NumAgprs: 0
; TotalNumVgprs: 24
; ScratchSize: 0
; MemoryBound: 0
; FloatMode: 240
; IeeeMode: 1
; LDSByteSize: 0 bytes/workgroup (compile time only)
; SGPRBlocks: 7
; VGPRBlocks: 2
; NumSGPRsForWavesPerEU: 58
; NumVGPRsForWavesPerEU: 24
; AccumOffset: 24
; Occupancy: 8
; WaveLimiterHint : 1
; COMPUTE_PGM_RSRC2:SCRATCH_EN: 0
; COMPUTE_PGM_RSRC2:USER_SGPR: 6
; COMPUTE_PGM_RSRC2:TRAP_HANDLER: 0
; COMPUTE_PGM_RSRC2:TGID_X_EN: 1
; COMPUTE_PGM_RSRC2:TGID_Y_EN: 0
; COMPUTE_PGM_RSRC2:TGID_Z_EN: 0
; COMPUTE_PGM_RSRC2:TIDIG_COMP_CNT: 0
; COMPUTE_PGM_RSRC3_GFX90A:ACCUM_OFFSET: 5
; COMPUTE_PGM_RSRC3_GFX90A:TG_SPLIT: 0
	.section	.text._ZN9rocsparseL26csrgemm_fill_block_per_rowILj128ELj16ELj256ELj137ELj64EiidEEvT5_PKS1_S3_NS_24const_host_device_scalarIT6_EEPKT4_S3_PKS5_S9_S3_SB_S6_S9_S3_SB_S9_PS1_PS5_21rocsparse_index_base_SE_SE_SE_bbb,"axG",@progbits,_ZN9rocsparseL26csrgemm_fill_block_per_rowILj128ELj16ELj256ELj137ELj64EiidEEvT5_PKS1_S3_NS_24const_host_device_scalarIT6_EEPKT4_S3_PKS5_S9_S3_SB_S6_S9_S3_SB_S9_PS1_PS5_21rocsparse_index_base_SE_SE_SE_bbb,comdat
	.globl	_ZN9rocsparseL26csrgemm_fill_block_per_rowILj128ELj16ELj256ELj137ELj64EiidEEvT5_PKS1_S3_NS_24const_host_device_scalarIT6_EEPKT4_S3_PKS5_S9_S3_SB_S6_S9_S3_SB_S9_PS1_PS5_21rocsparse_index_base_SE_SE_SE_bbb ; -- Begin function _ZN9rocsparseL26csrgemm_fill_block_per_rowILj128ELj16ELj256ELj137ELj64EiidEEvT5_PKS1_S3_NS_24const_host_device_scalarIT6_EEPKT4_S3_PKS5_S9_S3_SB_S6_S9_S3_SB_S9_PS1_PS5_21rocsparse_index_base_SE_SE_SE_bbb
	.p2align	8
	.type	_ZN9rocsparseL26csrgemm_fill_block_per_rowILj128ELj16ELj256ELj137ELj64EiidEEvT5_PKS1_S3_NS_24const_host_device_scalarIT6_EEPKT4_S3_PKS5_S9_S3_SB_S6_S9_S3_SB_S9_PS1_PS5_21rocsparse_index_base_SE_SE_SE_bbb,@function
_ZN9rocsparseL26csrgemm_fill_block_per_rowILj128ELj16ELj256ELj137ELj64EiidEEvT5_PKS1_S3_NS_24const_host_device_scalarIT6_EEPKT4_S3_PKS5_S9_S3_SB_S6_S9_S3_SB_S9_PS1_PS5_21rocsparse_index_base_SE_SE_SE_bbb: ; @_ZN9rocsparseL26csrgemm_fill_block_per_rowILj128ELj16ELj256ELj137ELj64EiidEEvT5_PKS1_S3_NS_24const_host_device_scalarIT6_EEPKT4_S3_PKS5_S9_S3_SB_S6_S9_S3_SB_S9_PS1_PS5_21rocsparse_index_base_SE_SE_SE_bbb
; %bb.0:
	s_load_dword s7, s[4:5], 0x98
	s_load_dwordx2 s[2:3], s[4:5], 0x18
	s_load_dwordx2 s[0:1], s[4:5], 0x50
	s_waitcnt lgkmcnt(0)
	s_and_b32 s10, 1, s7
	s_bitcmp1_b32 s7, 16
	s_cselect_b64 s[8:9], -1, 0
	s_cmp_eq_u32 s10, 1
	s_cselect_b64 s[34:35], -1, 0
	s_and_b64 s[10:11], s[34:35], exec
	s_cselect_b32 s11, s3, 0
	s_cselect_b32 s10, s2, 0
	s_xor_b64 s[12:13], s[34:35], -1
	s_or_b64 s[12:13], s[12:13], s[8:9]
	s_and_b64 vcc, exec, s[12:13]
	v_pk_mov_b32 v[4:5], s[10:11], s[10:11] op_sel:[0,1]
	s_cbranch_vccnz .LBB28_2
; %bb.1:
	v_pk_mov_b32 v[2:3], s[2:3], s[2:3] op_sel:[0,1]
	flat_load_dwordx2 v[4:5], v[2:3]
.LBB28_2:
	s_bitcmp1_b32 s7, 8
	s_load_dwordx4 s[24:27], s[4:5], 0x88
	s_cselect_b64 s[2:3], -1, 0
	s_and_b64 s[10:11], s[2:3], exec
	s_cselect_b32 s11, s1, 0
	s_cselect_b32 s10, s0, 0
	s_xor_b64 s[12:13], s[2:3], -1
	s_or_b64 s[8:9], s[12:13], s[8:9]
	s_and_b64 vcc, exec, s[8:9]
	v_pk_mov_b32 v[2:3], s[10:11], s[10:11] op_sel:[0,1]
	s_cbranch_vccnz .LBB28_4
; %bb.3:
	v_pk_mov_b32 v[2:3], s[0:1], s[0:1] op_sel:[0,1]
	flat_load_dwordx2 v[2:3], v[2:3]
.LBB28_4:
	s_load_dwordx4 s[28:31], s[4:5], 0x78
	s_load_dwordx8 s[8:15], s[4:5], 0x58
	s_load_dwordx4 s[36:39], s[4:5], 0x40
	s_load_dwordx8 s[16:23], s[4:5], 0x20
	s_load_dwordx4 s[40:43], s[4:5], 0x8
	s_load_dword s33, s[4:5], 0x0
	s_movk_i32 s0, 0x100
	v_cmp_gt_u32_e64 s[0:1], s0, v0
	v_lshl_add_u32 v14, v0, 3, 0
	v_lshl_add_u32 v1, v0, 2, 0
	s_and_saveexec_b64 s[4:5], s[0:1]
	s_cbranch_execz .LBB28_7
; %bb.5:
	v_mov_b32_e32 v6, 0
	v_add_u32_e32 v8, 0x400, v14
	v_or_b32_e32 v9, 0xffffff80, v0
	v_lshl_add_u32 v10, v0, 2, 0
	s_mov_b64 s[44:45], 0
	s_waitcnt lgkmcnt(0)
	v_mov_b32_e32 v11, s33
	v_mov_b32_e32 v7, v6
.LBB28_6:                               ; =>This Inner Loop Header: Depth=1
	v_add_co_u32_e32 v9, vcc, 0x80, v9
	s_xor_b64 s[46:47], vcc, -1
	s_and_b64 s[46:47], exec, s[46:47]
	ds_write_b32 v10, v11
	ds_write_b64 v8, v[6:7]
	v_add_u32_e32 v8, 0x400, v8
	s_or_b64 s[44:45], s[46:47], s[44:45]
	v_add_u32_e32 v10, 0x200, v10
	s_andn2_b64 exec, exec, s[44:45]
	s_cbranch_execnz .LBB28_6
.LBB28_7:
	s_or_b64 exec, exec, s[4:5]
	s_waitcnt lgkmcnt(0)
	s_barrier
	s_load_dword s4, s[40:41], 0x0
	s_mov_b32 s5, 0
	v_lshrrev_b32_e32 v15, 4, v0
	s_waitcnt lgkmcnt(0)
	s_add_i32 s4, s4, s6
	s_lshl_b64 s[4:5], s[4:5], 2
	s_add_u32 s4, s42, s4
	s_addc_u32 s5, s43, s5
	s_load_dword s4, s[4:5], 0x0
	s_and_b64 vcc, exec, s[34:35]
	s_cbranch_vccz .LBB28_27
; %bb.8:
	s_waitcnt lgkmcnt(0)
	s_ashr_i32 s5, s4, 31
	s_lshl_b64 s[6:7], s[4:5], 2
	s_add_u32 s6, s16, s6
	s_addc_u32 s7, s17, s7
	s_load_dwordx2 s[6:7], s[6:7], 0x0
	v_subrev_u32_e32 v6, s24, v15
	s_waitcnt lgkmcnt(0)
	s_sub_i32 s5, s7, s24
	v_add_u32_e32 v6, s6, v6
	v_cmp_gt_i32_e32 vcc, s5, v6
	s_and_saveexec_b64 s[6:7], vcc
	s_cbranch_execz .LBB28_26
; %bb.9:
	v_and_b32_e32 v7, 15, v0
	v_subrev_u32_e32 v16, s25, v7
	s_mov_b64 s[16:17], 0
	v_mov_b32_e32 v17, s19
	v_mov_b32_e32 v18, s23
	s_movk_i32 s19, 0x89
	s_branch .LBB28_11
.LBB28_10:                              ;   in Loop: Header=BB28_11 Depth=1
	s_or_b64 exec, exec, s[34:35]
	v_add_u32_e32 v6, 8, v6
	v_cmp_le_i32_e32 vcc, s5, v6
	s_or_b64 s[16:17], vcc, s[16:17]
	s_andn2_b64 exec, exec, s[16:17]
	s_cbranch_execz .LBB28_26
.LBB28_11:                              ; =>This Loop Header: Depth=1
                                        ;     Child Loop BB28_14 Depth 2
                                        ;       Child Loop BB28_16 Depth 3
	v_ashrrev_i32_e32 v7, 31, v6
	v_lshlrev_b64 v[8:9], 2, v[6:7]
	v_add_co_u32_e32 v8, vcc, s18, v8
	v_addc_co_u32_e32 v9, vcc, v17, v9, vcc
	global_load_dword v8, v[8:9], off
	s_waitcnt vmcnt(0)
	v_subrev_u32_e32 v8, s24, v8
	v_ashrrev_i32_e32 v9, 31, v8
	v_lshlrev_b64 v[8:9], 2, v[8:9]
	v_add_co_u32_e32 v8, vcc, s22, v8
	v_addc_co_u32_e32 v9, vcc, v18, v9, vcc
	global_load_dwordx2 v[8:9], v[8:9], off
	s_waitcnt vmcnt(0)
	v_subrev_u32_e32 v19, s25, v9
	v_add_u32_e32 v8, v8, v16
	v_cmp_lt_i32_e32 vcc, v8, v19
	s_and_saveexec_b64 s[34:35], vcc
	s_cbranch_execz .LBB28_10
; %bb.12:                               ;   in Loop: Header=BB28_11 Depth=1
	v_lshlrev_b64 v[10:11], 3, v[6:7]
	v_mov_b32_e32 v7, s21
	v_add_co_u32_e32 v10, vcc, s20, v10
	v_addc_co_u32_e32 v11, vcc, v7, v11, vcc
	global_load_dwordx2 v[10:11], v[10:11], off
	s_mov_b64 s[40:41], 0
	s_waitcnt vmcnt(0)
	v_mul_f64 v[10:11], v[4:5], v[10:11]
	s_branch .LBB28_14
.LBB28_13:                              ;   in Loop: Header=BB28_14 Depth=2
	s_or_b64 exec, exec, s[42:43]
	v_add_u32_e32 v8, 16, v8
	v_cmp_ge_i32_e32 vcc, v8, v19
	s_or_b64 s[40:41], vcc, s[40:41]
	s_andn2_b64 exec, exec, s[40:41]
	s_cbranch_execz .LBB28_10
.LBB28_14:                              ;   Parent Loop BB28_11 Depth=1
                                        ; =>  This Loop Header: Depth=2
                                        ;       Child Loop BB28_16 Depth 3
	v_ashrrev_i32_e32 v9, 31, v8
	v_lshlrev_b64 v[12:13], 2, v[8:9]
	v_mov_b32_e32 v7, s37
	v_add_co_u32_e32 v12, vcc, s36, v12
	v_addc_co_u32_e32 v13, vcc, v7, v13, vcc
	global_load_dword v7, v[12:13], off
	v_lshlrev_b64 v[12:13], 3, v[8:9]
	v_mov_b32_e32 v9, s39
	v_add_co_u32_e32 v12, vcc, s38, v12
	v_addc_co_u32_e32 v13, vcc, v9, v13, vcc
	global_load_dwordx2 v[12:13], v[12:13], off
	s_mov_b64 s[42:43], 0
	s_waitcnt vmcnt(1)
	v_subrev_u32_e32 v7, s25, v7
	v_mul_lo_u32 v9, v7, s19
	v_and_b32_e32 v9, 0xff, v9
	s_waitcnt vmcnt(0)
	v_mul_f64 v[12:13], v[10:11], v[12:13]
	s_branch .LBB28_16
.LBB28_15:                              ;   in Loop: Header=BB28_16 Depth=3
	s_or_b64 exec, exec, s[44:45]
	s_xor_b64 s[44:45], s[46:47], -1
	s_and_b64 s[44:45], exec, s[44:45]
	s_or_b64 s[42:43], s[44:45], s[42:43]
	s_andn2_b64 exec, exec, s[42:43]
	s_cbranch_execz .LBB28_13
.LBB28_16:                              ;   Parent Loop BB28_11 Depth=1
                                        ;     Parent Loop BB28_14 Depth=2
                                        ; =>    This Inner Loop Header: Depth=3
	v_lshl_add_u32 v20, v9, 2, 0
	ds_read_b32 v21, v20
                                        ; implicit-def: $sgpr46_sgpr47
	s_waitcnt lgkmcnt(0)
	v_cmp_ne_u32_e32 vcc, v21, v7
	s_and_saveexec_b64 s[44:45], vcc
	s_xor_b64 s[44:45], exec, s[44:45]
	s_cbranch_execz .LBB28_24
; %bb.17:                               ;   in Loop: Header=BB28_16 Depth=3
	v_cmp_ne_u32_e32 vcc, s33, v21
                                        ; implicit-def: $sgpr46_sgpr47
	s_and_saveexec_b64 s[48:49], vcc
	s_xor_b64 s[48:49], exec, s[48:49]
; %bb.18:                               ;   in Loop: Header=BB28_16 Depth=3
	v_add_u32_e32 v9, 1, v9
	v_and_b32_e32 v9, 0xff, v9
	s_mov_b64 s[46:47], -1
                                        ; implicit-def: $vgpr20
; %bb.19:                               ;   in Loop: Header=BB28_16 Depth=3
	s_andn2_saveexec_b64 s[48:49], s[48:49]
	s_cbranch_execz .LBB28_23
; %bb.20:                               ;   in Loop: Header=BB28_16 Depth=3
	v_mov_b32_e32 v21, s33
	ds_cmpst_rtn_b32 v21, v20, v21, v7
	s_mov_b64 s[50:51], -1
	s_waitcnt lgkmcnt(0)
	v_cmp_eq_u32_e32 vcc, s33, v21
	s_and_saveexec_b64 s[52:53], vcc
	s_cbranch_execz .LBB28_22
; %bb.21:                               ;   in Loop: Header=BB28_16 Depth=3
	v_lshl_add_u32 v20, v9, 2, v20
	ds_add_f64 v20, v[12:13] offset:1024
	s_xor_b64 s[50:51], exec, -1
.LBB28_22:                              ;   in Loop: Header=BB28_16 Depth=3
	s_or_b64 exec, exec, s[52:53]
	s_andn2_b64 s[46:47], s[46:47], exec
	s_and_b64 s[50:51], s[50:51], exec
	s_or_b64 s[46:47], s[46:47], s[50:51]
.LBB28_23:                              ;   in Loop: Header=BB28_16 Depth=3
	s_or_b64 exec, exec, s[48:49]
	s_and_b64 s[46:47], s[46:47], exec
                                        ; implicit-def: $vgpr20
.LBB28_24:                              ;   in Loop: Header=BB28_16 Depth=3
	s_andn2_saveexec_b64 s[44:45], s[44:45]
	s_cbranch_execz .LBB28_15
; %bb.25:                               ;   in Loop: Header=BB28_16 Depth=3
	v_lshl_add_u32 v20, v9, 2, v20
	ds_add_f64 v20, v[12:13] offset:1024
	s_andn2_b64 s[46:47], s[46:47], exec
	s_branch .LBB28_15
.LBB28_26:
	s_or_b64 exec, exec, s[6:7]
.LBB28_27:
	s_andn2_b64 vcc, exec, s[2:3]
	s_cbranch_vccnz .LBB28_44
; %bb.28:
	s_waitcnt lgkmcnt(0)
	s_ashr_i32 s5, s4, 31
	s_lshl_b64 s[2:3], s[4:5], 2
	s_add_u32 s2, s8, s2
	s_addc_u32 s3, s9, s3
	s_load_dwordx2 s[2:3], s[2:3], 0x0
	s_waitcnt vmcnt(0)
	v_subrev_u32_e32 v4, s27, v0
	s_waitcnt lgkmcnt(0)
	s_sub_i32 s5, s3, s27
	v_add_u32_e32 v4, s2, v4
	v_cmp_gt_i32_e32 vcc, s5, v4
	s_and_saveexec_b64 s[2:3], vcc
	s_cbranch_execz .LBB28_43
; %bb.29:
	s_mov_b64 s[6:7], 0
	v_mov_b32_e32 v8, s11
	v_mov_b32_e32 v9, s13
	s_movk_i32 s11, 0x89
	s_branch .LBB28_31
.LBB28_30:                              ;   in Loop: Header=BB28_31 Depth=1
	s_or_b64 exec, exec, s[8:9]
	v_add_u32_e32 v4, 0x80, v4
	v_cmp_le_i32_e32 vcc, s5, v4
	s_or_b64 s[6:7], vcc, s[6:7]
	s_andn2_b64 exec, exec, s[6:7]
	s_cbranch_execz .LBB28_43
.LBB28_31:                              ; =>This Loop Header: Depth=1
                                        ;     Child Loop BB28_33 Depth 2
	v_ashrrev_i32_e32 v5, 31, v4
	v_lshlrev_b64 v[6:7], 2, v[4:5]
	v_add_co_u32_e32 v6, vcc, s10, v6
	v_addc_co_u32_e32 v7, vcc, v8, v7, vcc
	global_load_dword v10, v[6:7], off
	v_lshlrev_b64 v[6:7], 3, v[4:5]
	v_add_co_u32_e32 v6, vcc, s12, v6
	v_addc_co_u32_e32 v7, vcc, v9, v7, vcc
	global_load_dwordx2 v[6:7], v[6:7], off
	s_mov_b64 s[8:9], 0
	s_waitcnt vmcnt(1)
	v_subrev_u32_e32 v5, s27, v10
	v_mul_lo_u32 v10, v5, s11
	v_and_b32_e32 v10, 0xff, v10
	s_waitcnt vmcnt(0)
	v_mul_f64 v[6:7], v[2:3], v[6:7]
	s_branch .LBB28_33
.LBB28_32:                              ;   in Loop: Header=BB28_33 Depth=2
	s_or_b64 exec, exec, s[16:17]
	s_xor_b64 s[16:17], s[18:19], -1
	s_and_b64 s[16:17], exec, s[16:17]
	s_or_b64 s[8:9], s[16:17], s[8:9]
	s_andn2_b64 exec, exec, s[8:9]
	s_cbranch_execz .LBB28_30
.LBB28_33:                              ;   Parent Loop BB28_31 Depth=1
                                        ; =>  This Inner Loop Header: Depth=2
	v_lshl_add_u32 v11, v10, 2, 0
	ds_read_b32 v12, v11
                                        ; implicit-def: $sgpr18_sgpr19
	s_waitcnt lgkmcnt(0)
	v_cmp_ne_u32_e32 vcc, v12, v5
	s_and_saveexec_b64 s[16:17], vcc
	s_xor_b64 s[16:17], exec, s[16:17]
	s_cbranch_execz .LBB28_41
; %bb.34:                               ;   in Loop: Header=BB28_33 Depth=2
	v_cmp_ne_u32_e32 vcc, s33, v12
                                        ; implicit-def: $sgpr18_sgpr19
	s_and_saveexec_b64 s[20:21], vcc
	s_xor_b64 s[20:21], exec, s[20:21]
; %bb.35:                               ;   in Loop: Header=BB28_33 Depth=2
	v_add_u32_e32 v10, 1, v10
	v_and_b32_e32 v10, 0xff, v10
	s_mov_b64 s[18:19], -1
                                        ; implicit-def: $vgpr11
; %bb.36:                               ;   in Loop: Header=BB28_33 Depth=2
	s_andn2_saveexec_b64 s[20:21], s[20:21]
	s_cbranch_execz .LBB28_40
; %bb.37:                               ;   in Loop: Header=BB28_33 Depth=2
	v_mov_b32_e32 v12, s33
	ds_cmpst_rtn_b32 v12, v11, v12, v5
	s_mov_b64 s[22:23], -1
	s_waitcnt lgkmcnt(0)
	v_cmp_eq_u32_e32 vcc, s33, v12
	s_and_saveexec_b64 s[24:25], vcc
	s_cbranch_execz .LBB28_39
; %bb.38:                               ;   in Loop: Header=BB28_33 Depth=2
	v_lshl_add_u32 v11, v10, 2, v11
	ds_add_f64 v11, v[6:7] offset:1024
	s_xor_b64 s[22:23], exec, -1
.LBB28_39:                              ;   in Loop: Header=BB28_33 Depth=2
	s_or_b64 exec, exec, s[24:25]
	s_andn2_b64 s[18:19], s[18:19], exec
	s_and_b64 s[22:23], s[22:23], exec
	s_or_b64 s[18:19], s[18:19], s[22:23]
.LBB28_40:                              ;   in Loop: Header=BB28_33 Depth=2
	s_or_b64 exec, exec, s[20:21]
	s_and_b64 s[18:19], s[18:19], exec
                                        ; implicit-def: $vgpr11
.LBB28_41:                              ;   in Loop: Header=BB28_33 Depth=2
	s_andn2_saveexec_b64 s[16:17], s[16:17]
	s_cbranch_execz .LBB28_32
; %bb.42:                               ;   in Loop: Header=BB28_33 Depth=2
	v_lshl_add_u32 v11, v10, 2, v11
	ds_add_f64 v11, v[6:7] offset:1024
	s_andn2_b64 s[18:19], s[18:19], exec
	s_branch .LBB28_32
.LBB28_43:
	s_or_b64 exec, exec, s[2:3]
.LBB28_44:
	s_waitcnt lgkmcnt(0)
	s_barrier
	s_and_saveexec_b64 s[6:7], s[0:1]
	s_cbranch_execz .LBB28_53
; %bb.45:
	s_waitcnt vmcnt(0)
	v_mbcnt_lo_u32_b32 v2, -1, 0
	v_mbcnt_hi_u32_b32 v2, -1, v2
	v_sub_u32_e32 v2, 63, v2
	v_and_b32_e32 v4, 4, v15
	s_movk_i32 s2, 0x7f
	v_mov_b32_e32 v6, 0
	v_lshrrev_b64 v[2:3], v2, -1
	v_add_u32_e32 v7, 0, v4
	v_cmp_lt_u32_e64 s[0:1], 63, v0
	v_cmp_eq_u32_e64 s[2:3], s2, v0
	v_add_u32_e32 v8, 0x400, v14
	v_or_b32_e32 v9, 0xffffff80, v0
	s_mov_b64 s[8:9], 0
	v_mov_b32_e32 v10, 0
	s_branch .LBB28_47
.LBB28_46:                              ;   in Loop: Header=BB28_47 Depth=1
	s_or_b64 exec, exec, s[10:11]
	s_waitcnt lgkmcnt(0)
	s_barrier
	ds_read_b32 v4, v6 offset:3076
	v_add_co_u32_e32 v9, vcc, 0x80, v9
	s_xor_b64 s[10:11], vcc, -1
	s_and_b64 s[10:11], exec, s[10:11]
	v_add_u32_e32 v8, 0x400, v8
	s_waitcnt lgkmcnt(0)
	v_add_u32_e32 v10, v4, v10
	s_or_b64 s[8:9], s[10:11], s[8:9]
	v_add_u32_e32 v1, 0x200, v1
	s_andn2_b64 exec, exec, s[8:9]
	s_cbranch_execz .LBB28_53
.LBB28_47:                              ; =>This Inner Loop Header: Depth=1
	ds_read_b32 v11, v1
	ds_read_b64 v[4:5], v8
	s_waitcnt lgkmcnt(0)
	s_barrier
	v_cmp_gt_i32_e32 vcc, s33, v11
	v_and_b32_e32 v13, vcc_lo, v2
	s_bcnt1_i32_b64 s5, vcc
	v_and_b32_e32 v12, vcc_hi, v3
	v_bcnt_u32_b32 v13, v13, 0
	v_bcnt_u32_b32 v12, v12, v13
	v_mov_b32_e32 v13, s5
	ds_write_b32 v7, v13 offset:3072
	s_waitcnt lgkmcnt(0)
	s_barrier
	s_and_saveexec_b64 s[10:11], s[0:1]
	s_cbranch_execnz .LBB28_50
; %bb.48:                               ;   in Loop: Header=BB28_47 Depth=1
	s_or_b64 exec, exec, s[10:11]
	s_and_saveexec_b64 s[10:11], vcc
	s_cbranch_execnz .LBB28_51
.LBB28_49:                              ;   in Loop: Header=BB28_47 Depth=1
	s_or_b64 exec, exec, s[10:11]
	s_and_saveexec_b64 s[10:11], s[2:3]
	s_cbranch_execz .LBB28_46
	s_branch .LBB28_52
.LBB28_50:                              ;   in Loop: Header=BB28_47 Depth=1
	ds_read_b32 v13, v6 offset:3072
	s_waitcnt lgkmcnt(0)
	v_add_u32_e32 v12, v13, v12
	s_or_b64 exec, exec, s[10:11]
	s_and_saveexec_b64 s[10:11], vcc
	s_cbranch_execz .LBB28_49
.LBB28_51:                              ;   in Loop: Header=BB28_47 Depth=1
	v_add3_u32 v13, v10, -1, v12
	v_lshl_add_u32 v14, v13, 2, 0
	v_lshl_add_u32 v13, v13, 3, 0
	ds_write_b32 v14, v11
	ds_write_b64 v13, v[4:5] offset:1024
	s_or_b64 exec, exec, s[10:11]
	s_and_saveexec_b64 s[10:11], s[2:3]
	s_cbranch_execz .LBB28_46
.LBB28_52:                              ;   in Loop: Header=BB28_47 Depth=1
	ds_write_b32 v6, v12 offset:3076
	s_branch .LBB28_46
.LBB28_53:
	s_or_b64 exec, exec, s[6:7]
	s_ashr_i32 s5, s4, 31
	s_lshl_b64 s[0:1], s[4:5], 2
	s_add_u32 s0, s14, s0
	s_addc_u32 s1, s15, s1
	s_load_dwordx2 s[0:1], s[0:1], 0x0
	s_waitcnt lgkmcnt(0)
	s_sub_i32 s14, s1, s0
	v_cmp_gt_i32_e32 vcc, s14, v0
	s_and_saveexec_b64 s[2:3], vcc
	s_cbranch_execz .LBB28_68
; %bb.54:
	s_sub_i32 s6, s0, s26
	s_add_i32 s0, s14, -2
	s_lshr_b32 s1, s0, 1
	s_add_i32 s2, s1, 1
	s_cmp_gt_u32 s14, 1
	s_cselect_b64 s[8:9], -1, 0
	s_and_b32 s15, s14, -2
	s_and_b32 s4, s2, 7
	s_cmp_gt_u32 s0, 13
	s_cselect_b64 s[0:1], -1, 0
	s_and_b32 s16, s2, -8
	s_cmp_lg_u32 s4, 0
	s_cselect_b64 s[2:3], -1, 0
	v_cndmask_b32_e64 v1, 0, 1, s[0:1]
	s_cmp_lg_u32 s14, s15
	v_cmp_ne_u32_e64 s[0:1], 1, v1
	v_cndmask_b32_e64 v1, 0, 1, s[2:3]
	s_mov_b32 s7, 0
	s_cselect_b64 s[10:11], -1, 0
	s_lshl_b32 s17, s4, 3
	s_mov_b64 s[12:13], 0
	v_cmp_ne_u32_e64 s[2:3], 1, v1
	v_mov_b32_e32 v1, s29
	v_mov_b32_e32 v6, s31
	s_waitcnt vmcnt(0)
	s_branch .LBB28_56
.LBB28_55:                              ;   in Loop: Header=BB28_56 Depth=1
	v_ashrrev_i32_e32 v5, 31, v4
	v_lshlrev_b64 v[8:9], 2, v[4:5]
	v_add_co_u32_e32 v8, vcc, s28, v8
	v_addc_co_u32_e32 v9, vcc, v1, v9, vcc
	v_lshlrev_b64 v[4:5], 3, v[4:5]
	v_add_co_u32_e32 v4, vcc, s30, v4
	v_addc_co_u32_e32 v5, vcc, v6, v5, vcc
	v_add_u32_e32 v0, 0x80, v0
	v_cmp_le_i32_e32 vcc, s14, v0
	s_waitcnt lgkmcnt(1)
	v_add_u32_e32 v7, s26, v7
	s_or_b64 s[12:13], vcc, s[12:13]
	global_store_dword v[8:9], v7, off
	s_waitcnt lgkmcnt(0)
	global_store_dwordx2 v[4:5], v[2:3], off
	s_andn2_b64 exec, exec, s[12:13]
	s_cbranch_execz .LBB28_68
.LBB28_56:                              ; =>This Loop Header: Depth=1
                                        ;     Child Loop BB28_59 Depth 2
                                        ;     Child Loop BB28_64 Depth 2
	;; [unrolled: 1-line block ×3, first 2 shown]
	v_lshlrev_b32_e32 v2, 2, v0
	v_add_u32_e32 v3, 0, v2
	v_add_u32_e32 v2, v3, v2
	ds_read_b32 v7, v3
	ds_read_b64 v[2:3], v2 offset:1024
	s_and_b64 vcc, exec, s[8:9]
	s_cbranch_vccz .LBB28_61
; %bb.57:                               ;   in Loop: Header=BB28_56 Depth=1
	s_and_b64 vcc, exec, s[0:1]
	s_cbranch_vccnz .LBB28_62
; %bb.58:                               ;   in Loop: Header=BB28_56 Depth=1
	s_mov_b32 s19, 0
	v_mov_b32_e32 v4, s6
	v_mov_b32_e32 v5, 0
	s_mov_b32 s20, s16
	s_mov_b32 s18, 0
.LBB28_59:                              ;   Parent Loop BB28_56 Depth=1
                                        ; =>  This Inner Loop Header: Depth=2
	v_mov_b32_e32 v22, s19
	ds_read2_b32 v[8:9], v22 offset1:1
	ds_read2_b32 v[10:11], v22 offset0:2 offset1:3
	ds_read2_b32 v[12:13], v22 offset0:4 offset1:5
	ds_read2_b32 v[14:15], v22 offset0:6 offset1:7
	ds_read2_b32 v[16:17], v22 offset0:8 offset1:9
	ds_read2_b32 v[18:19], v22 offset0:10 offset1:11
	ds_read2_b32 v[20:21], v22 offset0:12 offset1:13
	ds_read2_b32 v[22:23], v22 offset0:14 offset1:15
	s_waitcnt lgkmcnt(7)
	v_cmp_gt_i32_e32 vcc, v7, v9
	v_cndmask_b32_e64 v9, 0, 1, vcc
	v_cmp_gt_i32_e32 vcc, v7, v8
	s_waitcnt lgkmcnt(5)
	v_cmp_gt_i32_e64 s[4:5], v7, v12
	v_cndmask_b32_e64 v8, 0, 1, vcc
	v_cmp_gt_i32_e32 vcc, v7, v11
	v_cndmask_b32_e64 v11, 0, 1, s[4:5]
	v_cmp_gt_i32_e64 s[4:5], v7, v13
	v_cndmask_b32_e64 v12, 0, 1, s[4:5]
	s_waitcnt lgkmcnt(3)
	v_cmp_gt_i32_e64 s[4:5], v7, v17
	v_cndmask_b32_e64 v13, 0, 1, s[4:5]
	v_cmp_gt_i32_e64 s[4:5], v7, v16
	v_cndmask_b32_e64 v16, 0, 1, s[4:5]
	s_waitcnt lgkmcnt(1)
	v_cmp_gt_i32_e64 s[4:5], v7, v20
	v_cndmask_b32_e64 v17, 0, 1, s[4:5]
	v_cmp_gt_i32_e64 s[4:5], v7, v21
	v_cndmask_b32_e64 v20, 0, 1, s[4:5]
	v_cmp_gt_i32_e64 s[4:5], v7, v10
	v_addc_co_u32_e64 v4, s[4:5], v4, v8, s[4:5]
	v_addc_co_u32_e32 v5, vcc, v5, v9, vcc
	v_cmp_gt_i32_e32 vcc, v7, v14
	v_cmp_gt_i32_e64 s[4:5], v7, v15
	v_addc_co_u32_e64 v5, s[4:5], v5, v12, s[4:5]
	v_addc_co_u32_e32 v4, vcc, v4, v11, vcc
	v_cmp_gt_i32_e32 vcc, v7, v19
	v_cmp_gt_i32_e64 s[4:5], v7, v18
	v_addc_co_u32_e64 v4, s[4:5], v4, v16, s[4:5]
	v_addc_co_u32_e32 v5, vcc, v5, v13, vcc
	s_add_i32 s18, s18, 16
	s_add_i32 s19, s19, 64
	s_add_i32 s20, s20, -8
	s_waitcnt lgkmcnt(0)
	v_cmp_gt_i32_e32 vcc, v7, v22
	v_cmp_gt_i32_e64 s[4:5], v7, v23
	s_cmp_lg_u32 s20, 0
	v_addc_co_u32_e64 v5, s[4:5], v5, v20, s[4:5]
	v_addc_co_u32_e32 v4, vcc, v4, v17, vcc
	s_cbranch_scc1 .LBB28_59
; %bb.60:                               ;   in Loop: Header=BB28_56 Depth=1
	s_and_b64 vcc, exec, s[2:3]
	s_cbranch_vccz .LBB28_63
	s_branch .LBB28_65
.LBB28_61:                              ;   in Loop: Header=BB28_56 Depth=1
	v_mov_b32_e32 v4, s6
	s_mov_b32 s18, 0
	s_cbranch_execz .LBB28_55
	s_branch .LBB28_66
.LBB28_62:                              ;   in Loop: Header=BB28_56 Depth=1
	v_pk_mov_b32 v[4:5], s[6:7], s[6:7] op_sel:[0,1]
	s_mov_b32 s18, 0
	s_and_b64 vcc, exec, s[2:3]
	s_cbranch_vccnz .LBB28_65
.LBB28_63:                              ;   in Loop: Header=BB28_56 Depth=1
	s_lshl_b32 s4, s18, 2
	s_add_i32 s4, s4, 0
	s_mov_b32 s5, s17
.LBB28_64:                              ;   Parent Loop BB28_56 Depth=1
                                        ; =>  This Inner Loop Header: Depth=2
	v_mov_b32_e32 v8, s4
	ds_read2_b32 v[8:9], v8 offset1:1
	s_add_i32 s4, s4, 8
	s_add_i32 s5, s5, -8
	s_cmp_lg_u32 s5, 0
	s_waitcnt lgkmcnt(0)
	v_cmp_gt_i32_e32 vcc, v7, v9
	v_addc_co_u32_e32 v5, vcc, 0, v5, vcc
	v_cmp_gt_i32_e32 vcc, v7, v8
	v_addc_co_u32_e32 v4, vcc, 0, v4, vcc
	s_cbranch_scc1 .LBB28_64
.LBB28_65:                              ;   in Loop: Header=BB28_56 Depth=1
	v_add_u32_e32 v4, v4, v5
	s_mov_b32 s18, s15
	s_mov_b64 s[4:5], s[10:11]
	s_and_b64 vcc, exec, s[4:5]
	s_cbranch_vccz .LBB28_55
.LBB28_66:                              ;   in Loop: Header=BB28_56 Depth=1
	s_lshl_b32 s4, s18, 2
	s_add_i32 s4, s4, 0
.LBB28_67:                              ;   Parent Loop BB28_56 Depth=1
                                        ; =>  This Inner Loop Header: Depth=2
	v_mov_b32_e32 v5, s4
	ds_read_b32 v5, v5
	s_add_i32 s18, s18, 1
	s_add_i32 s4, s4, 4
	s_cmp_ge_i32 s18, s14
	s_waitcnt lgkmcnt(0)
	v_cmp_gt_i32_e32 vcc, v7, v5
	v_addc_co_u32_e32 v4, vcc, 0, v4, vcc
	s_cbranch_scc0 .LBB28_67
	s_branch .LBB28_55
.LBB28_68:
	s_endpgm
	.section	.rodata,"a",@progbits
	.p2align	6, 0x0
	.amdhsa_kernel _ZN9rocsparseL26csrgemm_fill_block_per_rowILj128ELj16ELj256ELj137ELj64EiidEEvT5_PKS1_S3_NS_24const_host_device_scalarIT6_EEPKT4_S3_PKS5_S9_S3_SB_S6_S9_S3_SB_S9_PS1_PS5_21rocsparse_index_base_SE_SE_SE_bbb
		.amdhsa_group_segment_fixed_size 0
		.amdhsa_private_segment_fixed_size 0
		.amdhsa_kernarg_size 156
		.amdhsa_user_sgpr_count 6
		.amdhsa_user_sgpr_private_segment_buffer 1
		.amdhsa_user_sgpr_dispatch_ptr 0
		.amdhsa_user_sgpr_queue_ptr 0
		.amdhsa_user_sgpr_kernarg_segment_ptr 1
		.amdhsa_user_sgpr_dispatch_id 0
		.amdhsa_user_sgpr_flat_scratch_init 0
		.amdhsa_user_sgpr_kernarg_preload_length 0
		.amdhsa_user_sgpr_kernarg_preload_offset 0
		.amdhsa_user_sgpr_private_segment_size 0
		.amdhsa_uses_dynamic_stack 0
		.amdhsa_system_sgpr_private_segment_wavefront_offset 0
		.amdhsa_system_sgpr_workgroup_id_x 1
		.amdhsa_system_sgpr_workgroup_id_y 0
		.amdhsa_system_sgpr_workgroup_id_z 0
		.amdhsa_system_sgpr_workgroup_info 0
		.amdhsa_system_vgpr_workitem_id 0
		.amdhsa_next_free_vgpr 24
		.amdhsa_next_free_sgpr 54
		.amdhsa_accum_offset 24
		.amdhsa_reserve_vcc 1
		.amdhsa_reserve_flat_scratch 0
		.amdhsa_float_round_mode_32 0
		.amdhsa_float_round_mode_16_64 0
		.amdhsa_float_denorm_mode_32 3
		.amdhsa_float_denorm_mode_16_64 3
		.amdhsa_dx10_clamp 1
		.amdhsa_ieee_mode 1
		.amdhsa_fp16_overflow 0
		.amdhsa_tg_split 0
		.amdhsa_exception_fp_ieee_invalid_op 0
		.amdhsa_exception_fp_denorm_src 0
		.amdhsa_exception_fp_ieee_div_zero 0
		.amdhsa_exception_fp_ieee_overflow 0
		.amdhsa_exception_fp_ieee_underflow 0
		.amdhsa_exception_fp_ieee_inexact 0
		.amdhsa_exception_int_div_zero 0
	.end_amdhsa_kernel
	.section	.text._ZN9rocsparseL26csrgemm_fill_block_per_rowILj128ELj16ELj256ELj137ELj64EiidEEvT5_PKS1_S3_NS_24const_host_device_scalarIT6_EEPKT4_S3_PKS5_S9_S3_SB_S6_S9_S3_SB_S9_PS1_PS5_21rocsparse_index_base_SE_SE_SE_bbb,"axG",@progbits,_ZN9rocsparseL26csrgemm_fill_block_per_rowILj128ELj16ELj256ELj137ELj64EiidEEvT5_PKS1_S3_NS_24const_host_device_scalarIT6_EEPKT4_S3_PKS5_S9_S3_SB_S6_S9_S3_SB_S9_PS1_PS5_21rocsparse_index_base_SE_SE_SE_bbb,comdat
.Lfunc_end28:
	.size	_ZN9rocsparseL26csrgemm_fill_block_per_rowILj128ELj16ELj256ELj137ELj64EiidEEvT5_PKS1_S3_NS_24const_host_device_scalarIT6_EEPKT4_S3_PKS5_S9_S3_SB_S6_S9_S3_SB_S9_PS1_PS5_21rocsparse_index_base_SE_SE_SE_bbb, .Lfunc_end28-_ZN9rocsparseL26csrgemm_fill_block_per_rowILj128ELj16ELj256ELj137ELj64EiidEEvT5_PKS1_S3_NS_24const_host_device_scalarIT6_EEPKT4_S3_PKS5_S9_S3_SB_S6_S9_S3_SB_S9_PS1_PS5_21rocsparse_index_base_SE_SE_SE_bbb
                                        ; -- End function
	.section	.AMDGPU.csdata,"",@progbits
; Kernel info:
; codeLenInByte = 2632
; NumSgprs: 58
; NumVgprs: 24
; NumAgprs: 0
; TotalNumVgprs: 24
; ScratchSize: 0
; MemoryBound: 0
; FloatMode: 240
; IeeeMode: 1
; LDSByteSize: 0 bytes/workgroup (compile time only)
; SGPRBlocks: 7
; VGPRBlocks: 2
; NumSGPRsForWavesPerEU: 58
; NumVGPRsForWavesPerEU: 24
; AccumOffset: 24
; Occupancy: 8
; WaveLimiterHint : 1
; COMPUTE_PGM_RSRC2:SCRATCH_EN: 0
; COMPUTE_PGM_RSRC2:USER_SGPR: 6
; COMPUTE_PGM_RSRC2:TRAP_HANDLER: 0
; COMPUTE_PGM_RSRC2:TGID_X_EN: 1
; COMPUTE_PGM_RSRC2:TGID_Y_EN: 0
; COMPUTE_PGM_RSRC2:TGID_Z_EN: 0
; COMPUTE_PGM_RSRC2:TIDIG_COMP_CNT: 0
; COMPUTE_PGM_RSRC3_GFX90A:ACCUM_OFFSET: 5
; COMPUTE_PGM_RSRC3_GFX90A:TG_SPLIT: 0
	.section	.text._ZN9rocsparseL26csrgemm_fill_block_per_rowILj256ELj32ELj512ELj137ELj32EiidEEvT5_PKS1_S3_NS_24const_host_device_scalarIT6_EEPKT4_S3_PKS5_S9_S3_SB_S6_S9_S3_SB_S9_PS1_PS5_21rocsparse_index_base_SE_SE_SE_bbb,"axG",@progbits,_ZN9rocsparseL26csrgemm_fill_block_per_rowILj256ELj32ELj512ELj137ELj32EiidEEvT5_PKS1_S3_NS_24const_host_device_scalarIT6_EEPKT4_S3_PKS5_S9_S3_SB_S6_S9_S3_SB_S9_PS1_PS5_21rocsparse_index_base_SE_SE_SE_bbb,comdat
	.globl	_ZN9rocsparseL26csrgemm_fill_block_per_rowILj256ELj32ELj512ELj137ELj32EiidEEvT5_PKS1_S3_NS_24const_host_device_scalarIT6_EEPKT4_S3_PKS5_S9_S3_SB_S6_S9_S3_SB_S9_PS1_PS5_21rocsparse_index_base_SE_SE_SE_bbb ; -- Begin function _ZN9rocsparseL26csrgemm_fill_block_per_rowILj256ELj32ELj512ELj137ELj32EiidEEvT5_PKS1_S3_NS_24const_host_device_scalarIT6_EEPKT4_S3_PKS5_S9_S3_SB_S6_S9_S3_SB_S9_PS1_PS5_21rocsparse_index_base_SE_SE_SE_bbb
	.p2align	8
	.type	_ZN9rocsparseL26csrgemm_fill_block_per_rowILj256ELj32ELj512ELj137ELj32EiidEEvT5_PKS1_S3_NS_24const_host_device_scalarIT6_EEPKT4_S3_PKS5_S9_S3_SB_S6_S9_S3_SB_S9_PS1_PS5_21rocsparse_index_base_SE_SE_SE_bbb,@function
_ZN9rocsparseL26csrgemm_fill_block_per_rowILj256ELj32ELj512ELj137ELj32EiidEEvT5_PKS1_S3_NS_24const_host_device_scalarIT6_EEPKT4_S3_PKS5_S9_S3_SB_S6_S9_S3_SB_S9_PS1_PS5_21rocsparse_index_base_SE_SE_SE_bbb: ; @_ZN9rocsparseL26csrgemm_fill_block_per_rowILj256ELj32ELj512ELj137ELj32EiidEEvT5_PKS1_S3_NS_24const_host_device_scalarIT6_EEPKT4_S3_PKS5_S9_S3_SB_S6_S9_S3_SB_S9_PS1_PS5_21rocsparse_index_base_SE_SE_SE_bbb
; %bb.0:
	s_load_dword s7, s[4:5], 0x98
	s_load_dwordx2 s[2:3], s[4:5], 0x18
	s_load_dwordx2 s[0:1], s[4:5], 0x50
	s_waitcnt lgkmcnt(0)
	s_and_b32 s10, 1, s7
	s_bitcmp1_b32 s7, 16
	s_cselect_b64 s[8:9], -1, 0
	s_cmp_eq_u32 s10, 1
	s_cselect_b64 s[44:45], -1, 0
	s_and_b64 s[10:11], s[44:45], exec
	s_cselect_b32 s11, s3, 0
	s_cselect_b32 s10, s2, 0
	s_xor_b64 s[12:13], s[44:45], -1
	s_or_b64 s[12:13], s[12:13], s[8:9]
	s_and_b64 vcc, exec, s[12:13]
	v_pk_mov_b32 v[4:5], s[10:11], s[10:11] op_sel:[0,1]
	s_cbranch_vccnz .LBB29_2
; %bb.1:
	v_pk_mov_b32 v[2:3], s[2:3], s[2:3] op_sel:[0,1]
	flat_load_dwordx2 v[4:5], v[2:3]
.LBB29_2:
	s_bitcmp1_b32 s7, 8
	s_load_dwordx4 s[28:31], s[4:5], 0x88
	s_cselect_b64 s[2:3], -1, 0
	s_and_b64 s[10:11], s[2:3], exec
	s_cselect_b32 s11, s1, 0
	s_cselect_b32 s10, s0, 0
	s_xor_b64 s[12:13], s[2:3], -1
	s_or_b64 s[8:9], s[12:13], s[8:9]
	s_and_b64 vcc, exec, s[8:9]
	v_pk_mov_b32 v[2:3], s[10:11], s[10:11] op_sel:[0,1]
	s_cbranch_vccnz .LBB29_4
; %bb.3:
	v_pk_mov_b32 v[2:3], s[0:1], s[0:1] op_sel:[0,1]
	flat_load_dwordx2 v[2:3], v[2:3]
.LBB29_4:
	s_load_dwordx4 s[36:39], s[4:5], 0x78
	s_load_dwordx8 s[12:19], s[4:5], 0x58
	s_load_dwordx4 s[8:11], s[4:5], 0x40
	s_load_dwordx8 s[20:27], s[4:5], 0x20
	s_load_dwordx4 s[40:43], s[4:5], 0x8
	s_load_dword s33, s[4:5], 0x0
	s_movk_i32 s0, 0x200
	v_cmp_gt_u32_e64 s[0:1], s0, v0
	v_lshl_add_u32 v14, v0, 3, 0
	v_lshl_add_u32 v1, v0, 2, 0
	s_and_saveexec_b64 s[4:5], s[0:1]
	s_cbranch_execz .LBB29_7
; %bb.5:
	v_mov_b32_e32 v6, 0
	v_add_u32_e32 v8, 0x800, v14
	v_or_b32_e32 v9, 0xffffff00, v0
	v_lshl_add_u32 v10, v0, 2, 0
	s_mov_b64 s[34:35], 0
	s_waitcnt lgkmcnt(0)
	v_mov_b32_e32 v11, s33
	v_mov_b32_e32 v7, v6
.LBB29_6:                               ; =>This Inner Loop Header: Depth=1
	v_add_co_u32_e32 v9, vcc, 0x100, v9
	s_xor_b64 s[46:47], vcc, -1
	s_and_b64 s[46:47], exec, s[46:47]
	ds_write_b32 v10, v11
	ds_write_b64 v8, v[6:7]
	v_add_u32_e32 v8, 0x800, v8
	s_or_b64 s[34:35], s[46:47], s[34:35]
	v_add_u32_e32 v10, 0x400, v10
	s_andn2_b64 exec, exec, s[34:35]
	s_cbranch_execnz .LBB29_6
.LBB29_7:
	s_or_b64 exec, exec, s[4:5]
	s_waitcnt lgkmcnt(0)
	s_barrier
	s_load_dword s4, s[40:41], 0x0
	s_mov_b32 s5, 0
	v_lshrrev_b32_e32 v15, 5, v0
	s_waitcnt lgkmcnt(0)
	s_add_i32 s4, s4, s6
	s_lshl_b64 s[4:5], s[4:5], 2
	s_add_u32 s4, s42, s4
	s_addc_u32 s5, s43, s5
	s_load_dword s34, s[4:5], 0x0
	s_and_b64 vcc, exec, s[44:45]
	s_cbranch_vccz .LBB29_27
; %bb.8:
	s_waitcnt lgkmcnt(0)
	s_ashr_i32 s35, s34, 31
	s_lshl_b64 s[4:5], s[34:35], 2
	s_add_u32 s4, s20, s4
	s_addc_u32 s5, s21, s5
	s_load_dwordx2 s[4:5], s[4:5], 0x0
	v_subrev_u32_e32 v6, s28, v15
	s_waitcnt lgkmcnt(0)
	s_sub_i32 s35, s5, s28
	v_add_u32_e32 v6, s4, v6
	v_cmp_gt_i32_e32 vcc, s35, v6
	s_and_saveexec_b64 s[4:5], vcc
	s_cbranch_execz .LBB29_26
; %bb.9:
	v_and_b32_e32 v7, 31, v0
	v_subrev_u32_e32 v16, s29, v7
	s_mov_b64 s[6:7], 0
	v_mov_b32_e32 v17, s23
	v_mov_b32_e32 v18, s27
	s_movk_i32 s23, 0x89
	s_branch .LBB29_11
.LBB29_10:                              ;   in Loop: Header=BB29_11 Depth=1
	s_or_b64 exec, exec, s[20:21]
	v_add_u32_e32 v6, 8, v6
	v_cmp_le_i32_e32 vcc, s35, v6
	s_or_b64 s[6:7], vcc, s[6:7]
	s_andn2_b64 exec, exec, s[6:7]
	s_cbranch_execz .LBB29_26
.LBB29_11:                              ; =>This Loop Header: Depth=1
                                        ;     Child Loop BB29_14 Depth 2
                                        ;       Child Loop BB29_16 Depth 3
	v_ashrrev_i32_e32 v7, 31, v6
	v_lshlrev_b64 v[8:9], 2, v[6:7]
	v_add_co_u32_e32 v8, vcc, s22, v8
	v_addc_co_u32_e32 v9, vcc, v17, v9, vcc
	global_load_dword v8, v[8:9], off
	s_waitcnt vmcnt(0)
	v_subrev_u32_e32 v8, s28, v8
	v_ashrrev_i32_e32 v9, 31, v8
	v_lshlrev_b64 v[8:9], 2, v[8:9]
	v_add_co_u32_e32 v8, vcc, s26, v8
	v_addc_co_u32_e32 v9, vcc, v18, v9, vcc
	global_load_dwordx2 v[8:9], v[8:9], off
	s_waitcnt vmcnt(0)
	v_subrev_u32_e32 v19, s29, v9
	v_add_u32_e32 v8, v8, v16
	v_cmp_lt_i32_e32 vcc, v8, v19
	s_and_saveexec_b64 s[20:21], vcc
	s_cbranch_execz .LBB29_10
; %bb.12:                               ;   in Loop: Header=BB29_11 Depth=1
	v_lshlrev_b64 v[10:11], 3, v[6:7]
	v_mov_b32_e32 v7, s25
	v_add_co_u32_e32 v10, vcc, s24, v10
	v_addc_co_u32_e32 v11, vcc, v7, v11, vcc
	global_load_dwordx2 v[10:11], v[10:11], off
	s_mov_b64 s[40:41], 0
	s_waitcnt vmcnt(0)
	v_mul_f64 v[10:11], v[4:5], v[10:11]
	s_branch .LBB29_14
.LBB29_13:                              ;   in Loop: Header=BB29_14 Depth=2
	s_or_b64 exec, exec, s[42:43]
	v_add_u32_e32 v8, 32, v8
	v_cmp_ge_i32_e32 vcc, v8, v19
	s_or_b64 s[40:41], vcc, s[40:41]
	s_andn2_b64 exec, exec, s[40:41]
	s_cbranch_execz .LBB29_10
.LBB29_14:                              ;   Parent Loop BB29_11 Depth=1
                                        ; =>  This Loop Header: Depth=2
                                        ;       Child Loop BB29_16 Depth 3
	v_ashrrev_i32_e32 v9, 31, v8
	v_lshlrev_b64 v[12:13], 2, v[8:9]
	v_mov_b32_e32 v7, s9
	v_add_co_u32_e32 v12, vcc, s8, v12
	v_addc_co_u32_e32 v13, vcc, v7, v13, vcc
	global_load_dword v7, v[12:13], off
	v_lshlrev_b64 v[12:13], 3, v[8:9]
	v_mov_b32_e32 v9, s11
	v_add_co_u32_e32 v12, vcc, s10, v12
	v_addc_co_u32_e32 v13, vcc, v9, v13, vcc
	global_load_dwordx2 v[12:13], v[12:13], off
	s_mov_b64 s[42:43], 0
	s_waitcnt vmcnt(1)
	v_subrev_u32_e32 v7, s29, v7
	v_mul_lo_u32 v9, v7, s23
	v_and_b32_e32 v9, 0x1ff, v9
	s_waitcnt vmcnt(0)
	v_mul_f64 v[12:13], v[10:11], v[12:13]
	s_branch .LBB29_16
.LBB29_15:                              ;   in Loop: Header=BB29_16 Depth=3
	s_or_b64 exec, exec, s[44:45]
	s_xor_b64 s[44:45], s[46:47], -1
	s_and_b64 s[44:45], exec, s[44:45]
	s_or_b64 s[42:43], s[44:45], s[42:43]
	s_andn2_b64 exec, exec, s[42:43]
	s_cbranch_execz .LBB29_13
.LBB29_16:                              ;   Parent Loop BB29_11 Depth=1
                                        ;     Parent Loop BB29_14 Depth=2
                                        ; =>    This Inner Loop Header: Depth=3
	v_lshl_add_u32 v20, v9, 2, 0
	ds_read_b32 v21, v20
                                        ; implicit-def: $sgpr46_sgpr47
	s_waitcnt lgkmcnt(0)
	v_cmp_ne_u32_e32 vcc, v21, v7
	s_and_saveexec_b64 s[44:45], vcc
	s_xor_b64 s[44:45], exec, s[44:45]
	s_cbranch_execz .LBB29_24
; %bb.17:                               ;   in Loop: Header=BB29_16 Depth=3
	v_cmp_ne_u32_e32 vcc, s33, v21
                                        ; implicit-def: $sgpr46_sgpr47
	s_and_saveexec_b64 s[48:49], vcc
	s_xor_b64 s[48:49], exec, s[48:49]
; %bb.18:                               ;   in Loop: Header=BB29_16 Depth=3
	v_add_u32_e32 v9, 1, v9
	v_and_b32_e32 v9, 0x1ff, v9
	s_mov_b64 s[46:47], -1
                                        ; implicit-def: $vgpr20
; %bb.19:                               ;   in Loop: Header=BB29_16 Depth=3
	s_andn2_saveexec_b64 s[48:49], s[48:49]
	s_cbranch_execz .LBB29_23
; %bb.20:                               ;   in Loop: Header=BB29_16 Depth=3
	v_mov_b32_e32 v21, s33
	ds_cmpst_rtn_b32 v21, v20, v21, v7
	s_mov_b64 s[50:51], -1
	s_waitcnt lgkmcnt(0)
	v_cmp_eq_u32_e32 vcc, s33, v21
	s_and_saveexec_b64 s[52:53], vcc
	s_cbranch_execz .LBB29_22
; %bb.21:                               ;   in Loop: Header=BB29_16 Depth=3
	v_lshl_add_u32 v20, v9, 2, v20
	ds_add_f64 v20, v[12:13] offset:2048
	s_xor_b64 s[50:51], exec, -1
.LBB29_22:                              ;   in Loop: Header=BB29_16 Depth=3
	s_or_b64 exec, exec, s[52:53]
	s_andn2_b64 s[46:47], s[46:47], exec
	s_and_b64 s[50:51], s[50:51], exec
	s_or_b64 s[46:47], s[46:47], s[50:51]
.LBB29_23:                              ;   in Loop: Header=BB29_16 Depth=3
	s_or_b64 exec, exec, s[48:49]
	s_and_b64 s[46:47], s[46:47], exec
                                        ; implicit-def: $vgpr20
.LBB29_24:                              ;   in Loop: Header=BB29_16 Depth=3
	s_andn2_saveexec_b64 s[44:45], s[44:45]
	s_cbranch_execz .LBB29_15
; %bb.25:                               ;   in Loop: Header=BB29_16 Depth=3
	v_lshl_add_u32 v20, v9, 2, v20
	ds_add_f64 v20, v[12:13] offset:2048
	s_andn2_b64 s[46:47], s[46:47], exec
	s_branch .LBB29_15
.LBB29_26:
	s_or_b64 exec, exec, s[4:5]
.LBB29_27:
	s_andn2_b64 vcc, exec, s[2:3]
	s_cbranch_vccnz .LBB29_44
; %bb.28:
	s_waitcnt lgkmcnt(0)
	s_ashr_i32 s35, s34, 31
	s_lshl_b64 s[2:3], s[34:35], 2
	s_add_u32 s2, s12, s2
	s_addc_u32 s3, s13, s3
	s_load_dwordx2 s[2:3], s[2:3], 0x0
	s_waitcnt vmcnt(0)
	v_subrev_u32_e32 v4, s31, v0
	s_waitcnt lgkmcnt(0)
	s_sub_i32 s24, s3, s31
	v_add_u32_e32 v4, s2, v4
	v_cmp_gt_i32_e32 vcc, s24, v4
	s_and_saveexec_b64 s[2:3], vcc
	s_cbranch_execz .LBB29_43
; %bb.29:
	s_mov_b64 s[4:5], 0
	v_mov_b32_e32 v8, s15
	v_mov_b32_e32 v9, s17
	s_movk_i32 s15, 0x89
	s_branch .LBB29_31
.LBB29_30:                              ;   in Loop: Header=BB29_31 Depth=1
	s_or_b64 exec, exec, s[6:7]
	v_add_u32_e32 v4, 0x100, v4
	v_cmp_le_i32_e32 vcc, s24, v4
	s_or_b64 s[4:5], vcc, s[4:5]
	s_andn2_b64 exec, exec, s[4:5]
	s_cbranch_execz .LBB29_43
.LBB29_31:                              ; =>This Loop Header: Depth=1
                                        ;     Child Loop BB29_33 Depth 2
	v_ashrrev_i32_e32 v5, 31, v4
	v_lshlrev_b64 v[6:7], 2, v[4:5]
	v_add_co_u32_e32 v6, vcc, s14, v6
	v_addc_co_u32_e32 v7, vcc, v8, v7, vcc
	global_load_dword v10, v[6:7], off
	v_lshlrev_b64 v[6:7], 3, v[4:5]
	v_add_co_u32_e32 v6, vcc, s16, v6
	v_addc_co_u32_e32 v7, vcc, v9, v7, vcc
	global_load_dwordx2 v[6:7], v[6:7], off
	s_mov_b64 s[6:7], 0
	s_waitcnt vmcnt(1)
	v_subrev_u32_e32 v5, s31, v10
	v_mul_lo_u32 v10, v5, s15
	v_and_b32_e32 v10, 0x1ff, v10
	s_waitcnt vmcnt(0)
	v_mul_f64 v[6:7], v[2:3], v[6:7]
	s_branch .LBB29_33
.LBB29_32:                              ;   in Loop: Header=BB29_33 Depth=2
	s_or_b64 exec, exec, s[8:9]
	s_xor_b64 s[8:9], s[10:11], -1
	s_and_b64 s[8:9], exec, s[8:9]
	s_or_b64 s[6:7], s[8:9], s[6:7]
	s_andn2_b64 exec, exec, s[6:7]
	s_cbranch_execz .LBB29_30
.LBB29_33:                              ;   Parent Loop BB29_31 Depth=1
                                        ; =>  This Inner Loop Header: Depth=2
	v_lshl_add_u32 v11, v10, 2, 0
	ds_read_b32 v12, v11
                                        ; implicit-def: $sgpr10_sgpr11
	s_waitcnt lgkmcnt(0)
	v_cmp_ne_u32_e32 vcc, v12, v5
	s_and_saveexec_b64 s[8:9], vcc
	s_xor_b64 s[8:9], exec, s[8:9]
	s_cbranch_execz .LBB29_41
; %bb.34:                               ;   in Loop: Header=BB29_33 Depth=2
	v_cmp_ne_u32_e32 vcc, s33, v12
                                        ; implicit-def: $sgpr10_sgpr11
	s_and_saveexec_b64 s[12:13], vcc
	s_xor_b64 s[12:13], exec, s[12:13]
; %bb.35:                               ;   in Loop: Header=BB29_33 Depth=2
	v_add_u32_e32 v10, 1, v10
	v_and_b32_e32 v10, 0x1ff, v10
	s_mov_b64 s[10:11], -1
                                        ; implicit-def: $vgpr11
; %bb.36:                               ;   in Loop: Header=BB29_33 Depth=2
	s_andn2_saveexec_b64 s[12:13], s[12:13]
	s_cbranch_execz .LBB29_40
; %bb.37:                               ;   in Loop: Header=BB29_33 Depth=2
	v_mov_b32_e32 v12, s33
	ds_cmpst_rtn_b32 v12, v11, v12, v5
	s_mov_b64 s[20:21], -1
	s_waitcnt lgkmcnt(0)
	v_cmp_eq_u32_e32 vcc, s33, v12
	s_and_saveexec_b64 s[22:23], vcc
	s_cbranch_execz .LBB29_39
; %bb.38:                               ;   in Loop: Header=BB29_33 Depth=2
	v_lshl_add_u32 v11, v10, 2, v11
	ds_add_f64 v11, v[6:7] offset:2048
	s_xor_b64 s[20:21], exec, -1
.LBB29_39:                              ;   in Loop: Header=BB29_33 Depth=2
	s_or_b64 exec, exec, s[22:23]
	s_andn2_b64 s[10:11], s[10:11], exec
	s_and_b64 s[20:21], s[20:21], exec
	s_or_b64 s[10:11], s[10:11], s[20:21]
.LBB29_40:                              ;   in Loop: Header=BB29_33 Depth=2
	s_or_b64 exec, exec, s[12:13]
	s_and_b64 s[10:11], s[10:11], exec
                                        ; implicit-def: $vgpr11
.LBB29_41:                              ;   in Loop: Header=BB29_33 Depth=2
	s_andn2_saveexec_b64 s[8:9], s[8:9]
	s_cbranch_execz .LBB29_32
; %bb.42:                               ;   in Loop: Header=BB29_33 Depth=2
	v_lshl_add_u32 v11, v10, 2, v11
	ds_add_f64 v11, v[6:7] offset:2048
	s_andn2_b64 s[10:11], s[10:11], exec
	s_branch .LBB29_32
.LBB29_43:
	s_or_b64 exec, exec, s[2:3]
.LBB29_44:
	s_waitcnt lgkmcnt(0)
	s_barrier
	s_and_saveexec_b64 s[16:17], s[0:1]
	s_cbranch_execz .LBB29_65
; %bb.45:
	s_waitcnt vmcnt(0)
	v_mbcnt_lo_u32_b32 v2, -1, 0
	v_mbcnt_hi_u32_b32 v2, -1, v2
	v_sub_u32_e32 v2, 63, v2
	s_movk_i32 s0, 0xff
	s_movk_i32 s6, 0x5f
	;; [unrolled: 1-line block ×6, first 2 shown]
	v_mov_b32_e32 v6, 0
	v_lshrrev_b64 v[2:3], v2, -1
	v_lshl_add_u32 v7, v15, 2, 0
	v_cmp_eq_u32_e64 s[0:1], s0, v0
	v_cmp_lt_u32_e64 s[2:3], 31, v0
	v_cmp_lt_u32_e64 s[4:5], 63, v0
	;; [unrolled: 1-line block ×7, first 2 shown]
	v_add_u32_e32 v8, 0x800, v14
	v_or_b32_e32 v9, 0xffffff00, v0
	s_mov_b64 s[20:21], 0
	v_mov_b32_e32 v10, 0
	s_branch .LBB29_47
.LBB29_46:                              ;   in Loop: Header=BB29_47 Depth=1
	s_or_b64 exec, exec, s[22:23]
	s_waitcnt lgkmcnt(0)
	s_barrier
	ds_read_b32 v4, v6 offset:6172
	v_add_co_u32_e32 v9, vcc, 0x100, v9
	s_xor_b64 s[22:23], vcc, -1
	s_and_b64 s[22:23], exec, s[22:23]
	v_add_u32_e32 v8, 0x800, v8
	s_waitcnt lgkmcnt(0)
	v_add_u32_e32 v10, v4, v10
	s_or_b64 s[20:21], s[22:23], s[20:21]
	v_add_u32_e32 v1, 0x400, v1
	s_andn2_b64 exec, exec, s[20:21]
	s_cbranch_execz .LBB29_65
.LBB29_47:                              ; =>This Inner Loop Header: Depth=1
	ds_read_b32 v11, v1
	ds_read_b64 v[4:5], v8
	s_waitcnt lgkmcnt(0)
	s_barrier
	v_cmp_gt_i32_e32 vcc, s33, v11
	v_and_b32_e32 v13, vcc_lo, v2
	s_bcnt1_i32_b64 s22, vcc
	v_and_b32_e32 v12, vcc_hi, v3
	v_bcnt_u32_b32 v13, v13, 0
	v_bcnt_u32_b32 v12, v12, v13
	v_mov_b32_e32 v13, s22
	ds_write_b32 v7, v13 offset:6144
	s_waitcnt lgkmcnt(0)
	s_barrier
	s_and_saveexec_b64 s[22:23], s[2:3]
	s_cbranch_execnz .LBB29_56
; %bb.48:                               ;   in Loop: Header=BB29_47 Depth=1
	s_or_b64 exec, exec, s[22:23]
	s_and_saveexec_b64 s[22:23], s[4:5]
	s_cbranch_execnz .LBB29_57
.LBB29_49:                              ;   in Loop: Header=BB29_47 Depth=1
	s_or_b64 exec, exec, s[22:23]
	s_and_saveexec_b64 s[22:23], s[6:7]
	s_cbranch_execnz .LBB29_58
.LBB29_50:                              ;   in Loop: Header=BB29_47 Depth=1
	s_or_b64 exec, exec, s[22:23]
	s_and_saveexec_b64 s[22:23], s[8:9]
	s_cbranch_execnz .LBB29_59
.LBB29_51:                              ;   in Loop: Header=BB29_47 Depth=1
	s_or_b64 exec, exec, s[22:23]
	s_and_saveexec_b64 s[22:23], s[10:11]
	s_cbranch_execnz .LBB29_60
.LBB29_52:                              ;   in Loop: Header=BB29_47 Depth=1
	s_or_b64 exec, exec, s[22:23]
	s_and_saveexec_b64 s[22:23], s[12:13]
	s_cbranch_execnz .LBB29_61
.LBB29_53:                              ;   in Loop: Header=BB29_47 Depth=1
	s_or_b64 exec, exec, s[22:23]
	s_and_saveexec_b64 s[22:23], s[14:15]
	s_cbranch_execnz .LBB29_62
.LBB29_54:                              ;   in Loop: Header=BB29_47 Depth=1
	s_or_b64 exec, exec, s[22:23]
	s_and_saveexec_b64 s[22:23], vcc
	s_cbranch_execnz .LBB29_63
.LBB29_55:                              ;   in Loop: Header=BB29_47 Depth=1
	s_or_b64 exec, exec, s[22:23]
	s_and_saveexec_b64 s[22:23], s[0:1]
	s_cbranch_execz .LBB29_46
	s_branch .LBB29_64
.LBB29_56:                              ;   in Loop: Header=BB29_47 Depth=1
	ds_read_b32 v13, v6 offset:6144
	s_waitcnt lgkmcnt(0)
	v_add_u32_e32 v12, v13, v12
	s_or_b64 exec, exec, s[22:23]
	s_and_saveexec_b64 s[22:23], s[4:5]
	s_cbranch_execz .LBB29_49
.LBB29_57:                              ;   in Loop: Header=BB29_47 Depth=1
	ds_read_b32 v13, v6 offset:6148
	s_waitcnt lgkmcnt(0)
	v_add_u32_e32 v12, v13, v12
	s_or_b64 exec, exec, s[22:23]
	s_and_saveexec_b64 s[22:23], s[6:7]
	s_cbranch_execz .LBB29_50
.LBB29_58:                              ;   in Loop: Header=BB29_47 Depth=1
	ds_read_b32 v13, v6 offset:6152
	s_waitcnt lgkmcnt(0)
	v_add_u32_e32 v12, v13, v12
	s_or_b64 exec, exec, s[22:23]
	s_and_saveexec_b64 s[22:23], s[8:9]
	s_cbranch_execz .LBB29_51
.LBB29_59:                              ;   in Loop: Header=BB29_47 Depth=1
	ds_read_b32 v13, v6 offset:6156
	s_waitcnt lgkmcnt(0)
	v_add_u32_e32 v12, v13, v12
	s_or_b64 exec, exec, s[22:23]
	s_and_saveexec_b64 s[22:23], s[10:11]
	s_cbranch_execz .LBB29_52
.LBB29_60:                              ;   in Loop: Header=BB29_47 Depth=1
	ds_read_b32 v13, v6 offset:6160
	s_waitcnt lgkmcnt(0)
	v_add_u32_e32 v12, v13, v12
	s_or_b64 exec, exec, s[22:23]
	s_and_saveexec_b64 s[22:23], s[12:13]
	s_cbranch_execz .LBB29_53
.LBB29_61:                              ;   in Loop: Header=BB29_47 Depth=1
	ds_read_b32 v13, v6 offset:6164
	s_waitcnt lgkmcnt(0)
	v_add_u32_e32 v12, v13, v12
	s_or_b64 exec, exec, s[22:23]
	s_and_saveexec_b64 s[22:23], s[14:15]
	s_cbranch_execz .LBB29_54
.LBB29_62:                              ;   in Loop: Header=BB29_47 Depth=1
	ds_read_b32 v13, v6 offset:6168
	s_waitcnt lgkmcnt(0)
	v_add_u32_e32 v12, v13, v12
	s_or_b64 exec, exec, s[22:23]
	s_and_saveexec_b64 s[22:23], vcc
	s_cbranch_execz .LBB29_55
.LBB29_63:                              ;   in Loop: Header=BB29_47 Depth=1
	v_add3_u32 v13, v10, -1, v12
	v_lshl_add_u32 v14, v13, 2, 0
	v_lshl_add_u32 v13, v13, 3, 0
	ds_write_b32 v14, v11
	ds_write_b64 v13, v[4:5] offset:2048
	s_or_b64 exec, exec, s[22:23]
	s_and_saveexec_b64 s[22:23], s[0:1]
	s_cbranch_execz .LBB29_46
.LBB29_64:                              ;   in Loop: Header=BB29_47 Depth=1
	ds_write_b32 v6, v12 offset:6172
	s_branch .LBB29_46
.LBB29_65:
	s_or_b64 exec, exec, s[16:17]
	s_ashr_i32 s35, s34, 31
	s_lshl_b64 s[0:1], s[34:35], 2
	s_add_u32 s0, s18, s0
	s_addc_u32 s1, s19, s1
	s_load_dwordx2 s[0:1], s[0:1], 0x0
	s_waitcnt lgkmcnt(0)
	s_sub_i32 s14, s1, s0
	v_cmp_gt_i32_e32 vcc, s14, v0
	s_and_saveexec_b64 s[2:3], vcc
	s_cbranch_execz .LBB29_80
; %bb.66:
	s_sub_i32 s6, s0, s30
	s_add_i32 s0, s14, -2
	s_lshr_b32 s1, s0, 1
	s_add_i32 s2, s1, 1
	s_cmp_gt_u32 s14, 1
	s_cselect_b64 s[8:9], -1, 0
	s_and_b32 s15, s14, -2
	s_and_b32 s4, s2, 7
	s_cmp_gt_u32 s0, 13
	s_cselect_b64 s[0:1], -1, 0
	s_and_b32 s16, s2, -8
	s_cmp_lg_u32 s4, 0
	s_cselect_b64 s[2:3], -1, 0
	v_cndmask_b32_e64 v1, 0, 1, s[0:1]
	s_cmp_lg_u32 s14, s15
	v_cmp_ne_u32_e64 s[0:1], 1, v1
	v_cndmask_b32_e64 v1, 0, 1, s[2:3]
	s_mov_b32 s7, 0
	s_cselect_b64 s[10:11], -1, 0
	s_lshl_b32 s17, s4, 3
	s_mov_b64 s[12:13], 0
	v_cmp_ne_u32_e64 s[2:3], 1, v1
	v_mov_b32_e32 v1, s37
	v_mov_b32_e32 v6, s39
	s_waitcnt vmcnt(0)
	s_branch .LBB29_68
.LBB29_67:                              ;   in Loop: Header=BB29_68 Depth=1
	v_ashrrev_i32_e32 v5, 31, v4
	v_lshlrev_b64 v[8:9], 2, v[4:5]
	v_add_co_u32_e32 v8, vcc, s36, v8
	v_addc_co_u32_e32 v9, vcc, v1, v9, vcc
	v_lshlrev_b64 v[4:5], 3, v[4:5]
	v_add_co_u32_e32 v4, vcc, s38, v4
	v_addc_co_u32_e32 v5, vcc, v6, v5, vcc
	v_add_u32_e32 v0, 0x100, v0
	v_cmp_le_i32_e32 vcc, s14, v0
	s_waitcnt lgkmcnt(1)
	v_add_u32_e32 v7, s30, v7
	s_or_b64 s[12:13], vcc, s[12:13]
	global_store_dword v[8:9], v7, off
	s_waitcnt lgkmcnt(0)
	global_store_dwordx2 v[4:5], v[2:3], off
	s_andn2_b64 exec, exec, s[12:13]
	s_cbranch_execz .LBB29_80
.LBB29_68:                              ; =>This Loop Header: Depth=1
                                        ;     Child Loop BB29_71 Depth 2
                                        ;     Child Loop BB29_76 Depth 2
	;; [unrolled: 1-line block ×3, first 2 shown]
	v_lshlrev_b32_e32 v2, 2, v0
	v_add_u32_e32 v3, 0, v2
	v_add_u32_e32 v2, v3, v2
	ds_read_b32 v7, v3
	ds_read_b64 v[2:3], v2 offset:2048
	s_and_b64 vcc, exec, s[8:9]
	s_cbranch_vccz .LBB29_73
; %bb.69:                               ;   in Loop: Header=BB29_68 Depth=1
	s_and_b64 vcc, exec, s[0:1]
	s_cbranch_vccnz .LBB29_74
; %bb.70:                               ;   in Loop: Header=BB29_68 Depth=1
	s_mov_b32 s19, 0
	v_mov_b32_e32 v4, s6
	v_mov_b32_e32 v5, 0
	s_mov_b32 s20, s16
	s_mov_b32 s18, 0
.LBB29_71:                              ;   Parent Loop BB29_68 Depth=1
                                        ; =>  This Inner Loop Header: Depth=2
	v_mov_b32_e32 v22, s19
	ds_read2_b32 v[8:9], v22 offset1:1
	ds_read2_b32 v[10:11], v22 offset0:2 offset1:3
	ds_read2_b32 v[12:13], v22 offset0:4 offset1:5
	;; [unrolled: 1-line block ×7, first 2 shown]
	s_waitcnt lgkmcnt(7)
	v_cmp_gt_i32_e32 vcc, v7, v9
	v_cndmask_b32_e64 v9, 0, 1, vcc
	v_cmp_gt_i32_e32 vcc, v7, v8
	s_waitcnt lgkmcnt(5)
	v_cmp_gt_i32_e64 s[4:5], v7, v12
	v_cndmask_b32_e64 v8, 0, 1, vcc
	v_cmp_gt_i32_e32 vcc, v7, v11
	v_cndmask_b32_e64 v11, 0, 1, s[4:5]
	v_cmp_gt_i32_e64 s[4:5], v7, v13
	v_cndmask_b32_e64 v12, 0, 1, s[4:5]
	s_waitcnt lgkmcnt(3)
	v_cmp_gt_i32_e64 s[4:5], v7, v17
	v_cndmask_b32_e64 v13, 0, 1, s[4:5]
	v_cmp_gt_i32_e64 s[4:5], v7, v16
	v_cndmask_b32_e64 v16, 0, 1, s[4:5]
	s_waitcnt lgkmcnt(1)
	v_cmp_gt_i32_e64 s[4:5], v7, v20
	v_cndmask_b32_e64 v17, 0, 1, s[4:5]
	v_cmp_gt_i32_e64 s[4:5], v7, v21
	v_cndmask_b32_e64 v20, 0, 1, s[4:5]
	v_cmp_gt_i32_e64 s[4:5], v7, v10
	v_addc_co_u32_e64 v4, s[4:5], v4, v8, s[4:5]
	v_addc_co_u32_e32 v5, vcc, v5, v9, vcc
	v_cmp_gt_i32_e32 vcc, v7, v14
	v_cmp_gt_i32_e64 s[4:5], v7, v15
	v_addc_co_u32_e64 v5, s[4:5], v5, v12, s[4:5]
	v_addc_co_u32_e32 v4, vcc, v4, v11, vcc
	v_cmp_gt_i32_e32 vcc, v7, v19
	v_cmp_gt_i32_e64 s[4:5], v7, v18
	v_addc_co_u32_e64 v4, s[4:5], v4, v16, s[4:5]
	v_addc_co_u32_e32 v5, vcc, v5, v13, vcc
	s_add_i32 s18, s18, 16
	s_add_i32 s19, s19, 64
	s_add_i32 s20, s20, -8
	s_waitcnt lgkmcnt(0)
	v_cmp_gt_i32_e32 vcc, v7, v22
	v_cmp_gt_i32_e64 s[4:5], v7, v23
	s_cmp_lg_u32 s20, 0
	v_addc_co_u32_e64 v5, s[4:5], v5, v20, s[4:5]
	v_addc_co_u32_e32 v4, vcc, v4, v17, vcc
	s_cbranch_scc1 .LBB29_71
; %bb.72:                               ;   in Loop: Header=BB29_68 Depth=1
	s_and_b64 vcc, exec, s[2:3]
	s_cbranch_vccz .LBB29_75
	s_branch .LBB29_77
.LBB29_73:                              ;   in Loop: Header=BB29_68 Depth=1
	v_mov_b32_e32 v4, s6
	s_mov_b32 s18, 0
	s_cbranch_execz .LBB29_67
	s_branch .LBB29_78
.LBB29_74:                              ;   in Loop: Header=BB29_68 Depth=1
	v_pk_mov_b32 v[4:5], s[6:7], s[6:7] op_sel:[0,1]
	s_mov_b32 s18, 0
	s_and_b64 vcc, exec, s[2:3]
	s_cbranch_vccnz .LBB29_77
.LBB29_75:                              ;   in Loop: Header=BB29_68 Depth=1
	s_lshl_b32 s4, s18, 2
	s_add_i32 s4, s4, 0
	s_mov_b32 s5, s17
.LBB29_76:                              ;   Parent Loop BB29_68 Depth=1
                                        ; =>  This Inner Loop Header: Depth=2
	v_mov_b32_e32 v8, s4
	ds_read2_b32 v[8:9], v8 offset1:1
	s_add_i32 s4, s4, 8
	s_add_i32 s5, s5, -8
	s_cmp_lg_u32 s5, 0
	s_waitcnt lgkmcnt(0)
	v_cmp_gt_i32_e32 vcc, v7, v9
	v_addc_co_u32_e32 v5, vcc, 0, v5, vcc
	v_cmp_gt_i32_e32 vcc, v7, v8
	v_addc_co_u32_e32 v4, vcc, 0, v4, vcc
	s_cbranch_scc1 .LBB29_76
.LBB29_77:                              ;   in Loop: Header=BB29_68 Depth=1
	v_add_u32_e32 v4, v4, v5
	s_mov_b32 s18, s15
	s_mov_b64 s[4:5], s[10:11]
	s_and_b64 vcc, exec, s[4:5]
	s_cbranch_vccz .LBB29_67
.LBB29_78:                              ;   in Loop: Header=BB29_68 Depth=1
	s_lshl_b32 s4, s18, 2
	s_add_i32 s4, s4, 0
.LBB29_79:                              ;   Parent Loop BB29_68 Depth=1
                                        ; =>  This Inner Loop Header: Depth=2
	v_mov_b32_e32 v5, s4
	ds_read_b32 v5, v5
	s_add_i32 s18, s18, 1
	s_add_i32 s4, s4, 4
	s_cmp_ge_i32 s18, s14
	s_waitcnt lgkmcnt(0)
	v_cmp_gt_i32_e32 vcc, v7, v5
	v_addc_co_u32_e32 v4, vcc, 0, v4, vcc
	s_cbranch_scc0 .LBB29_79
	s_branch .LBB29_67
.LBB29_80:
	s_endpgm
	.section	.rodata,"a",@progbits
	.p2align	6, 0x0
	.amdhsa_kernel _ZN9rocsparseL26csrgemm_fill_block_per_rowILj256ELj32ELj512ELj137ELj32EiidEEvT5_PKS1_S3_NS_24const_host_device_scalarIT6_EEPKT4_S3_PKS5_S9_S3_SB_S6_S9_S3_SB_S9_PS1_PS5_21rocsparse_index_base_SE_SE_SE_bbb
		.amdhsa_group_segment_fixed_size 0
		.amdhsa_private_segment_fixed_size 0
		.amdhsa_kernarg_size 156
		.amdhsa_user_sgpr_count 6
		.amdhsa_user_sgpr_private_segment_buffer 1
		.amdhsa_user_sgpr_dispatch_ptr 0
		.amdhsa_user_sgpr_queue_ptr 0
		.amdhsa_user_sgpr_kernarg_segment_ptr 1
		.amdhsa_user_sgpr_dispatch_id 0
		.amdhsa_user_sgpr_flat_scratch_init 0
		.amdhsa_user_sgpr_kernarg_preload_length 0
		.amdhsa_user_sgpr_kernarg_preload_offset 0
		.amdhsa_user_sgpr_private_segment_size 0
		.amdhsa_uses_dynamic_stack 0
		.amdhsa_system_sgpr_private_segment_wavefront_offset 0
		.amdhsa_system_sgpr_workgroup_id_x 1
		.amdhsa_system_sgpr_workgroup_id_y 0
		.amdhsa_system_sgpr_workgroup_id_z 0
		.amdhsa_system_sgpr_workgroup_info 0
		.amdhsa_system_vgpr_workitem_id 0
		.amdhsa_next_free_vgpr 24
		.amdhsa_next_free_sgpr 54
		.amdhsa_accum_offset 24
		.amdhsa_reserve_vcc 1
		.amdhsa_reserve_flat_scratch 0
		.amdhsa_float_round_mode_32 0
		.amdhsa_float_round_mode_16_64 0
		.amdhsa_float_denorm_mode_32 3
		.amdhsa_float_denorm_mode_16_64 3
		.amdhsa_dx10_clamp 1
		.amdhsa_ieee_mode 1
		.amdhsa_fp16_overflow 0
		.amdhsa_tg_split 0
		.amdhsa_exception_fp_ieee_invalid_op 0
		.amdhsa_exception_fp_denorm_src 0
		.amdhsa_exception_fp_ieee_div_zero 0
		.amdhsa_exception_fp_ieee_overflow 0
		.amdhsa_exception_fp_ieee_underflow 0
		.amdhsa_exception_fp_ieee_inexact 0
		.amdhsa_exception_int_div_zero 0
	.end_amdhsa_kernel
	.section	.text._ZN9rocsparseL26csrgemm_fill_block_per_rowILj256ELj32ELj512ELj137ELj32EiidEEvT5_PKS1_S3_NS_24const_host_device_scalarIT6_EEPKT4_S3_PKS5_S9_S3_SB_S6_S9_S3_SB_S9_PS1_PS5_21rocsparse_index_base_SE_SE_SE_bbb,"axG",@progbits,_ZN9rocsparseL26csrgemm_fill_block_per_rowILj256ELj32ELj512ELj137ELj32EiidEEvT5_PKS1_S3_NS_24const_host_device_scalarIT6_EEPKT4_S3_PKS5_S9_S3_SB_S6_S9_S3_SB_S9_PS1_PS5_21rocsparse_index_base_SE_SE_SE_bbb,comdat
.Lfunc_end29:
	.size	_ZN9rocsparseL26csrgemm_fill_block_per_rowILj256ELj32ELj512ELj137ELj32EiidEEvT5_PKS1_S3_NS_24const_host_device_scalarIT6_EEPKT4_S3_PKS5_S9_S3_SB_S6_S9_S3_SB_S9_PS1_PS5_21rocsparse_index_base_SE_SE_SE_bbb, .Lfunc_end29-_ZN9rocsparseL26csrgemm_fill_block_per_rowILj256ELj32ELj512ELj137ELj32EiidEEvT5_PKS1_S3_NS_24const_host_device_scalarIT6_EEPKT4_S3_PKS5_S9_S3_SB_S6_S9_S3_SB_S9_PS1_PS5_21rocsparse_index_base_SE_SE_SE_bbb
                                        ; -- End function
	.section	.AMDGPU.csdata,"",@progbits
; Kernel info:
; codeLenInByte = 2940
; NumSgprs: 58
; NumVgprs: 24
; NumAgprs: 0
; TotalNumVgprs: 24
; ScratchSize: 0
; MemoryBound: 0
; FloatMode: 240
; IeeeMode: 1
; LDSByteSize: 0 bytes/workgroup (compile time only)
; SGPRBlocks: 7
; VGPRBlocks: 2
; NumSGPRsForWavesPerEU: 58
; NumVGPRsForWavesPerEU: 24
; AccumOffset: 24
; Occupancy: 8
; WaveLimiterHint : 1
; COMPUTE_PGM_RSRC2:SCRATCH_EN: 0
; COMPUTE_PGM_RSRC2:USER_SGPR: 6
; COMPUTE_PGM_RSRC2:TRAP_HANDLER: 0
; COMPUTE_PGM_RSRC2:TGID_X_EN: 1
; COMPUTE_PGM_RSRC2:TGID_Y_EN: 0
; COMPUTE_PGM_RSRC2:TGID_Z_EN: 0
; COMPUTE_PGM_RSRC2:TIDIG_COMP_CNT: 0
; COMPUTE_PGM_RSRC3_GFX90A:ACCUM_OFFSET: 5
; COMPUTE_PGM_RSRC3_GFX90A:TG_SPLIT: 0
	.section	.text._ZN9rocsparseL26csrgemm_fill_block_per_rowILj256ELj32ELj512ELj137ELj64EiidEEvT5_PKS1_S3_NS_24const_host_device_scalarIT6_EEPKT4_S3_PKS5_S9_S3_SB_S6_S9_S3_SB_S9_PS1_PS5_21rocsparse_index_base_SE_SE_SE_bbb,"axG",@progbits,_ZN9rocsparseL26csrgemm_fill_block_per_rowILj256ELj32ELj512ELj137ELj64EiidEEvT5_PKS1_S3_NS_24const_host_device_scalarIT6_EEPKT4_S3_PKS5_S9_S3_SB_S6_S9_S3_SB_S9_PS1_PS5_21rocsparse_index_base_SE_SE_SE_bbb,comdat
	.globl	_ZN9rocsparseL26csrgemm_fill_block_per_rowILj256ELj32ELj512ELj137ELj64EiidEEvT5_PKS1_S3_NS_24const_host_device_scalarIT6_EEPKT4_S3_PKS5_S9_S3_SB_S6_S9_S3_SB_S9_PS1_PS5_21rocsparse_index_base_SE_SE_SE_bbb ; -- Begin function _ZN9rocsparseL26csrgemm_fill_block_per_rowILj256ELj32ELj512ELj137ELj64EiidEEvT5_PKS1_S3_NS_24const_host_device_scalarIT6_EEPKT4_S3_PKS5_S9_S3_SB_S6_S9_S3_SB_S9_PS1_PS5_21rocsparse_index_base_SE_SE_SE_bbb
	.p2align	8
	.type	_ZN9rocsparseL26csrgemm_fill_block_per_rowILj256ELj32ELj512ELj137ELj64EiidEEvT5_PKS1_S3_NS_24const_host_device_scalarIT6_EEPKT4_S3_PKS5_S9_S3_SB_S6_S9_S3_SB_S9_PS1_PS5_21rocsparse_index_base_SE_SE_SE_bbb,@function
_ZN9rocsparseL26csrgemm_fill_block_per_rowILj256ELj32ELj512ELj137ELj64EiidEEvT5_PKS1_S3_NS_24const_host_device_scalarIT6_EEPKT4_S3_PKS5_S9_S3_SB_S6_S9_S3_SB_S9_PS1_PS5_21rocsparse_index_base_SE_SE_SE_bbb: ; @_ZN9rocsparseL26csrgemm_fill_block_per_rowILj256ELj32ELj512ELj137ELj64EiidEEvT5_PKS1_S3_NS_24const_host_device_scalarIT6_EEPKT4_S3_PKS5_S9_S3_SB_S6_S9_S3_SB_S9_PS1_PS5_21rocsparse_index_base_SE_SE_SE_bbb
; %bb.0:
	s_load_dword s7, s[4:5], 0x98
	s_load_dwordx2 s[2:3], s[4:5], 0x18
	s_load_dwordx2 s[0:1], s[4:5], 0x50
	s_waitcnt lgkmcnt(0)
	s_and_b32 s10, 1, s7
	s_bitcmp1_b32 s7, 16
	s_cselect_b64 s[8:9], -1, 0
	s_cmp_eq_u32 s10, 1
	s_cselect_b64 s[44:45], -1, 0
	s_and_b64 s[10:11], s[44:45], exec
	s_cselect_b32 s11, s3, 0
	s_cselect_b32 s10, s2, 0
	s_xor_b64 s[12:13], s[44:45], -1
	s_or_b64 s[12:13], s[12:13], s[8:9]
	s_and_b64 vcc, exec, s[12:13]
	v_pk_mov_b32 v[4:5], s[10:11], s[10:11] op_sel:[0,1]
	s_cbranch_vccnz .LBB30_2
; %bb.1:
	v_pk_mov_b32 v[2:3], s[2:3], s[2:3] op_sel:[0,1]
	flat_load_dwordx2 v[4:5], v[2:3]
.LBB30_2:
	s_bitcmp1_b32 s7, 8
	s_load_dwordx4 s[24:27], s[4:5], 0x88
	s_cselect_b64 s[2:3], -1, 0
	s_and_b64 s[10:11], s[2:3], exec
	s_cselect_b32 s11, s1, 0
	s_cselect_b32 s10, s0, 0
	s_xor_b64 s[12:13], s[2:3], -1
	s_or_b64 s[8:9], s[12:13], s[8:9]
	s_and_b64 vcc, exec, s[8:9]
	v_pk_mov_b32 v[2:3], s[10:11], s[10:11] op_sel:[0,1]
	s_cbranch_vccnz .LBB30_4
; %bb.3:
	v_pk_mov_b32 v[2:3], s[0:1], s[0:1] op_sel:[0,1]
	flat_load_dwordx2 v[2:3], v[2:3]
.LBB30_4:
	s_load_dwordx4 s[28:31], s[4:5], 0x78
	s_load_dwordx8 s[8:15], s[4:5], 0x58
	s_load_dwordx4 s[36:39], s[4:5], 0x40
	s_load_dwordx8 s[16:23], s[4:5], 0x20
	s_load_dwordx4 s[40:43], s[4:5], 0x8
	s_load_dword s33, s[4:5], 0x0
	s_movk_i32 s0, 0x200
	v_cmp_gt_u32_e64 s[0:1], s0, v0
	v_lshl_add_u32 v14, v0, 3, 0
	v_lshl_add_u32 v1, v0, 2, 0
	s_and_saveexec_b64 s[4:5], s[0:1]
	s_cbranch_execz .LBB30_7
; %bb.5:
	v_mov_b32_e32 v6, 0
	v_add_u32_e32 v8, 0x800, v14
	v_or_b32_e32 v9, 0xffffff00, v0
	v_lshl_add_u32 v10, v0, 2, 0
	s_mov_b64 s[34:35], 0
	s_waitcnt lgkmcnt(0)
	v_mov_b32_e32 v11, s33
	v_mov_b32_e32 v7, v6
.LBB30_6:                               ; =>This Inner Loop Header: Depth=1
	v_add_co_u32_e32 v9, vcc, 0x100, v9
	s_xor_b64 s[46:47], vcc, -1
	s_and_b64 s[46:47], exec, s[46:47]
	ds_write_b32 v10, v11
	ds_write_b64 v8, v[6:7]
	v_add_u32_e32 v8, 0x800, v8
	s_or_b64 s[34:35], s[46:47], s[34:35]
	v_add_u32_e32 v10, 0x400, v10
	s_andn2_b64 exec, exec, s[34:35]
	s_cbranch_execnz .LBB30_6
.LBB30_7:
	s_or_b64 exec, exec, s[4:5]
	s_waitcnt lgkmcnt(0)
	s_barrier
	s_load_dword s4, s[40:41], 0x0
	s_mov_b32 s5, 0
	s_waitcnt lgkmcnt(0)
	s_add_i32 s4, s4, s6
	s_lshl_b64 s[4:5], s[4:5], 2
	s_add_u32 s4, s42, s4
	s_addc_u32 s5, s43, s5
	s_load_dword s34, s[4:5], 0x0
	s_and_b64 vcc, exec, s[44:45]
	s_cbranch_vccz .LBB30_27
; %bb.8:
	s_waitcnt lgkmcnt(0)
	s_ashr_i32 s35, s34, 31
	s_lshl_b64 s[4:5], s[34:35], 2
	s_add_u32 s4, s16, s4
	s_addc_u32 s5, s17, s5
	s_load_dwordx2 s[4:5], s[4:5], 0x0
	v_lshrrev_b32_e32 v6, 5, v0
	v_subrev_u32_e32 v6, s24, v6
	s_waitcnt lgkmcnt(0)
	s_sub_i32 s35, s5, s24
	v_add_u32_e32 v6, s4, v6
	v_cmp_gt_i32_e32 vcc, s35, v6
	s_and_saveexec_b64 s[4:5], vcc
	s_cbranch_execz .LBB30_26
; %bb.9:
	v_and_b32_e32 v7, 31, v0
	v_subrev_u32_e32 v15, s25, v7
	s_mov_b64 s[6:7], 0
	v_mov_b32_e32 v16, s19
	v_mov_b32_e32 v17, s23
	s_movk_i32 s19, 0x89
	s_branch .LBB30_11
.LBB30_10:                              ;   in Loop: Header=BB30_11 Depth=1
	s_or_b64 exec, exec, s[16:17]
	v_add_u32_e32 v6, 8, v6
	v_cmp_le_i32_e32 vcc, s35, v6
	s_or_b64 s[6:7], vcc, s[6:7]
	s_andn2_b64 exec, exec, s[6:7]
	s_cbranch_execz .LBB30_26
.LBB30_11:                              ; =>This Loop Header: Depth=1
                                        ;     Child Loop BB30_14 Depth 2
                                        ;       Child Loop BB30_16 Depth 3
	v_ashrrev_i32_e32 v7, 31, v6
	v_lshlrev_b64 v[8:9], 2, v[6:7]
	v_add_co_u32_e32 v8, vcc, s18, v8
	v_addc_co_u32_e32 v9, vcc, v16, v9, vcc
	global_load_dword v8, v[8:9], off
	s_waitcnt vmcnt(0)
	v_subrev_u32_e32 v8, s24, v8
	v_ashrrev_i32_e32 v9, 31, v8
	v_lshlrev_b64 v[8:9], 2, v[8:9]
	v_add_co_u32_e32 v8, vcc, s22, v8
	v_addc_co_u32_e32 v9, vcc, v17, v9, vcc
	global_load_dwordx2 v[8:9], v[8:9], off
	s_waitcnt vmcnt(0)
	v_subrev_u32_e32 v18, s25, v9
	v_add_u32_e32 v8, v8, v15
	v_cmp_lt_i32_e32 vcc, v8, v18
	s_and_saveexec_b64 s[16:17], vcc
	s_cbranch_execz .LBB30_10
; %bb.12:                               ;   in Loop: Header=BB30_11 Depth=1
	v_lshlrev_b64 v[10:11], 3, v[6:7]
	v_mov_b32_e32 v7, s21
	v_add_co_u32_e32 v10, vcc, s20, v10
	v_addc_co_u32_e32 v11, vcc, v7, v11, vcc
	global_load_dwordx2 v[10:11], v[10:11], off
	s_mov_b64 s[40:41], 0
	s_waitcnt vmcnt(0)
	v_mul_f64 v[10:11], v[4:5], v[10:11]
	s_branch .LBB30_14
.LBB30_13:                              ;   in Loop: Header=BB30_14 Depth=2
	s_or_b64 exec, exec, s[42:43]
	v_add_u32_e32 v8, 32, v8
	v_cmp_ge_i32_e32 vcc, v8, v18
	s_or_b64 s[40:41], vcc, s[40:41]
	s_andn2_b64 exec, exec, s[40:41]
	s_cbranch_execz .LBB30_10
.LBB30_14:                              ;   Parent Loop BB30_11 Depth=1
                                        ; =>  This Loop Header: Depth=2
                                        ;       Child Loop BB30_16 Depth 3
	v_ashrrev_i32_e32 v9, 31, v8
	v_lshlrev_b64 v[12:13], 2, v[8:9]
	v_mov_b32_e32 v7, s37
	v_add_co_u32_e32 v12, vcc, s36, v12
	v_addc_co_u32_e32 v13, vcc, v7, v13, vcc
	global_load_dword v7, v[12:13], off
	v_lshlrev_b64 v[12:13], 3, v[8:9]
	v_mov_b32_e32 v9, s39
	v_add_co_u32_e32 v12, vcc, s38, v12
	v_addc_co_u32_e32 v13, vcc, v9, v13, vcc
	global_load_dwordx2 v[12:13], v[12:13], off
	s_mov_b64 s[42:43], 0
	s_waitcnt vmcnt(1)
	v_subrev_u32_e32 v7, s25, v7
	v_mul_lo_u32 v9, v7, s19
	v_and_b32_e32 v9, 0x1ff, v9
	s_waitcnt vmcnt(0)
	v_mul_f64 v[12:13], v[10:11], v[12:13]
	s_branch .LBB30_16
.LBB30_15:                              ;   in Loop: Header=BB30_16 Depth=3
	s_or_b64 exec, exec, s[44:45]
	s_xor_b64 s[44:45], s[46:47], -1
	s_and_b64 s[44:45], exec, s[44:45]
	s_or_b64 s[42:43], s[44:45], s[42:43]
	s_andn2_b64 exec, exec, s[42:43]
	s_cbranch_execz .LBB30_13
.LBB30_16:                              ;   Parent Loop BB30_11 Depth=1
                                        ;     Parent Loop BB30_14 Depth=2
                                        ; =>    This Inner Loop Header: Depth=3
	v_lshl_add_u32 v19, v9, 2, 0
	ds_read_b32 v20, v19
                                        ; implicit-def: $sgpr46_sgpr47
	s_waitcnt lgkmcnt(0)
	v_cmp_ne_u32_e32 vcc, v20, v7
	s_and_saveexec_b64 s[44:45], vcc
	s_xor_b64 s[44:45], exec, s[44:45]
	s_cbranch_execz .LBB30_24
; %bb.17:                               ;   in Loop: Header=BB30_16 Depth=3
	v_cmp_ne_u32_e32 vcc, s33, v20
                                        ; implicit-def: $sgpr46_sgpr47
	s_and_saveexec_b64 s[48:49], vcc
	s_xor_b64 s[48:49], exec, s[48:49]
; %bb.18:                               ;   in Loop: Header=BB30_16 Depth=3
	v_add_u32_e32 v9, 1, v9
	v_and_b32_e32 v9, 0x1ff, v9
	s_mov_b64 s[46:47], -1
                                        ; implicit-def: $vgpr19
; %bb.19:                               ;   in Loop: Header=BB30_16 Depth=3
	s_andn2_saveexec_b64 s[48:49], s[48:49]
	s_cbranch_execz .LBB30_23
; %bb.20:                               ;   in Loop: Header=BB30_16 Depth=3
	v_mov_b32_e32 v20, s33
	ds_cmpst_rtn_b32 v20, v19, v20, v7
	s_mov_b64 s[50:51], -1
	s_waitcnt lgkmcnt(0)
	v_cmp_eq_u32_e32 vcc, s33, v20
	s_and_saveexec_b64 s[52:53], vcc
	s_cbranch_execz .LBB30_22
; %bb.21:                               ;   in Loop: Header=BB30_16 Depth=3
	v_lshl_add_u32 v19, v9, 2, v19
	ds_add_f64 v19, v[12:13] offset:2048
	s_xor_b64 s[50:51], exec, -1
.LBB30_22:                              ;   in Loop: Header=BB30_16 Depth=3
	s_or_b64 exec, exec, s[52:53]
	s_andn2_b64 s[46:47], s[46:47], exec
	s_and_b64 s[50:51], s[50:51], exec
	s_or_b64 s[46:47], s[46:47], s[50:51]
.LBB30_23:                              ;   in Loop: Header=BB30_16 Depth=3
	s_or_b64 exec, exec, s[48:49]
	s_and_b64 s[46:47], s[46:47], exec
                                        ; implicit-def: $vgpr19
.LBB30_24:                              ;   in Loop: Header=BB30_16 Depth=3
	s_andn2_saveexec_b64 s[44:45], s[44:45]
	s_cbranch_execz .LBB30_15
; %bb.25:                               ;   in Loop: Header=BB30_16 Depth=3
	v_lshl_add_u32 v19, v9, 2, v19
	ds_add_f64 v19, v[12:13] offset:2048
	s_andn2_b64 s[46:47], s[46:47], exec
	s_branch .LBB30_15
.LBB30_26:
	s_or_b64 exec, exec, s[4:5]
.LBB30_27:
	s_andn2_b64 vcc, exec, s[2:3]
	s_cbranch_vccnz .LBB30_44
; %bb.28:
	s_waitcnt lgkmcnt(0)
	s_ashr_i32 s35, s34, 31
	s_lshl_b64 s[2:3], s[34:35], 2
	s_add_u32 s2, s8, s2
	s_addc_u32 s3, s9, s3
	s_load_dwordx2 s[2:3], s[2:3], 0x0
	s_waitcnt vmcnt(0)
	v_subrev_u32_e32 v4, s27, v0
	s_waitcnt lgkmcnt(0)
	s_sub_i32 s24, s3, s27
	v_add_u32_e32 v4, s2, v4
	v_cmp_gt_i32_e32 vcc, s24, v4
	s_and_saveexec_b64 s[2:3], vcc
	s_cbranch_execz .LBB30_43
; %bb.29:
	s_mov_b64 s[4:5], 0
	v_mov_b32_e32 v8, s11
	v_mov_b32_e32 v9, s13
	s_movk_i32 s11, 0x89
	s_branch .LBB30_31
.LBB30_30:                              ;   in Loop: Header=BB30_31 Depth=1
	s_or_b64 exec, exec, s[6:7]
	v_add_u32_e32 v4, 0x100, v4
	v_cmp_le_i32_e32 vcc, s24, v4
	s_or_b64 s[4:5], vcc, s[4:5]
	s_andn2_b64 exec, exec, s[4:5]
	s_cbranch_execz .LBB30_43
.LBB30_31:                              ; =>This Loop Header: Depth=1
                                        ;     Child Loop BB30_33 Depth 2
	v_ashrrev_i32_e32 v5, 31, v4
	v_lshlrev_b64 v[6:7], 2, v[4:5]
	v_add_co_u32_e32 v6, vcc, s10, v6
	v_addc_co_u32_e32 v7, vcc, v8, v7, vcc
	global_load_dword v10, v[6:7], off
	v_lshlrev_b64 v[6:7], 3, v[4:5]
	v_add_co_u32_e32 v6, vcc, s12, v6
	v_addc_co_u32_e32 v7, vcc, v9, v7, vcc
	global_load_dwordx2 v[6:7], v[6:7], off
	s_mov_b64 s[6:7], 0
	s_waitcnt vmcnt(1)
	v_subrev_u32_e32 v5, s27, v10
	v_mul_lo_u32 v10, v5, s11
	v_and_b32_e32 v10, 0x1ff, v10
	s_waitcnt vmcnt(0)
	v_mul_f64 v[6:7], v[2:3], v[6:7]
	s_branch .LBB30_33
.LBB30_32:                              ;   in Loop: Header=BB30_33 Depth=2
	s_or_b64 exec, exec, s[8:9]
	s_xor_b64 s[8:9], s[16:17], -1
	s_and_b64 s[8:9], exec, s[8:9]
	s_or_b64 s[6:7], s[8:9], s[6:7]
	s_andn2_b64 exec, exec, s[6:7]
	s_cbranch_execz .LBB30_30
.LBB30_33:                              ;   Parent Loop BB30_31 Depth=1
                                        ; =>  This Inner Loop Header: Depth=2
	v_lshl_add_u32 v11, v10, 2, 0
	ds_read_b32 v12, v11
                                        ; implicit-def: $sgpr16_sgpr17
	s_waitcnt lgkmcnt(0)
	v_cmp_ne_u32_e32 vcc, v12, v5
	s_and_saveexec_b64 s[8:9], vcc
	s_xor_b64 s[8:9], exec, s[8:9]
	s_cbranch_execz .LBB30_41
; %bb.34:                               ;   in Loop: Header=BB30_33 Depth=2
	v_cmp_ne_u32_e32 vcc, s33, v12
                                        ; implicit-def: $sgpr16_sgpr17
	s_and_saveexec_b64 s[18:19], vcc
	s_xor_b64 s[18:19], exec, s[18:19]
; %bb.35:                               ;   in Loop: Header=BB30_33 Depth=2
	v_add_u32_e32 v10, 1, v10
	v_and_b32_e32 v10, 0x1ff, v10
	s_mov_b64 s[16:17], -1
                                        ; implicit-def: $vgpr11
; %bb.36:                               ;   in Loop: Header=BB30_33 Depth=2
	s_andn2_saveexec_b64 s[18:19], s[18:19]
	s_cbranch_execz .LBB30_40
; %bb.37:                               ;   in Loop: Header=BB30_33 Depth=2
	v_mov_b32_e32 v12, s33
	ds_cmpst_rtn_b32 v12, v11, v12, v5
	s_mov_b64 s[20:21], -1
	s_waitcnt lgkmcnt(0)
	v_cmp_eq_u32_e32 vcc, s33, v12
	s_and_saveexec_b64 s[22:23], vcc
	s_cbranch_execz .LBB30_39
; %bb.38:                               ;   in Loop: Header=BB30_33 Depth=2
	v_lshl_add_u32 v11, v10, 2, v11
	ds_add_f64 v11, v[6:7] offset:2048
	s_xor_b64 s[20:21], exec, -1
.LBB30_39:                              ;   in Loop: Header=BB30_33 Depth=2
	s_or_b64 exec, exec, s[22:23]
	s_andn2_b64 s[16:17], s[16:17], exec
	s_and_b64 s[20:21], s[20:21], exec
	s_or_b64 s[16:17], s[16:17], s[20:21]
.LBB30_40:                              ;   in Loop: Header=BB30_33 Depth=2
	s_or_b64 exec, exec, s[18:19]
	s_and_b64 s[16:17], s[16:17], exec
                                        ; implicit-def: $vgpr11
.LBB30_41:                              ;   in Loop: Header=BB30_33 Depth=2
	s_andn2_saveexec_b64 s[8:9], s[8:9]
	s_cbranch_execz .LBB30_32
; %bb.42:                               ;   in Loop: Header=BB30_33 Depth=2
	v_lshl_add_u32 v11, v10, 2, v11
	ds_add_f64 v11, v[6:7] offset:2048
	s_andn2_b64 s[16:17], s[16:17], exec
	s_branch .LBB30_32
.LBB30_43:
	s_or_b64 exec, exec, s[2:3]
.LBB30_44:
	s_waitcnt lgkmcnt(0)
	s_barrier
	s_and_saveexec_b64 s[8:9], s[0:1]
	s_cbranch_execz .LBB30_57
; %bb.45:
	s_waitcnt vmcnt(0)
	v_mbcnt_lo_u32_b32 v2, -1, 0
	v_mbcnt_hi_u32_b32 v2, -1, v2
	v_lshrrev_b32_e32 v4, 4, v0
	v_sub_u32_e32 v2, 63, v2
	v_and_b32_e32 v4, 12, v4
	s_movk_i32 s0, 0xff
	s_movk_i32 s4, 0x7f
	;; [unrolled: 1-line block ×3, first 2 shown]
	v_mov_b32_e32 v6, 0
	v_lshrrev_b64 v[2:3], v2, -1
	v_add_u32_e32 v7, 0, v4
	v_cmp_eq_u32_e64 s[0:1], s0, v0
	v_cmp_lt_u32_e64 s[2:3], 63, v0
	v_cmp_lt_u32_e64 s[4:5], s4, v0
	;; [unrolled: 1-line block ×3, first 2 shown]
	v_add_u32_e32 v8, 0x800, v14
	v_or_b32_e32 v9, 0xffffff00, v0
	s_mov_b64 s[10:11], 0
	v_mov_b32_e32 v10, 0
	s_branch .LBB30_47
.LBB30_46:                              ;   in Loop: Header=BB30_47 Depth=1
	s_or_b64 exec, exec, s[12:13]
	s_waitcnt lgkmcnt(0)
	s_barrier
	ds_read_b32 v4, v6 offset:6156
	v_add_co_u32_e32 v9, vcc, 0x100, v9
	s_xor_b64 s[12:13], vcc, -1
	s_and_b64 s[12:13], exec, s[12:13]
	v_add_u32_e32 v8, 0x800, v8
	s_waitcnt lgkmcnt(0)
	v_add_u32_e32 v10, v4, v10
	s_or_b64 s[10:11], s[12:13], s[10:11]
	v_add_u32_e32 v1, 0x400, v1
	s_andn2_b64 exec, exec, s[10:11]
	s_cbranch_execz .LBB30_57
.LBB30_47:                              ; =>This Inner Loop Header: Depth=1
	ds_read_b32 v11, v1
	ds_read_b64 v[4:5], v8
	s_waitcnt lgkmcnt(0)
	s_barrier
	v_cmp_gt_i32_e32 vcc, s33, v11
	v_and_b32_e32 v13, vcc_lo, v2
	s_bcnt1_i32_b64 s12, vcc
	v_and_b32_e32 v12, vcc_hi, v3
	v_bcnt_u32_b32 v13, v13, 0
	v_bcnt_u32_b32 v12, v12, v13
	v_mov_b32_e32 v13, s12
	ds_write_b32 v7, v13 offset:6144
	s_waitcnt lgkmcnt(0)
	s_barrier
	s_and_saveexec_b64 s[12:13], s[2:3]
	s_cbranch_execnz .LBB30_52
; %bb.48:                               ;   in Loop: Header=BB30_47 Depth=1
	s_or_b64 exec, exec, s[12:13]
	s_and_saveexec_b64 s[12:13], s[4:5]
	s_cbranch_execnz .LBB30_53
.LBB30_49:                              ;   in Loop: Header=BB30_47 Depth=1
	s_or_b64 exec, exec, s[12:13]
	s_and_saveexec_b64 s[12:13], s[6:7]
	s_cbranch_execnz .LBB30_54
.LBB30_50:                              ;   in Loop: Header=BB30_47 Depth=1
	s_or_b64 exec, exec, s[12:13]
	s_and_saveexec_b64 s[12:13], vcc
	s_cbranch_execnz .LBB30_55
.LBB30_51:                              ;   in Loop: Header=BB30_47 Depth=1
	s_or_b64 exec, exec, s[12:13]
	s_and_saveexec_b64 s[12:13], s[0:1]
	s_cbranch_execz .LBB30_46
	s_branch .LBB30_56
.LBB30_52:                              ;   in Loop: Header=BB30_47 Depth=1
	ds_read_b32 v13, v6 offset:6144
	s_waitcnt lgkmcnt(0)
	v_add_u32_e32 v12, v13, v12
	s_or_b64 exec, exec, s[12:13]
	s_and_saveexec_b64 s[12:13], s[4:5]
	s_cbranch_execz .LBB30_49
.LBB30_53:                              ;   in Loop: Header=BB30_47 Depth=1
	ds_read_b32 v13, v6 offset:6148
	s_waitcnt lgkmcnt(0)
	v_add_u32_e32 v12, v13, v12
	s_or_b64 exec, exec, s[12:13]
	s_and_saveexec_b64 s[12:13], s[6:7]
	s_cbranch_execz .LBB30_50
.LBB30_54:                              ;   in Loop: Header=BB30_47 Depth=1
	ds_read_b32 v13, v6 offset:6152
	s_waitcnt lgkmcnt(0)
	v_add_u32_e32 v12, v13, v12
	s_or_b64 exec, exec, s[12:13]
	s_and_saveexec_b64 s[12:13], vcc
	s_cbranch_execz .LBB30_51
.LBB30_55:                              ;   in Loop: Header=BB30_47 Depth=1
	v_add3_u32 v13, v10, -1, v12
	v_lshl_add_u32 v14, v13, 2, 0
	v_lshl_add_u32 v13, v13, 3, 0
	ds_write_b32 v14, v11
	ds_write_b64 v13, v[4:5] offset:2048
	s_or_b64 exec, exec, s[12:13]
	s_and_saveexec_b64 s[12:13], s[0:1]
	s_cbranch_execz .LBB30_46
.LBB30_56:                              ;   in Loop: Header=BB30_47 Depth=1
	ds_write_b32 v6, v12 offset:6156
	s_branch .LBB30_46
.LBB30_57:
	s_or_b64 exec, exec, s[8:9]
	s_ashr_i32 s35, s34, 31
	s_lshl_b64 s[0:1], s[34:35], 2
	s_add_u32 s0, s14, s0
	s_addc_u32 s1, s15, s1
	s_load_dwordx2 s[0:1], s[0:1], 0x0
	s_waitcnt lgkmcnt(0)
	s_sub_i32 s14, s1, s0
	v_cmp_gt_i32_e32 vcc, s14, v0
	s_and_saveexec_b64 s[2:3], vcc
	s_cbranch_execz .LBB30_72
; %bb.58:
	s_sub_i32 s6, s0, s26
	s_add_i32 s0, s14, -2
	s_lshr_b32 s1, s0, 1
	s_add_i32 s2, s1, 1
	s_cmp_gt_u32 s14, 1
	s_cselect_b64 s[8:9], -1, 0
	s_and_b32 s15, s14, -2
	s_and_b32 s4, s2, 7
	s_cmp_gt_u32 s0, 13
	s_cselect_b64 s[0:1], -1, 0
	s_and_b32 s16, s2, -8
	s_cmp_lg_u32 s4, 0
	s_cselect_b64 s[2:3], -1, 0
	v_cndmask_b32_e64 v1, 0, 1, s[0:1]
	s_cmp_lg_u32 s14, s15
	v_cmp_ne_u32_e64 s[0:1], 1, v1
	v_cndmask_b32_e64 v1, 0, 1, s[2:3]
	s_mov_b32 s7, 0
	s_cselect_b64 s[10:11], -1, 0
	s_lshl_b32 s17, s4, 3
	s_mov_b64 s[12:13], 0
	v_cmp_ne_u32_e64 s[2:3], 1, v1
	v_mov_b32_e32 v1, s29
	v_mov_b32_e32 v6, s31
	s_waitcnt vmcnt(0)
	s_branch .LBB30_60
.LBB30_59:                              ;   in Loop: Header=BB30_60 Depth=1
	v_ashrrev_i32_e32 v5, 31, v4
	v_lshlrev_b64 v[8:9], 2, v[4:5]
	v_add_co_u32_e32 v8, vcc, s28, v8
	v_addc_co_u32_e32 v9, vcc, v1, v9, vcc
	v_lshlrev_b64 v[4:5], 3, v[4:5]
	v_add_co_u32_e32 v4, vcc, s30, v4
	v_addc_co_u32_e32 v5, vcc, v6, v5, vcc
	v_add_u32_e32 v0, 0x100, v0
	v_cmp_le_i32_e32 vcc, s14, v0
	s_waitcnt lgkmcnt(1)
	v_add_u32_e32 v7, s26, v7
	s_or_b64 s[12:13], vcc, s[12:13]
	global_store_dword v[8:9], v7, off
	s_waitcnt lgkmcnt(0)
	global_store_dwordx2 v[4:5], v[2:3], off
	s_andn2_b64 exec, exec, s[12:13]
	s_cbranch_execz .LBB30_72
.LBB30_60:                              ; =>This Loop Header: Depth=1
                                        ;     Child Loop BB30_63 Depth 2
                                        ;     Child Loop BB30_68 Depth 2
	;; [unrolled: 1-line block ×3, first 2 shown]
	v_lshlrev_b32_e32 v2, 2, v0
	v_add_u32_e32 v3, 0, v2
	v_add_u32_e32 v2, v3, v2
	ds_read_b32 v7, v3
	ds_read_b64 v[2:3], v2 offset:2048
	s_and_b64 vcc, exec, s[8:9]
	s_cbranch_vccz .LBB30_65
; %bb.61:                               ;   in Loop: Header=BB30_60 Depth=1
	s_and_b64 vcc, exec, s[0:1]
	s_cbranch_vccnz .LBB30_66
; %bb.62:                               ;   in Loop: Header=BB30_60 Depth=1
	s_mov_b32 s19, 0
	v_mov_b32_e32 v4, s6
	v_mov_b32_e32 v5, 0
	s_mov_b32 s20, s16
	s_mov_b32 s18, 0
.LBB30_63:                              ;   Parent Loop BB30_60 Depth=1
                                        ; =>  This Inner Loop Header: Depth=2
	v_mov_b32_e32 v22, s19
	ds_read2_b32 v[8:9], v22 offset1:1
	ds_read2_b32 v[10:11], v22 offset0:2 offset1:3
	ds_read2_b32 v[12:13], v22 offset0:4 offset1:5
	;; [unrolled: 1-line block ×7, first 2 shown]
	s_waitcnt lgkmcnt(7)
	v_cmp_gt_i32_e32 vcc, v7, v9
	v_cndmask_b32_e64 v9, 0, 1, vcc
	v_cmp_gt_i32_e32 vcc, v7, v8
	s_waitcnt lgkmcnt(5)
	v_cmp_gt_i32_e64 s[4:5], v7, v12
	v_cndmask_b32_e64 v8, 0, 1, vcc
	v_cmp_gt_i32_e32 vcc, v7, v11
	v_cndmask_b32_e64 v11, 0, 1, s[4:5]
	v_cmp_gt_i32_e64 s[4:5], v7, v13
	v_cndmask_b32_e64 v12, 0, 1, s[4:5]
	s_waitcnt lgkmcnt(3)
	v_cmp_gt_i32_e64 s[4:5], v7, v17
	v_cndmask_b32_e64 v13, 0, 1, s[4:5]
	v_cmp_gt_i32_e64 s[4:5], v7, v16
	v_cndmask_b32_e64 v16, 0, 1, s[4:5]
	s_waitcnt lgkmcnt(1)
	v_cmp_gt_i32_e64 s[4:5], v7, v20
	v_cndmask_b32_e64 v17, 0, 1, s[4:5]
	v_cmp_gt_i32_e64 s[4:5], v7, v21
	v_cndmask_b32_e64 v20, 0, 1, s[4:5]
	v_cmp_gt_i32_e64 s[4:5], v7, v10
	v_addc_co_u32_e64 v4, s[4:5], v4, v8, s[4:5]
	v_addc_co_u32_e32 v5, vcc, v5, v9, vcc
	v_cmp_gt_i32_e32 vcc, v7, v14
	v_cmp_gt_i32_e64 s[4:5], v7, v15
	v_addc_co_u32_e64 v5, s[4:5], v5, v12, s[4:5]
	v_addc_co_u32_e32 v4, vcc, v4, v11, vcc
	v_cmp_gt_i32_e32 vcc, v7, v19
	v_cmp_gt_i32_e64 s[4:5], v7, v18
	v_addc_co_u32_e64 v4, s[4:5], v4, v16, s[4:5]
	v_addc_co_u32_e32 v5, vcc, v5, v13, vcc
	s_add_i32 s18, s18, 16
	s_add_i32 s19, s19, 64
	s_add_i32 s20, s20, -8
	s_waitcnt lgkmcnt(0)
	v_cmp_gt_i32_e32 vcc, v7, v22
	v_cmp_gt_i32_e64 s[4:5], v7, v23
	s_cmp_lg_u32 s20, 0
	v_addc_co_u32_e64 v5, s[4:5], v5, v20, s[4:5]
	v_addc_co_u32_e32 v4, vcc, v4, v17, vcc
	s_cbranch_scc1 .LBB30_63
; %bb.64:                               ;   in Loop: Header=BB30_60 Depth=1
	s_and_b64 vcc, exec, s[2:3]
	s_cbranch_vccz .LBB30_67
	s_branch .LBB30_69
.LBB30_65:                              ;   in Loop: Header=BB30_60 Depth=1
	v_mov_b32_e32 v4, s6
	s_mov_b32 s18, 0
	s_cbranch_execz .LBB30_59
	s_branch .LBB30_70
.LBB30_66:                              ;   in Loop: Header=BB30_60 Depth=1
	v_pk_mov_b32 v[4:5], s[6:7], s[6:7] op_sel:[0,1]
	s_mov_b32 s18, 0
	s_and_b64 vcc, exec, s[2:3]
	s_cbranch_vccnz .LBB30_69
.LBB30_67:                              ;   in Loop: Header=BB30_60 Depth=1
	s_lshl_b32 s4, s18, 2
	s_add_i32 s4, s4, 0
	s_mov_b32 s5, s17
.LBB30_68:                              ;   Parent Loop BB30_60 Depth=1
                                        ; =>  This Inner Loop Header: Depth=2
	v_mov_b32_e32 v8, s4
	ds_read2_b32 v[8:9], v8 offset1:1
	s_add_i32 s4, s4, 8
	s_add_i32 s5, s5, -8
	s_cmp_lg_u32 s5, 0
	s_waitcnt lgkmcnt(0)
	v_cmp_gt_i32_e32 vcc, v7, v9
	v_addc_co_u32_e32 v5, vcc, 0, v5, vcc
	v_cmp_gt_i32_e32 vcc, v7, v8
	v_addc_co_u32_e32 v4, vcc, 0, v4, vcc
	s_cbranch_scc1 .LBB30_68
.LBB30_69:                              ;   in Loop: Header=BB30_60 Depth=1
	v_add_u32_e32 v4, v4, v5
	s_mov_b32 s18, s15
	s_mov_b64 s[4:5], s[10:11]
	s_and_b64 vcc, exec, s[4:5]
	s_cbranch_vccz .LBB30_59
.LBB30_70:                              ;   in Loop: Header=BB30_60 Depth=1
	s_lshl_b32 s4, s18, 2
	s_add_i32 s4, s4, 0
.LBB30_71:                              ;   Parent Loop BB30_60 Depth=1
                                        ; =>  This Inner Loop Header: Depth=2
	v_mov_b32_e32 v5, s4
	ds_read_b32 v5, v5
	s_add_i32 s18, s18, 1
	s_add_i32 s4, s4, 4
	s_cmp_ge_i32 s18, s14
	s_waitcnt lgkmcnt(0)
	v_cmp_gt_i32_e32 vcc, v7, v5
	v_addc_co_u32_e32 v4, vcc, 0, v4, vcc
	s_cbranch_scc0 .LBB30_71
	s_branch .LBB30_59
.LBB30_72:
	s_endpgm
	.section	.rodata,"a",@progbits
	.p2align	6, 0x0
	.amdhsa_kernel _ZN9rocsparseL26csrgemm_fill_block_per_rowILj256ELj32ELj512ELj137ELj64EiidEEvT5_PKS1_S3_NS_24const_host_device_scalarIT6_EEPKT4_S3_PKS5_S9_S3_SB_S6_S9_S3_SB_S9_PS1_PS5_21rocsparse_index_base_SE_SE_SE_bbb
		.amdhsa_group_segment_fixed_size 0
		.amdhsa_private_segment_fixed_size 0
		.amdhsa_kernarg_size 156
		.amdhsa_user_sgpr_count 6
		.amdhsa_user_sgpr_private_segment_buffer 1
		.amdhsa_user_sgpr_dispatch_ptr 0
		.amdhsa_user_sgpr_queue_ptr 0
		.amdhsa_user_sgpr_kernarg_segment_ptr 1
		.amdhsa_user_sgpr_dispatch_id 0
		.amdhsa_user_sgpr_flat_scratch_init 0
		.amdhsa_user_sgpr_kernarg_preload_length 0
		.amdhsa_user_sgpr_kernarg_preload_offset 0
		.amdhsa_user_sgpr_private_segment_size 0
		.amdhsa_uses_dynamic_stack 0
		.amdhsa_system_sgpr_private_segment_wavefront_offset 0
		.amdhsa_system_sgpr_workgroup_id_x 1
		.amdhsa_system_sgpr_workgroup_id_y 0
		.amdhsa_system_sgpr_workgroup_id_z 0
		.amdhsa_system_sgpr_workgroup_info 0
		.amdhsa_system_vgpr_workitem_id 0
		.amdhsa_next_free_vgpr 24
		.amdhsa_next_free_sgpr 54
		.amdhsa_accum_offset 24
		.amdhsa_reserve_vcc 1
		.amdhsa_reserve_flat_scratch 0
		.amdhsa_float_round_mode_32 0
		.amdhsa_float_round_mode_16_64 0
		.amdhsa_float_denorm_mode_32 3
		.amdhsa_float_denorm_mode_16_64 3
		.amdhsa_dx10_clamp 1
		.amdhsa_ieee_mode 1
		.amdhsa_fp16_overflow 0
		.amdhsa_tg_split 0
		.amdhsa_exception_fp_ieee_invalid_op 0
		.amdhsa_exception_fp_denorm_src 0
		.amdhsa_exception_fp_ieee_div_zero 0
		.amdhsa_exception_fp_ieee_overflow 0
		.amdhsa_exception_fp_ieee_underflow 0
		.amdhsa_exception_fp_ieee_inexact 0
		.amdhsa_exception_int_div_zero 0
	.end_amdhsa_kernel
	.section	.text._ZN9rocsparseL26csrgemm_fill_block_per_rowILj256ELj32ELj512ELj137ELj64EiidEEvT5_PKS1_S3_NS_24const_host_device_scalarIT6_EEPKT4_S3_PKS5_S9_S3_SB_S6_S9_S3_SB_S9_PS1_PS5_21rocsparse_index_base_SE_SE_SE_bbb,"axG",@progbits,_ZN9rocsparseL26csrgemm_fill_block_per_rowILj256ELj32ELj512ELj137ELj64EiidEEvT5_PKS1_S3_NS_24const_host_device_scalarIT6_EEPKT4_S3_PKS5_S9_S3_SB_S6_S9_S3_SB_S9_PS1_PS5_21rocsparse_index_base_SE_SE_SE_bbb,comdat
.Lfunc_end30:
	.size	_ZN9rocsparseL26csrgemm_fill_block_per_rowILj256ELj32ELj512ELj137ELj64EiidEEvT5_PKS1_S3_NS_24const_host_device_scalarIT6_EEPKT4_S3_PKS5_S9_S3_SB_S6_S9_S3_SB_S9_PS1_PS5_21rocsparse_index_base_SE_SE_SE_bbb, .Lfunc_end30-_ZN9rocsparseL26csrgemm_fill_block_per_rowILj256ELj32ELj512ELj137ELj64EiidEEvT5_PKS1_S3_NS_24const_host_device_scalarIT6_EEPKT4_S3_PKS5_S9_S3_SB_S6_S9_S3_SB_S9_PS1_PS5_21rocsparse_index_base_SE_SE_SE_bbb
                                        ; -- End function
	.section	.AMDGPU.csdata,"",@progbits
; Kernel info:
; codeLenInByte = 2740
; NumSgprs: 58
; NumVgprs: 24
; NumAgprs: 0
; TotalNumVgprs: 24
; ScratchSize: 0
; MemoryBound: 0
; FloatMode: 240
; IeeeMode: 1
; LDSByteSize: 0 bytes/workgroup (compile time only)
; SGPRBlocks: 7
; VGPRBlocks: 2
; NumSGPRsForWavesPerEU: 58
; NumVGPRsForWavesPerEU: 24
; AccumOffset: 24
; Occupancy: 8
; WaveLimiterHint : 1
; COMPUTE_PGM_RSRC2:SCRATCH_EN: 0
; COMPUTE_PGM_RSRC2:USER_SGPR: 6
; COMPUTE_PGM_RSRC2:TRAP_HANDLER: 0
; COMPUTE_PGM_RSRC2:TGID_X_EN: 1
; COMPUTE_PGM_RSRC2:TGID_Y_EN: 0
; COMPUTE_PGM_RSRC2:TGID_Z_EN: 0
; COMPUTE_PGM_RSRC2:TIDIG_COMP_CNT: 0
; COMPUTE_PGM_RSRC3_GFX90A:ACCUM_OFFSET: 5
; COMPUTE_PGM_RSRC3_GFX90A:TG_SPLIT: 0
	.section	.text._ZN9rocsparseL26csrgemm_fill_block_per_rowILj512ELj32ELj1024ELj137ELj32EiidEEvT5_PKS1_S3_NS_24const_host_device_scalarIT6_EEPKT4_S3_PKS5_S9_S3_SB_S6_S9_S3_SB_S9_PS1_PS5_21rocsparse_index_base_SE_SE_SE_bbb,"axG",@progbits,_ZN9rocsparseL26csrgemm_fill_block_per_rowILj512ELj32ELj1024ELj137ELj32EiidEEvT5_PKS1_S3_NS_24const_host_device_scalarIT6_EEPKT4_S3_PKS5_S9_S3_SB_S6_S9_S3_SB_S9_PS1_PS5_21rocsparse_index_base_SE_SE_SE_bbb,comdat
	.globl	_ZN9rocsparseL26csrgemm_fill_block_per_rowILj512ELj32ELj1024ELj137ELj32EiidEEvT5_PKS1_S3_NS_24const_host_device_scalarIT6_EEPKT4_S3_PKS5_S9_S3_SB_S6_S9_S3_SB_S9_PS1_PS5_21rocsparse_index_base_SE_SE_SE_bbb ; -- Begin function _ZN9rocsparseL26csrgemm_fill_block_per_rowILj512ELj32ELj1024ELj137ELj32EiidEEvT5_PKS1_S3_NS_24const_host_device_scalarIT6_EEPKT4_S3_PKS5_S9_S3_SB_S6_S9_S3_SB_S9_PS1_PS5_21rocsparse_index_base_SE_SE_SE_bbb
	.p2align	8
	.type	_ZN9rocsparseL26csrgemm_fill_block_per_rowILj512ELj32ELj1024ELj137ELj32EiidEEvT5_PKS1_S3_NS_24const_host_device_scalarIT6_EEPKT4_S3_PKS5_S9_S3_SB_S6_S9_S3_SB_S9_PS1_PS5_21rocsparse_index_base_SE_SE_SE_bbb,@function
_ZN9rocsparseL26csrgemm_fill_block_per_rowILj512ELj32ELj1024ELj137ELj32EiidEEvT5_PKS1_S3_NS_24const_host_device_scalarIT6_EEPKT4_S3_PKS5_S9_S3_SB_S6_S9_S3_SB_S9_PS1_PS5_21rocsparse_index_base_SE_SE_SE_bbb: ; @_ZN9rocsparseL26csrgemm_fill_block_per_rowILj512ELj32ELj1024ELj137ELj32EiidEEvT5_PKS1_S3_NS_24const_host_device_scalarIT6_EEPKT4_S3_PKS5_S9_S3_SB_S6_S9_S3_SB_S9_PS1_PS5_21rocsparse_index_base_SE_SE_SE_bbb
; %bb.0:
	s_load_dword s7, s[4:5], 0x98
	s_load_dwordx4 s[44:47], s[4:5], 0x88
	s_load_dwordx2 s[0:1], s[4:5], 0x18
	s_load_dwordx2 s[24:25], s[4:5], 0x50
	s_waitcnt lgkmcnt(0)
	s_and_b32 s2, 1, s7
	s_bitcmp1_b32 s7, 16
	s_cselect_b64 s[26:27], -1, 0
	s_cmp_eq_u32 s2, 1
	s_cselect_b64 s[22:23], -1, 0
	s_and_b64 s[2:3], s[22:23], exec
	s_cselect_b32 s3, s1, 0
	s_cselect_b32 s2, s0, 0
	s_xor_b64 s[8:9], s[22:23], -1
	s_or_b64 s[8:9], s[8:9], s[26:27]
	s_and_b64 vcc, exec, s[8:9]
	v_pk_mov_b32 v[4:5], s[2:3], s[2:3] op_sel:[0,1]
	s_cbranch_vccnz .LBB31_2
; %bb.1:
	v_pk_mov_b32 v[2:3], s[0:1], s[0:1] op_sel:[0,1]
	flat_load_dwordx2 v[4:5], v[2:3]
.LBB31_2:
	s_load_dwordx4 s[48:51], s[4:5], 0x78
	s_load_dwordx8 s[36:43], s[4:5], 0x58
	s_load_dwordx4 s[0:3], s[4:5], 0x40
	s_load_dwordx4 s[16:19], s[4:5], 0x8
	s_load_dwordx8 s[8:15], s[4:5], 0x20
	s_bitcmp1_b32 s7, 8
	s_cselect_b64 s[20:21], -1, 0
	s_and_b64 s[28:29], s[20:21], exec
	s_cselect_b32 s29, s25, 0
	s_cselect_b32 s28, s24, 0
	s_xor_b64 s[30:31], s[20:21], -1
	s_or_b64 s[26:27], s[30:31], s[26:27]
	s_and_b64 vcc, exec, s[26:27]
	v_pk_mov_b32 v[2:3], s[28:29], s[28:29] op_sel:[0,1]
	s_cbranch_vccnz .LBB31_4
; %bb.3:
	v_pk_mov_b32 v[2:3], s[24:25], s[24:25] op_sel:[0,1]
	flat_load_dwordx2 v[2:3], v[2:3]
.LBB31_4:
	s_load_dword s33, s[4:5], 0x0
	v_lshl_add_u32 v1, v0, 3, 0
	v_mov_b32_e32 v6, 0
	v_add_u32_e32 v1, 0x1000, v1
	v_or_b32_e32 v14, 0xfffffe00, v0
	v_lshl_add_u32 v15, v0, 2, 0
	s_mov_b64 s[4:5], 0
	s_waitcnt lgkmcnt(0)
	v_mov_b32_e32 v8, s33
	v_mov_b32_e32 v7, v6
	;; [unrolled: 1-line block ×5, first 2 shown]
.LBB31_5:                               ; =>This Inner Loop Header: Depth=1
	v_add_co_u32_e32 v10, vcc, 0x200, v10
	s_xor_b64 s[24:25], vcc, -1
	s_and_b64 s[24:25], exec, s[24:25]
	ds_write_b32 v9, v8
	ds_write_b64 v11, v[6:7]
	v_add_u32_e32 v11, 0x1000, v11
	s_or_b64 s[4:5], s[24:25], s[4:5]
	v_add_u32_e32 v9, 0x800, v9
	s_andn2_b64 exec, exec, s[4:5]
	s_cbranch_execnz .LBB31_5
; %bb.6:
	s_or_b64 exec, exec, s[4:5]
	s_waitcnt lgkmcnt(0)
	s_barrier
	s_load_dword s4, s[16:17], 0x0
	s_mov_b32 s5, 0
	v_lshrrev_b32_e32 v16, 5, v0
	s_waitcnt lgkmcnt(0)
	s_add_i32 s4, s4, s6
	s_lshl_b64 s[4:5], s[4:5], 2
	s_add_u32 s4, s18, s4
	s_addc_u32 s5, s19, s5
	s_load_dword s34, s[4:5], 0x0
	s_and_b64 vcc, exec, s[22:23]
	s_cbranch_vccz .LBB31_26
; %bb.7:
	s_waitcnt lgkmcnt(0)
	s_ashr_i32 s35, s34, 31
	s_lshl_b64 s[4:5], s[34:35], 2
	s_add_u32 s4, s8, s4
	s_addc_u32 s5, s9, s5
	s_load_dwordx2 s[4:5], s[4:5], 0x0
	v_subrev_u32_e32 v6, s44, v16
	s_waitcnt lgkmcnt(0)
	s_sub_i32 s35, s5, s44
	v_add_u32_e32 v6, s4, v6
	v_cmp_gt_i32_e32 vcc, s35, v6
	s_and_saveexec_b64 s[4:5], vcc
	s_cbranch_execz .LBB31_25
; %bb.8:
	v_and_b32_e32 v7, 31, v0
	v_subrev_u32_e32 v17, s45, v7
	s_mov_b64 s[6:7], 0
	v_mov_b32_e32 v18, s11
	v_mov_b32_e32 v19, s15
	s_movk_i32 s11, 0x89
	s_branch .LBB31_10
.LBB31_9:                               ;   in Loop: Header=BB31_10 Depth=1
	s_or_b64 exec, exec, s[8:9]
	v_add_u32_e32 v6, 16, v6
	v_cmp_le_i32_e32 vcc, s35, v6
	s_or_b64 s[6:7], vcc, s[6:7]
	s_andn2_b64 exec, exec, s[6:7]
	s_cbranch_execz .LBB31_25
.LBB31_10:                              ; =>This Loop Header: Depth=1
                                        ;     Child Loop BB31_13 Depth 2
                                        ;       Child Loop BB31_15 Depth 3
	v_ashrrev_i32_e32 v7, 31, v6
	v_lshlrev_b64 v[8:9], 2, v[6:7]
	v_add_co_u32_e32 v8, vcc, s10, v8
	v_addc_co_u32_e32 v9, vcc, v18, v9, vcc
	global_load_dword v8, v[8:9], off
	s_waitcnt vmcnt(0)
	v_subrev_u32_e32 v8, s44, v8
	v_ashrrev_i32_e32 v9, 31, v8
	v_lshlrev_b64 v[8:9], 2, v[8:9]
	v_add_co_u32_e32 v8, vcc, s14, v8
	v_addc_co_u32_e32 v9, vcc, v19, v9, vcc
	global_load_dwordx2 v[8:9], v[8:9], off
	s_waitcnt vmcnt(0)
	v_subrev_u32_e32 v20, s45, v9
	v_add_u32_e32 v8, v8, v17
	v_cmp_lt_i32_e32 vcc, v8, v20
	s_and_saveexec_b64 s[8:9], vcc
	s_cbranch_execz .LBB31_9
; %bb.11:                               ;   in Loop: Header=BB31_10 Depth=1
	v_lshlrev_b64 v[10:11], 3, v[6:7]
	v_mov_b32_e32 v7, s13
	v_add_co_u32_e32 v10, vcc, s12, v10
	v_addc_co_u32_e32 v11, vcc, v7, v11, vcc
	global_load_dwordx2 v[10:11], v[10:11], off
	s_mov_b64 s[16:17], 0
	s_waitcnt vmcnt(0)
	v_mul_f64 v[10:11], v[4:5], v[10:11]
	s_branch .LBB31_13
.LBB31_12:                              ;   in Loop: Header=BB31_13 Depth=2
	s_or_b64 exec, exec, s[18:19]
	v_add_u32_e32 v8, 32, v8
	v_cmp_ge_i32_e32 vcc, v8, v20
	s_or_b64 s[16:17], vcc, s[16:17]
	s_andn2_b64 exec, exec, s[16:17]
	s_cbranch_execz .LBB31_9
.LBB31_13:                              ;   Parent Loop BB31_10 Depth=1
                                        ; =>  This Loop Header: Depth=2
                                        ;       Child Loop BB31_15 Depth 3
	v_ashrrev_i32_e32 v9, 31, v8
	v_lshlrev_b64 v[12:13], 2, v[8:9]
	v_mov_b32_e32 v7, s1
	v_add_co_u32_e32 v12, vcc, s0, v12
	v_addc_co_u32_e32 v13, vcc, v7, v13, vcc
	global_load_dword v7, v[12:13], off
	v_lshlrev_b64 v[12:13], 3, v[8:9]
	v_mov_b32_e32 v9, s3
	v_add_co_u32_e32 v12, vcc, s2, v12
	v_addc_co_u32_e32 v13, vcc, v9, v13, vcc
	global_load_dwordx2 v[12:13], v[12:13], off
	s_mov_b64 s[18:19], 0
	s_waitcnt vmcnt(1)
	v_subrev_u32_e32 v7, s45, v7
	v_mul_lo_u32 v9, v7, s11
	v_and_b32_e32 v9, 0x3ff, v9
	s_waitcnt vmcnt(0)
	v_mul_f64 v[12:13], v[10:11], v[12:13]
	s_branch .LBB31_15
.LBB31_14:                              ;   in Loop: Header=BB31_15 Depth=3
	s_or_b64 exec, exec, s[22:23]
	s_xor_b64 s[22:23], s[24:25], -1
	s_and_b64 s[22:23], exec, s[22:23]
	s_or_b64 s[18:19], s[22:23], s[18:19]
	s_andn2_b64 exec, exec, s[18:19]
	s_cbranch_execz .LBB31_12
.LBB31_15:                              ;   Parent Loop BB31_10 Depth=1
                                        ;     Parent Loop BB31_13 Depth=2
                                        ; =>    This Inner Loop Header: Depth=3
	v_lshl_add_u32 v21, v9, 2, 0
	ds_read_b32 v22, v21
                                        ; implicit-def: $sgpr24_sgpr25
	s_waitcnt lgkmcnt(0)
	v_cmp_ne_u32_e32 vcc, v22, v7
	s_and_saveexec_b64 s[22:23], vcc
	s_xor_b64 s[22:23], exec, s[22:23]
	s_cbranch_execz .LBB31_23
; %bb.16:                               ;   in Loop: Header=BB31_15 Depth=3
	v_cmp_ne_u32_e32 vcc, s33, v22
                                        ; implicit-def: $sgpr24_sgpr25
	s_and_saveexec_b64 s[26:27], vcc
	s_xor_b64 s[26:27], exec, s[26:27]
; %bb.17:                               ;   in Loop: Header=BB31_15 Depth=3
	v_add_u32_e32 v9, 1, v9
	v_and_b32_e32 v9, 0x3ff, v9
	s_mov_b64 s[24:25], -1
                                        ; implicit-def: $vgpr21
; %bb.18:                               ;   in Loop: Header=BB31_15 Depth=3
	s_andn2_saveexec_b64 s[26:27], s[26:27]
	s_cbranch_execz .LBB31_22
; %bb.19:                               ;   in Loop: Header=BB31_15 Depth=3
	v_mov_b32_e32 v22, s33
	ds_cmpst_rtn_b32 v22, v21, v22, v7
	s_mov_b64 s[28:29], -1
	s_waitcnt lgkmcnt(0)
	v_cmp_eq_u32_e32 vcc, s33, v22
	s_and_saveexec_b64 s[30:31], vcc
	s_cbranch_execz .LBB31_21
; %bb.20:                               ;   in Loop: Header=BB31_15 Depth=3
	v_lshl_add_u32 v21, v9, 2, v21
	ds_add_f64 v21, v[12:13] offset:4096
	s_xor_b64 s[28:29], exec, -1
.LBB31_21:                              ;   in Loop: Header=BB31_15 Depth=3
	s_or_b64 exec, exec, s[30:31]
	s_andn2_b64 s[24:25], s[24:25], exec
	s_and_b64 s[28:29], s[28:29], exec
	s_or_b64 s[24:25], s[24:25], s[28:29]
.LBB31_22:                              ;   in Loop: Header=BB31_15 Depth=3
	s_or_b64 exec, exec, s[26:27]
	s_and_b64 s[24:25], s[24:25], exec
                                        ; implicit-def: $vgpr21
.LBB31_23:                              ;   in Loop: Header=BB31_15 Depth=3
	s_andn2_saveexec_b64 s[22:23], s[22:23]
	s_cbranch_execz .LBB31_14
; %bb.24:                               ;   in Loop: Header=BB31_15 Depth=3
	v_lshl_add_u32 v21, v9, 2, v21
	ds_add_f64 v21, v[12:13] offset:4096
	s_andn2_b64 s[24:25], s[24:25], exec
	s_branch .LBB31_14
.LBB31_25:
	s_or_b64 exec, exec, s[4:5]
.LBB31_26:
	s_andn2_b64 vcc, exec, s[20:21]
	s_cbranch_vccnz .LBB31_43
; %bb.27:
	s_waitcnt lgkmcnt(0)
	s_ashr_i32 s35, s34, 31
	s_lshl_b64 s[0:1], s[34:35], 2
	s_add_u32 s0, s36, s0
	s_addc_u32 s1, s37, s1
	s_load_dwordx2 s[0:1], s[0:1], 0x0
	s_waitcnt vmcnt(0)
	v_subrev_u32_e32 v4, s47, v0
	s_waitcnt lgkmcnt(0)
	s_sub_i32 s16, s1, s47
	v_add_u32_e32 v4, s0, v4
	v_cmp_gt_i32_e32 vcc, s16, v4
	s_and_saveexec_b64 s[0:1], vcc
	s_cbranch_execz .LBB31_42
; %bb.28:
	s_mov_b64 s[2:3], 0
	v_mov_b32_e32 v8, s39
	v_mov_b32_e32 v9, s41
	s_movk_i32 s17, 0x89
	s_branch .LBB31_30
.LBB31_29:                              ;   in Loop: Header=BB31_30 Depth=1
	s_or_b64 exec, exec, s[4:5]
	v_add_u32_e32 v4, 0x200, v4
	v_cmp_le_i32_e32 vcc, s16, v4
	s_or_b64 s[2:3], vcc, s[2:3]
	s_andn2_b64 exec, exec, s[2:3]
	s_cbranch_execz .LBB31_42
.LBB31_30:                              ; =>This Loop Header: Depth=1
                                        ;     Child Loop BB31_32 Depth 2
	v_ashrrev_i32_e32 v5, 31, v4
	v_lshlrev_b64 v[6:7], 2, v[4:5]
	v_add_co_u32_e32 v6, vcc, s38, v6
	v_addc_co_u32_e32 v7, vcc, v8, v7, vcc
	global_load_dword v10, v[6:7], off
	v_lshlrev_b64 v[6:7], 3, v[4:5]
	v_add_co_u32_e32 v6, vcc, s40, v6
	v_addc_co_u32_e32 v7, vcc, v9, v7, vcc
	global_load_dwordx2 v[6:7], v[6:7], off
	s_mov_b64 s[4:5], 0
	s_waitcnt vmcnt(1)
	v_subrev_u32_e32 v5, s47, v10
	v_mul_lo_u32 v10, v5, s17
	v_and_b32_e32 v10, 0x3ff, v10
	s_waitcnt vmcnt(0)
	v_mul_f64 v[6:7], v[2:3], v[6:7]
	s_branch .LBB31_32
.LBB31_31:                              ;   in Loop: Header=BB31_32 Depth=2
	s_or_b64 exec, exec, s[6:7]
	s_xor_b64 s[6:7], s[8:9], -1
	s_and_b64 s[6:7], exec, s[6:7]
	s_or_b64 s[4:5], s[6:7], s[4:5]
	s_andn2_b64 exec, exec, s[4:5]
	s_cbranch_execz .LBB31_29
.LBB31_32:                              ;   Parent Loop BB31_30 Depth=1
                                        ; =>  This Inner Loop Header: Depth=2
	v_lshl_add_u32 v11, v10, 2, 0
	ds_read_b32 v12, v11
                                        ; implicit-def: $sgpr8_sgpr9
	s_waitcnt lgkmcnt(0)
	v_cmp_ne_u32_e32 vcc, v12, v5
	s_and_saveexec_b64 s[6:7], vcc
	s_xor_b64 s[6:7], exec, s[6:7]
	s_cbranch_execz .LBB31_40
; %bb.33:                               ;   in Loop: Header=BB31_32 Depth=2
	v_cmp_ne_u32_e32 vcc, s33, v12
                                        ; implicit-def: $sgpr8_sgpr9
	s_and_saveexec_b64 s[10:11], vcc
	s_xor_b64 s[10:11], exec, s[10:11]
; %bb.34:                               ;   in Loop: Header=BB31_32 Depth=2
	v_add_u32_e32 v10, 1, v10
	v_and_b32_e32 v10, 0x3ff, v10
	s_mov_b64 s[8:9], -1
                                        ; implicit-def: $vgpr11
; %bb.35:                               ;   in Loop: Header=BB31_32 Depth=2
	s_andn2_saveexec_b64 s[10:11], s[10:11]
	s_cbranch_execz .LBB31_39
; %bb.36:                               ;   in Loop: Header=BB31_32 Depth=2
	v_mov_b32_e32 v12, s33
	ds_cmpst_rtn_b32 v12, v11, v12, v5
	s_mov_b64 s[12:13], -1
	s_waitcnt lgkmcnt(0)
	v_cmp_eq_u32_e32 vcc, s33, v12
	s_and_saveexec_b64 s[14:15], vcc
	s_cbranch_execz .LBB31_38
; %bb.37:                               ;   in Loop: Header=BB31_32 Depth=2
	v_lshl_add_u32 v11, v10, 2, v11
	ds_add_f64 v11, v[6:7] offset:4096
	s_xor_b64 s[12:13], exec, -1
.LBB31_38:                              ;   in Loop: Header=BB31_32 Depth=2
	s_or_b64 exec, exec, s[14:15]
	s_andn2_b64 s[8:9], s[8:9], exec
	s_and_b64 s[12:13], s[12:13], exec
	s_or_b64 s[8:9], s[8:9], s[12:13]
.LBB31_39:                              ;   in Loop: Header=BB31_32 Depth=2
	s_or_b64 exec, exec, s[10:11]
	s_and_b64 s[8:9], s[8:9], exec
                                        ; implicit-def: $vgpr11
.LBB31_40:                              ;   in Loop: Header=BB31_32 Depth=2
	s_andn2_saveexec_b64 s[6:7], s[6:7]
	s_cbranch_execz .LBB31_31
; %bb.41:                               ;   in Loop: Header=BB31_32 Depth=2
	v_lshl_add_u32 v11, v10, 2, v11
	ds_add_f64 v11, v[6:7] offset:4096
	s_andn2_b64 s[8:9], s[8:9], exec
	s_branch .LBB31_31
.LBB31_42:
	s_or_b64 exec, exec, s[0:1]
.LBB31_43:
	s_waitcnt vmcnt(0)
	v_mbcnt_lo_u32_b32 v2, -1, 0
	v_mbcnt_hi_u32_b32 v2, -1, v2
	v_sub_u32_e32 v2, 63, v2
	s_movk_i32 s0, 0x1ff
	s_movk_i32 s6, 0x5f
	;; [unrolled: 1-line block ×14, first 2 shown]
	v_mov_b32_e32 v6, 0
	v_lshrrev_b64 v[2:3], v2, -1
	v_lshl_add_u32 v7, v16, 2, 0
	v_cmp_eq_u32_e64 s[0:1], s0, v0
	v_cmp_lt_u32_e64 s[2:3], 31, v0
	v_cmp_lt_u32_e64 s[4:5], 63, v0
	;; [unrolled: 1-line block ×15, first 2 shown]
	s_mov_b64 s[36:37], 0
	v_mov_b32_e32 v8, 0
	s_waitcnt lgkmcnt(0)
	s_barrier
	s_branch .LBB31_45
.LBB31_44:                              ;   in Loop: Header=BB31_45 Depth=1
	s_or_b64 exec, exec, s[38:39]
	s_waitcnt lgkmcnt(0)
	s_barrier
	ds_read_b32 v4, v6 offset:12348
	v_add_co_u32_e32 v14, vcc, 0x200, v14
	s_xor_b64 s[38:39], vcc, -1
	s_and_b64 s[38:39], exec, s[38:39]
	v_add_u32_e32 v1, 0x1000, v1
	s_waitcnt lgkmcnt(0)
	v_add_u32_e32 v8, v4, v8
	s_or_b64 s[36:37], s[38:39], s[36:37]
	v_add_u32_e32 v15, 0x800, v15
	s_andn2_b64 exec, exec, s[36:37]
	s_cbranch_execz .LBB31_79
.LBB31_45:                              ; =>This Inner Loop Header: Depth=1
	ds_read_b32 v9, v15
	ds_read_b64 v[4:5], v1
	s_waitcnt lgkmcnt(0)
	s_barrier
	v_cmp_gt_i32_e32 vcc, s33, v9
	v_and_b32_e32 v11, vcc_lo, v2
	s_bcnt1_i32_b64 s35, vcc
	v_and_b32_e32 v10, vcc_hi, v3
	v_bcnt_u32_b32 v11, v11, 0
	v_bcnt_u32_b32 v10, v10, v11
	v_mov_b32_e32 v11, s35
	ds_write_b32 v7, v11 offset:12288
	s_waitcnt lgkmcnt(0)
	s_barrier
	s_and_saveexec_b64 s[38:39], s[2:3]
	s_cbranch_execnz .LBB31_62
; %bb.46:                               ;   in Loop: Header=BB31_45 Depth=1
	s_or_b64 exec, exec, s[38:39]
	s_and_saveexec_b64 s[38:39], s[4:5]
	s_cbranch_execnz .LBB31_63
.LBB31_47:                              ;   in Loop: Header=BB31_45 Depth=1
	s_or_b64 exec, exec, s[38:39]
	s_and_saveexec_b64 s[38:39], s[6:7]
	s_cbranch_execnz .LBB31_64
.LBB31_48:                              ;   in Loop: Header=BB31_45 Depth=1
	s_or_b64 exec, exec, s[38:39]
	s_and_saveexec_b64 s[38:39], s[8:9]
	s_cbranch_execnz .LBB31_65
.LBB31_49:                              ;   in Loop: Header=BB31_45 Depth=1
	s_or_b64 exec, exec, s[38:39]
	s_and_saveexec_b64 s[38:39], s[10:11]
	s_cbranch_execnz .LBB31_66
.LBB31_50:                              ;   in Loop: Header=BB31_45 Depth=1
	s_or_b64 exec, exec, s[38:39]
	s_and_saveexec_b64 s[38:39], s[12:13]
	s_cbranch_execnz .LBB31_67
.LBB31_51:                              ;   in Loop: Header=BB31_45 Depth=1
	s_or_b64 exec, exec, s[38:39]
	s_and_saveexec_b64 s[38:39], s[14:15]
	s_cbranch_execnz .LBB31_68
.LBB31_52:                              ;   in Loop: Header=BB31_45 Depth=1
	s_or_b64 exec, exec, s[38:39]
	s_and_saveexec_b64 s[38:39], s[16:17]
	s_cbranch_execnz .LBB31_69
.LBB31_53:                              ;   in Loop: Header=BB31_45 Depth=1
	s_or_b64 exec, exec, s[38:39]
	s_and_saveexec_b64 s[38:39], s[18:19]
	s_cbranch_execnz .LBB31_70
.LBB31_54:                              ;   in Loop: Header=BB31_45 Depth=1
	s_or_b64 exec, exec, s[38:39]
	s_and_saveexec_b64 s[38:39], s[20:21]
	s_cbranch_execnz .LBB31_71
.LBB31_55:                              ;   in Loop: Header=BB31_45 Depth=1
	s_or_b64 exec, exec, s[38:39]
	s_and_saveexec_b64 s[38:39], s[22:23]
	s_cbranch_execnz .LBB31_72
.LBB31_56:                              ;   in Loop: Header=BB31_45 Depth=1
	s_or_b64 exec, exec, s[38:39]
	s_and_saveexec_b64 s[38:39], s[24:25]
	s_cbranch_execnz .LBB31_73
.LBB31_57:                              ;   in Loop: Header=BB31_45 Depth=1
	s_or_b64 exec, exec, s[38:39]
	s_and_saveexec_b64 s[38:39], s[26:27]
	s_cbranch_execnz .LBB31_74
.LBB31_58:                              ;   in Loop: Header=BB31_45 Depth=1
	s_or_b64 exec, exec, s[38:39]
	s_and_saveexec_b64 s[38:39], s[28:29]
	s_cbranch_execnz .LBB31_75
.LBB31_59:                              ;   in Loop: Header=BB31_45 Depth=1
	s_or_b64 exec, exec, s[38:39]
	s_and_saveexec_b64 s[38:39], s[30:31]
	s_cbranch_execnz .LBB31_76
.LBB31_60:                              ;   in Loop: Header=BB31_45 Depth=1
	s_or_b64 exec, exec, s[38:39]
	s_and_saveexec_b64 s[38:39], vcc
	s_cbranch_execnz .LBB31_77
.LBB31_61:                              ;   in Loop: Header=BB31_45 Depth=1
	s_or_b64 exec, exec, s[38:39]
	s_and_saveexec_b64 s[38:39], s[0:1]
	s_cbranch_execz .LBB31_44
	s_branch .LBB31_78
.LBB31_62:                              ;   in Loop: Header=BB31_45 Depth=1
	ds_read_b32 v11, v6 offset:12288
	s_waitcnt lgkmcnt(0)
	v_add_u32_e32 v10, v11, v10
	s_or_b64 exec, exec, s[38:39]
	s_and_saveexec_b64 s[38:39], s[4:5]
	s_cbranch_execz .LBB31_47
.LBB31_63:                              ;   in Loop: Header=BB31_45 Depth=1
	ds_read_b32 v11, v6 offset:12292
	s_waitcnt lgkmcnt(0)
	v_add_u32_e32 v10, v11, v10
	s_or_b64 exec, exec, s[38:39]
	s_and_saveexec_b64 s[38:39], s[6:7]
	s_cbranch_execz .LBB31_48
.LBB31_64:                              ;   in Loop: Header=BB31_45 Depth=1
	ds_read_b32 v11, v6 offset:12296
	s_waitcnt lgkmcnt(0)
	v_add_u32_e32 v10, v11, v10
	s_or_b64 exec, exec, s[38:39]
	s_and_saveexec_b64 s[38:39], s[8:9]
	s_cbranch_execz .LBB31_49
.LBB31_65:                              ;   in Loop: Header=BB31_45 Depth=1
	ds_read_b32 v11, v6 offset:12300
	s_waitcnt lgkmcnt(0)
	v_add_u32_e32 v10, v11, v10
	s_or_b64 exec, exec, s[38:39]
	s_and_saveexec_b64 s[38:39], s[10:11]
	s_cbranch_execz .LBB31_50
.LBB31_66:                              ;   in Loop: Header=BB31_45 Depth=1
	ds_read_b32 v11, v6 offset:12304
	s_waitcnt lgkmcnt(0)
	v_add_u32_e32 v10, v11, v10
	s_or_b64 exec, exec, s[38:39]
	s_and_saveexec_b64 s[38:39], s[12:13]
	s_cbranch_execz .LBB31_51
.LBB31_67:                              ;   in Loop: Header=BB31_45 Depth=1
	ds_read_b32 v11, v6 offset:12308
	s_waitcnt lgkmcnt(0)
	v_add_u32_e32 v10, v11, v10
	s_or_b64 exec, exec, s[38:39]
	s_and_saveexec_b64 s[38:39], s[14:15]
	s_cbranch_execz .LBB31_52
.LBB31_68:                              ;   in Loop: Header=BB31_45 Depth=1
	ds_read_b32 v11, v6 offset:12312
	s_waitcnt lgkmcnt(0)
	v_add_u32_e32 v10, v11, v10
	s_or_b64 exec, exec, s[38:39]
	s_and_saveexec_b64 s[38:39], s[16:17]
	s_cbranch_execz .LBB31_53
.LBB31_69:                              ;   in Loop: Header=BB31_45 Depth=1
	ds_read_b32 v11, v6 offset:12316
	s_waitcnt lgkmcnt(0)
	v_add_u32_e32 v10, v11, v10
	s_or_b64 exec, exec, s[38:39]
	s_and_saveexec_b64 s[38:39], s[18:19]
	s_cbranch_execz .LBB31_54
.LBB31_70:                              ;   in Loop: Header=BB31_45 Depth=1
	ds_read_b32 v11, v6 offset:12320
	s_waitcnt lgkmcnt(0)
	v_add_u32_e32 v10, v11, v10
	s_or_b64 exec, exec, s[38:39]
	s_and_saveexec_b64 s[38:39], s[20:21]
	s_cbranch_execz .LBB31_55
.LBB31_71:                              ;   in Loop: Header=BB31_45 Depth=1
	ds_read_b32 v11, v6 offset:12324
	s_waitcnt lgkmcnt(0)
	v_add_u32_e32 v10, v11, v10
	s_or_b64 exec, exec, s[38:39]
	s_and_saveexec_b64 s[38:39], s[22:23]
	s_cbranch_execz .LBB31_56
.LBB31_72:                              ;   in Loop: Header=BB31_45 Depth=1
	ds_read_b32 v11, v6 offset:12328
	s_waitcnt lgkmcnt(0)
	v_add_u32_e32 v10, v11, v10
	s_or_b64 exec, exec, s[38:39]
	s_and_saveexec_b64 s[38:39], s[24:25]
	s_cbranch_execz .LBB31_57
.LBB31_73:                              ;   in Loop: Header=BB31_45 Depth=1
	ds_read_b32 v11, v6 offset:12332
	s_waitcnt lgkmcnt(0)
	v_add_u32_e32 v10, v11, v10
	s_or_b64 exec, exec, s[38:39]
	s_and_saveexec_b64 s[38:39], s[26:27]
	s_cbranch_execz .LBB31_58
.LBB31_74:                              ;   in Loop: Header=BB31_45 Depth=1
	ds_read_b32 v11, v6 offset:12336
	s_waitcnt lgkmcnt(0)
	v_add_u32_e32 v10, v11, v10
	s_or_b64 exec, exec, s[38:39]
	s_and_saveexec_b64 s[38:39], s[28:29]
	s_cbranch_execz .LBB31_59
.LBB31_75:                              ;   in Loop: Header=BB31_45 Depth=1
	ds_read_b32 v11, v6 offset:12340
	s_waitcnt lgkmcnt(0)
	v_add_u32_e32 v10, v11, v10
	s_or_b64 exec, exec, s[38:39]
	s_and_saveexec_b64 s[38:39], s[30:31]
	s_cbranch_execz .LBB31_60
.LBB31_76:                              ;   in Loop: Header=BB31_45 Depth=1
	ds_read_b32 v11, v6 offset:12344
	s_waitcnt lgkmcnt(0)
	v_add_u32_e32 v10, v11, v10
	s_or_b64 exec, exec, s[38:39]
	s_and_saveexec_b64 s[38:39], vcc
	s_cbranch_execz .LBB31_61
.LBB31_77:                              ;   in Loop: Header=BB31_45 Depth=1
	v_add3_u32 v11, v8, -1, v10
	v_lshl_add_u32 v12, v11, 2, 0
	v_lshl_add_u32 v11, v11, 3, 0
	ds_write_b32 v12, v9
	ds_write_b64 v11, v[4:5] offset:4096
	s_or_b64 exec, exec, s[38:39]
	s_and_saveexec_b64 s[38:39], s[0:1]
	s_cbranch_execz .LBB31_44
.LBB31_78:                              ;   in Loop: Header=BB31_45 Depth=1
	ds_write_b32 v6, v10 offset:12348
	s_branch .LBB31_44
.LBB31_79:
	s_or_b64 exec, exec, s[36:37]
	s_ashr_i32 s35, s34, 31
	s_lshl_b64 s[0:1], s[34:35], 2
	s_add_u32 s0, s42, s0
	s_addc_u32 s1, s43, s1
	s_load_dwordx2 s[0:1], s[0:1], 0x0
	s_waitcnt lgkmcnt(0)
	s_sub_i32 s14, s1, s0
	v_cmp_gt_i32_e32 vcc, s14, v0
	s_and_saveexec_b64 s[2:3], vcc
	s_cbranch_execz .LBB31_94
; %bb.80:
	s_sub_i32 s6, s0, s46
	s_add_i32 s0, s14, -2
	s_lshr_b32 s1, s0, 1
	s_add_i32 s2, s1, 1
	s_cmp_gt_u32 s14, 1
	s_cselect_b64 s[8:9], -1, 0
	s_and_b32 s15, s14, -2
	s_and_b32 s4, s2, 7
	s_cmp_gt_u32 s0, 13
	s_cselect_b64 s[0:1], -1, 0
	s_and_b32 s16, s2, -8
	s_cmp_lg_u32 s4, 0
	s_cselect_b64 s[2:3], -1, 0
	v_cndmask_b32_e64 v1, 0, 1, s[0:1]
	s_cmp_lg_u32 s14, s15
	v_cmp_ne_u32_e64 s[0:1], 1, v1
	v_cndmask_b32_e64 v1, 0, 1, s[2:3]
	s_mov_b32 s7, 0
	s_cselect_b64 s[10:11], -1, 0
	s_lshl_b32 s17, s4, 3
	s_mov_b64 s[12:13], 0
	v_cmp_ne_u32_e64 s[2:3], 1, v1
	v_mov_b32_e32 v1, s49
	v_mov_b32_e32 v6, s51
	s_branch .LBB31_82
.LBB31_81:                              ;   in Loop: Header=BB31_82 Depth=1
	v_ashrrev_i32_e32 v5, 31, v4
	v_lshlrev_b64 v[8:9], 2, v[4:5]
	v_add_co_u32_e32 v8, vcc, s48, v8
	v_addc_co_u32_e32 v9, vcc, v1, v9, vcc
	v_lshlrev_b64 v[4:5], 3, v[4:5]
	v_add_co_u32_e32 v4, vcc, s50, v4
	v_addc_co_u32_e32 v5, vcc, v6, v5, vcc
	v_add_u32_e32 v0, 0x200, v0
	v_cmp_le_i32_e32 vcc, s14, v0
	s_waitcnt lgkmcnt(1)
	v_add_u32_e32 v7, s46, v7
	s_or_b64 s[12:13], vcc, s[12:13]
	global_store_dword v[8:9], v7, off
	s_waitcnt lgkmcnt(0)
	global_store_dwordx2 v[4:5], v[2:3], off
	s_andn2_b64 exec, exec, s[12:13]
	s_cbranch_execz .LBB31_94
.LBB31_82:                              ; =>This Loop Header: Depth=1
                                        ;     Child Loop BB31_85 Depth 2
                                        ;     Child Loop BB31_90 Depth 2
	;; [unrolled: 1-line block ×3, first 2 shown]
	v_lshlrev_b32_e32 v2, 2, v0
	v_add_u32_e32 v3, 0, v2
	v_add_u32_e32 v2, v3, v2
	ds_read_b32 v7, v3
	ds_read_b64 v[2:3], v2 offset:4096
	s_and_b64 vcc, exec, s[8:9]
	s_cbranch_vccz .LBB31_87
; %bb.83:                               ;   in Loop: Header=BB31_82 Depth=1
	s_and_b64 vcc, exec, s[0:1]
	s_cbranch_vccnz .LBB31_88
; %bb.84:                               ;   in Loop: Header=BB31_82 Depth=1
	s_mov_b32 s19, 0
	v_mov_b32_e32 v4, s6
	v_mov_b32_e32 v5, 0
	s_mov_b32 s20, s16
	s_mov_b32 s18, 0
.LBB31_85:                              ;   Parent Loop BB31_82 Depth=1
                                        ; =>  This Inner Loop Header: Depth=2
	v_mov_b32_e32 v22, s19
	ds_read2_b32 v[8:9], v22 offset1:1
	ds_read2_b32 v[10:11], v22 offset0:2 offset1:3
	ds_read2_b32 v[12:13], v22 offset0:4 offset1:5
	;; [unrolled: 1-line block ×7, first 2 shown]
	s_waitcnt lgkmcnt(7)
	v_cmp_gt_i32_e32 vcc, v7, v9
	v_cndmask_b32_e64 v9, 0, 1, vcc
	v_cmp_gt_i32_e32 vcc, v7, v8
	s_waitcnt lgkmcnt(5)
	v_cmp_gt_i32_e64 s[4:5], v7, v12
	v_cndmask_b32_e64 v8, 0, 1, vcc
	v_cmp_gt_i32_e32 vcc, v7, v11
	v_cndmask_b32_e64 v11, 0, 1, s[4:5]
	v_cmp_gt_i32_e64 s[4:5], v7, v13
	v_cndmask_b32_e64 v12, 0, 1, s[4:5]
	s_waitcnt lgkmcnt(3)
	v_cmp_gt_i32_e64 s[4:5], v7, v17
	v_cndmask_b32_e64 v13, 0, 1, s[4:5]
	v_cmp_gt_i32_e64 s[4:5], v7, v16
	v_cndmask_b32_e64 v16, 0, 1, s[4:5]
	s_waitcnt lgkmcnt(1)
	v_cmp_gt_i32_e64 s[4:5], v7, v20
	v_cndmask_b32_e64 v17, 0, 1, s[4:5]
	v_cmp_gt_i32_e64 s[4:5], v7, v21
	v_cndmask_b32_e64 v20, 0, 1, s[4:5]
	v_cmp_gt_i32_e64 s[4:5], v7, v10
	v_addc_co_u32_e64 v4, s[4:5], v4, v8, s[4:5]
	v_addc_co_u32_e32 v5, vcc, v5, v9, vcc
	v_cmp_gt_i32_e32 vcc, v7, v14
	v_cmp_gt_i32_e64 s[4:5], v7, v15
	v_addc_co_u32_e64 v5, s[4:5], v5, v12, s[4:5]
	v_addc_co_u32_e32 v4, vcc, v4, v11, vcc
	v_cmp_gt_i32_e32 vcc, v7, v19
	v_cmp_gt_i32_e64 s[4:5], v7, v18
	v_addc_co_u32_e64 v4, s[4:5], v4, v16, s[4:5]
	v_addc_co_u32_e32 v5, vcc, v5, v13, vcc
	s_add_i32 s18, s18, 16
	s_add_i32 s19, s19, 64
	s_add_i32 s20, s20, -8
	s_waitcnt lgkmcnt(0)
	v_cmp_gt_i32_e32 vcc, v7, v22
	v_cmp_gt_i32_e64 s[4:5], v7, v23
	s_cmp_lg_u32 s20, 0
	v_addc_co_u32_e64 v5, s[4:5], v5, v20, s[4:5]
	v_addc_co_u32_e32 v4, vcc, v4, v17, vcc
	s_cbranch_scc1 .LBB31_85
; %bb.86:                               ;   in Loop: Header=BB31_82 Depth=1
	s_and_b64 vcc, exec, s[2:3]
	s_cbranch_vccz .LBB31_89
	s_branch .LBB31_91
.LBB31_87:                              ;   in Loop: Header=BB31_82 Depth=1
	v_mov_b32_e32 v4, s6
	s_mov_b32 s18, 0
	s_cbranch_execz .LBB31_81
	s_branch .LBB31_92
.LBB31_88:                              ;   in Loop: Header=BB31_82 Depth=1
	v_pk_mov_b32 v[4:5], s[6:7], s[6:7] op_sel:[0,1]
	s_mov_b32 s18, 0
	s_and_b64 vcc, exec, s[2:3]
	s_cbranch_vccnz .LBB31_91
.LBB31_89:                              ;   in Loop: Header=BB31_82 Depth=1
	s_lshl_b32 s4, s18, 2
	s_add_i32 s4, s4, 0
	s_mov_b32 s5, s17
.LBB31_90:                              ;   Parent Loop BB31_82 Depth=1
                                        ; =>  This Inner Loop Header: Depth=2
	v_mov_b32_e32 v8, s4
	ds_read2_b32 v[8:9], v8 offset1:1
	s_add_i32 s4, s4, 8
	s_add_i32 s5, s5, -8
	s_cmp_lg_u32 s5, 0
	s_waitcnt lgkmcnt(0)
	v_cmp_gt_i32_e32 vcc, v7, v9
	v_addc_co_u32_e32 v5, vcc, 0, v5, vcc
	v_cmp_gt_i32_e32 vcc, v7, v8
	v_addc_co_u32_e32 v4, vcc, 0, v4, vcc
	s_cbranch_scc1 .LBB31_90
.LBB31_91:                              ;   in Loop: Header=BB31_82 Depth=1
	v_add_u32_e32 v4, v4, v5
	s_mov_b32 s18, s15
	s_mov_b64 s[4:5], s[10:11]
	s_and_b64 vcc, exec, s[4:5]
	s_cbranch_vccz .LBB31_81
.LBB31_92:                              ;   in Loop: Header=BB31_82 Depth=1
	s_lshl_b32 s4, s18, 2
	s_add_i32 s4, s4, 0
.LBB31_93:                              ;   Parent Loop BB31_82 Depth=1
                                        ; =>  This Inner Loop Header: Depth=2
	v_mov_b32_e32 v5, s4
	ds_read_b32 v5, v5
	s_add_i32 s18, s18, 1
	s_add_i32 s4, s4, 4
	s_cmp_ge_i32 s18, s14
	s_waitcnt lgkmcnt(0)
	v_cmp_gt_i32_e32 vcc, v7, v5
	v_addc_co_u32_e32 v4, vcc, 0, v4, vcc
	s_cbranch_scc0 .LBB31_93
	s_branch .LBB31_81
.LBB31_94:
	s_endpgm
	.section	.rodata,"a",@progbits
	.p2align	6, 0x0
	.amdhsa_kernel _ZN9rocsparseL26csrgemm_fill_block_per_rowILj512ELj32ELj1024ELj137ELj32EiidEEvT5_PKS1_S3_NS_24const_host_device_scalarIT6_EEPKT4_S3_PKS5_S9_S3_SB_S6_S9_S3_SB_S9_PS1_PS5_21rocsparse_index_base_SE_SE_SE_bbb
		.amdhsa_group_segment_fixed_size 0
		.amdhsa_private_segment_fixed_size 0
		.amdhsa_kernarg_size 156
		.amdhsa_user_sgpr_count 6
		.amdhsa_user_sgpr_private_segment_buffer 1
		.amdhsa_user_sgpr_dispatch_ptr 0
		.amdhsa_user_sgpr_queue_ptr 0
		.amdhsa_user_sgpr_kernarg_segment_ptr 1
		.amdhsa_user_sgpr_dispatch_id 0
		.amdhsa_user_sgpr_flat_scratch_init 0
		.amdhsa_user_sgpr_kernarg_preload_length 0
		.amdhsa_user_sgpr_kernarg_preload_offset 0
		.amdhsa_user_sgpr_private_segment_size 0
		.amdhsa_uses_dynamic_stack 0
		.amdhsa_system_sgpr_private_segment_wavefront_offset 0
		.amdhsa_system_sgpr_workgroup_id_x 1
		.amdhsa_system_sgpr_workgroup_id_y 0
		.amdhsa_system_sgpr_workgroup_id_z 0
		.amdhsa_system_sgpr_workgroup_info 0
		.amdhsa_system_vgpr_workitem_id 0
		.amdhsa_next_free_vgpr 24
		.amdhsa_next_free_sgpr 52
		.amdhsa_accum_offset 24
		.amdhsa_reserve_vcc 1
		.amdhsa_reserve_flat_scratch 0
		.amdhsa_float_round_mode_32 0
		.amdhsa_float_round_mode_16_64 0
		.amdhsa_float_denorm_mode_32 3
		.amdhsa_float_denorm_mode_16_64 3
		.amdhsa_dx10_clamp 1
		.amdhsa_ieee_mode 1
		.amdhsa_fp16_overflow 0
		.amdhsa_tg_split 0
		.amdhsa_exception_fp_ieee_invalid_op 0
		.amdhsa_exception_fp_denorm_src 0
		.amdhsa_exception_fp_ieee_div_zero 0
		.amdhsa_exception_fp_ieee_overflow 0
		.amdhsa_exception_fp_ieee_underflow 0
		.amdhsa_exception_fp_ieee_inexact 0
		.amdhsa_exception_int_div_zero 0
	.end_amdhsa_kernel
	.section	.text._ZN9rocsparseL26csrgemm_fill_block_per_rowILj512ELj32ELj1024ELj137ELj32EiidEEvT5_PKS1_S3_NS_24const_host_device_scalarIT6_EEPKT4_S3_PKS5_S9_S3_SB_S6_S9_S3_SB_S9_PS1_PS5_21rocsparse_index_base_SE_SE_SE_bbb,"axG",@progbits,_ZN9rocsparseL26csrgemm_fill_block_per_rowILj512ELj32ELj1024ELj137ELj32EiidEEvT5_PKS1_S3_NS_24const_host_device_scalarIT6_EEPKT4_S3_PKS5_S9_S3_SB_S6_S9_S3_SB_S9_PS1_PS5_21rocsparse_index_base_SE_SE_SE_bbb,comdat
.Lfunc_end31:
	.size	_ZN9rocsparseL26csrgemm_fill_block_per_rowILj512ELj32ELj1024ELj137ELj32EiidEEvT5_PKS1_S3_NS_24const_host_device_scalarIT6_EEPKT4_S3_PKS5_S9_S3_SB_S6_S9_S3_SB_S9_PS1_PS5_21rocsparse_index_base_SE_SE_SE_bbb, .Lfunc_end31-_ZN9rocsparseL26csrgemm_fill_block_per_rowILj512ELj32ELj1024ELj137ELj32EiidEEvT5_PKS1_S3_NS_24const_host_device_scalarIT6_EEPKT4_S3_PKS5_S9_S3_SB_S6_S9_S3_SB_S9_PS1_PS5_21rocsparse_index_base_SE_SE_SE_bbb
                                        ; -- End function
	.section	.AMDGPU.csdata,"",@progbits
; Kernel info:
; codeLenInByte = 3312
; NumSgprs: 56
; NumVgprs: 24
; NumAgprs: 0
; TotalNumVgprs: 24
; ScratchSize: 0
; MemoryBound: 0
; FloatMode: 240
; IeeeMode: 1
; LDSByteSize: 0 bytes/workgroup (compile time only)
; SGPRBlocks: 6
; VGPRBlocks: 2
; NumSGPRsForWavesPerEU: 56
; NumVGPRsForWavesPerEU: 24
; AccumOffset: 24
; Occupancy: 8
; WaveLimiterHint : 1
; COMPUTE_PGM_RSRC2:SCRATCH_EN: 0
; COMPUTE_PGM_RSRC2:USER_SGPR: 6
; COMPUTE_PGM_RSRC2:TRAP_HANDLER: 0
; COMPUTE_PGM_RSRC2:TGID_X_EN: 1
; COMPUTE_PGM_RSRC2:TGID_Y_EN: 0
; COMPUTE_PGM_RSRC2:TGID_Z_EN: 0
; COMPUTE_PGM_RSRC2:TIDIG_COMP_CNT: 0
; COMPUTE_PGM_RSRC3_GFX90A:ACCUM_OFFSET: 5
; COMPUTE_PGM_RSRC3_GFX90A:TG_SPLIT: 0
	.section	.text._ZN9rocsparseL26csrgemm_fill_block_per_rowILj512ELj32ELj1024ELj137ELj64EiidEEvT5_PKS1_S3_NS_24const_host_device_scalarIT6_EEPKT4_S3_PKS5_S9_S3_SB_S6_S9_S3_SB_S9_PS1_PS5_21rocsparse_index_base_SE_SE_SE_bbb,"axG",@progbits,_ZN9rocsparseL26csrgemm_fill_block_per_rowILj512ELj32ELj1024ELj137ELj64EiidEEvT5_PKS1_S3_NS_24const_host_device_scalarIT6_EEPKT4_S3_PKS5_S9_S3_SB_S6_S9_S3_SB_S9_PS1_PS5_21rocsparse_index_base_SE_SE_SE_bbb,comdat
	.globl	_ZN9rocsparseL26csrgemm_fill_block_per_rowILj512ELj32ELj1024ELj137ELj64EiidEEvT5_PKS1_S3_NS_24const_host_device_scalarIT6_EEPKT4_S3_PKS5_S9_S3_SB_S6_S9_S3_SB_S9_PS1_PS5_21rocsparse_index_base_SE_SE_SE_bbb ; -- Begin function _ZN9rocsparseL26csrgemm_fill_block_per_rowILj512ELj32ELj1024ELj137ELj64EiidEEvT5_PKS1_S3_NS_24const_host_device_scalarIT6_EEPKT4_S3_PKS5_S9_S3_SB_S6_S9_S3_SB_S9_PS1_PS5_21rocsparse_index_base_SE_SE_SE_bbb
	.p2align	8
	.type	_ZN9rocsparseL26csrgemm_fill_block_per_rowILj512ELj32ELj1024ELj137ELj64EiidEEvT5_PKS1_S3_NS_24const_host_device_scalarIT6_EEPKT4_S3_PKS5_S9_S3_SB_S6_S9_S3_SB_S9_PS1_PS5_21rocsparse_index_base_SE_SE_SE_bbb,@function
_ZN9rocsparseL26csrgemm_fill_block_per_rowILj512ELj32ELj1024ELj137ELj64EiidEEvT5_PKS1_S3_NS_24const_host_device_scalarIT6_EEPKT4_S3_PKS5_S9_S3_SB_S6_S9_S3_SB_S9_PS1_PS5_21rocsparse_index_base_SE_SE_SE_bbb: ; @_ZN9rocsparseL26csrgemm_fill_block_per_rowILj512ELj32ELj1024ELj137ELj64EiidEEvT5_PKS1_S3_NS_24const_host_device_scalarIT6_EEPKT4_S3_PKS5_S9_S3_SB_S6_S9_S3_SB_S9_PS1_PS5_21rocsparse_index_base_SE_SE_SE_bbb
; %bb.0:
	s_load_dword s7, s[4:5], 0x98
	s_load_dwordx4 s[28:31], s[4:5], 0x88
	s_load_dwordx2 s[0:1], s[4:5], 0x18
	s_load_dwordx2 s[34:35], s[4:5], 0x50
	s_waitcnt lgkmcnt(0)
	s_and_b32 s2, 1, s7
	s_bitcmp1_b32 s7, 16
	s_cselect_b64 s[44:45], -1, 0
	s_cmp_eq_u32 s2, 1
	s_cselect_b64 s[42:43], -1, 0
	s_and_b64 s[2:3], s[42:43], exec
	s_cselect_b32 s3, s1, 0
	s_cselect_b32 s2, s0, 0
	s_xor_b64 s[8:9], s[42:43], -1
	s_or_b64 s[8:9], s[8:9], s[44:45]
	s_and_b64 vcc, exec, s[8:9]
	v_pk_mov_b32 v[4:5], s[2:3], s[2:3] op_sel:[0,1]
	s_cbranch_vccnz .LBB32_2
; %bb.1:
	v_pk_mov_b32 v[2:3], s[0:1], s[0:1] op_sel:[0,1]
	flat_load_dwordx2 v[4:5], v[2:3]
.LBB32_2:
	s_load_dwordx4 s[36:39], s[4:5], 0x78
	s_load_dwordx8 s[12:19], s[4:5], 0x58
	s_load_dwordx4 s[0:3], s[4:5], 0x40
	s_load_dwordx4 s[8:11], s[4:5], 0x8
	s_load_dwordx8 s[20:27], s[4:5], 0x20
	s_bitcmp1_b32 s7, 8
	s_cselect_b64 s[40:41], -1, 0
	s_and_b64 s[46:47], s[40:41], exec
	s_cselect_b32 s47, s35, 0
	s_cselect_b32 s46, s34, 0
	s_xor_b64 s[48:49], s[40:41], -1
	s_or_b64 s[44:45], s[48:49], s[44:45]
	s_and_b64 vcc, exec, s[44:45]
	v_pk_mov_b32 v[2:3], s[46:47], s[46:47] op_sel:[0,1]
	s_cbranch_vccnz .LBB32_4
; %bb.3:
	v_pk_mov_b32 v[2:3], s[34:35], s[34:35] op_sel:[0,1]
	flat_load_dwordx2 v[2:3], v[2:3]
.LBB32_4:
	s_load_dword s33, s[4:5], 0x0
	v_lshl_add_u32 v1, v0, 3, 0
	v_mov_b32_e32 v6, 0
	v_add_u32_e32 v1, 0x1000, v1
	v_or_b32_e32 v14, 0xfffffe00, v0
	v_lshl_add_u32 v15, v0, 2, 0
	s_mov_b64 s[4:5], 0
	s_waitcnt lgkmcnt(0)
	v_mov_b32_e32 v8, s33
	v_mov_b32_e32 v7, v6
	;; [unrolled: 1-line block ×5, first 2 shown]
.LBB32_5:                               ; =>This Inner Loop Header: Depth=1
	v_add_co_u32_e32 v10, vcc, 0x200, v10
	s_xor_b64 s[34:35], vcc, -1
	s_and_b64 s[34:35], exec, s[34:35]
	ds_write_b32 v9, v8
	ds_write_b64 v11, v[6:7]
	v_add_u32_e32 v11, 0x1000, v11
	s_or_b64 s[4:5], s[34:35], s[4:5]
	v_add_u32_e32 v9, 0x800, v9
	s_andn2_b64 exec, exec, s[4:5]
	s_cbranch_execnz .LBB32_5
; %bb.6:
	s_or_b64 exec, exec, s[4:5]
	s_waitcnt lgkmcnt(0)
	s_barrier
	s_load_dword s4, s[8:9], 0x0
	s_mov_b32 s5, 0
	s_waitcnt lgkmcnt(0)
	s_add_i32 s4, s4, s6
	s_lshl_b64 s[4:5], s[4:5], 2
	s_add_u32 s4, s10, s4
	s_addc_u32 s5, s11, s5
	s_load_dword s34, s[4:5], 0x0
	s_and_b64 vcc, exec, s[42:43]
	s_cbranch_vccz .LBB32_26
; %bb.7:
	s_waitcnt lgkmcnt(0)
	s_ashr_i32 s35, s34, 31
	s_lshl_b64 s[4:5], s[34:35], 2
	s_add_u32 s4, s20, s4
	s_addc_u32 s5, s21, s5
	s_load_dwordx2 s[4:5], s[4:5], 0x0
	v_lshrrev_b32_e32 v6, 5, v0
	v_subrev_u32_e32 v6, s28, v6
	s_waitcnt lgkmcnt(0)
	s_sub_i32 s35, s5, s28
	v_add_u32_e32 v6, s4, v6
	v_cmp_gt_i32_e32 vcc, s35, v6
	s_and_saveexec_b64 s[4:5], vcc
	s_cbranch_execz .LBB32_25
; %bb.8:
	v_and_b32_e32 v7, 31, v0
	v_subrev_u32_e32 v16, s29, v7
	s_mov_b64 s[6:7], 0
	v_mov_b32_e32 v17, s23
	v_mov_b32_e32 v18, s27
	s_movk_i32 s23, 0x89
	s_branch .LBB32_10
.LBB32_9:                               ;   in Loop: Header=BB32_10 Depth=1
	s_or_b64 exec, exec, s[8:9]
	v_add_u32_e32 v6, 16, v6
	v_cmp_le_i32_e32 vcc, s35, v6
	s_or_b64 s[6:7], vcc, s[6:7]
	s_andn2_b64 exec, exec, s[6:7]
	s_cbranch_execz .LBB32_25
.LBB32_10:                              ; =>This Loop Header: Depth=1
                                        ;     Child Loop BB32_13 Depth 2
                                        ;       Child Loop BB32_15 Depth 3
	v_ashrrev_i32_e32 v7, 31, v6
	v_lshlrev_b64 v[8:9], 2, v[6:7]
	v_add_co_u32_e32 v8, vcc, s22, v8
	v_addc_co_u32_e32 v9, vcc, v17, v9, vcc
	global_load_dword v8, v[8:9], off
	s_waitcnt vmcnt(0)
	v_subrev_u32_e32 v8, s28, v8
	v_ashrrev_i32_e32 v9, 31, v8
	v_lshlrev_b64 v[8:9], 2, v[8:9]
	v_add_co_u32_e32 v8, vcc, s26, v8
	v_addc_co_u32_e32 v9, vcc, v18, v9, vcc
	global_load_dwordx2 v[8:9], v[8:9], off
	s_waitcnt vmcnt(0)
	v_subrev_u32_e32 v19, s29, v9
	v_add_u32_e32 v8, v8, v16
	v_cmp_lt_i32_e32 vcc, v8, v19
	s_and_saveexec_b64 s[8:9], vcc
	s_cbranch_execz .LBB32_9
; %bb.11:                               ;   in Loop: Header=BB32_10 Depth=1
	v_lshlrev_b64 v[10:11], 3, v[6:7]
	v_mov_b32_e32 v7, s25
	v_add_co_u32_e32 v10, vcc, s24, v10
	v_addc_co_u32_e32 v11, vcc, v7, v11, vcc
	global_load_dwordx2 v[10:11], v[10:11], off
	s_mov_b64 s[10:11], 0
	s_waitcnt vmcnt(0)
	v_mul_f64 v[10:11], v[4:5], v[10:11]
	s_branch .LBB32_13
.LBB32_12:                              ;   in Loop: Header=BB32_13 Depth=2
	s_or_b64 exec, exec, s[20:21]
	v_add_u32_e32 v8, 32, v8
	v_cmp_ge_i32_e32 vcc, v8, v19
	s_or_b64 s[10:11], vcc, s[10:11]
	s_andn2_b64 exec, exec, s[10:11]
	s_cbranch_execz .LBB32_9
.LBB32_13:                              ;   Parent Loop BB32_10 Depth=1
                                        ; =>  This Loop Header: Depth=2
                                        ;       Child Loop BB32_15 Depth 3
	v_ashrrev_i32_e32 v9, 31, v8
	v_lshlrev_b64 v[12:13], 2, v[8:9]
	v_mov_b32_e32 v7, s1
	v_add_co_u32_e32 v12, vcc, s0, v12
	v_addc_co_u32_e32 v13, vcc, v7, v13, vcc
	global_load_dword v7, v[12:13], off
	v_lshlrev_b64 v[12:13], 3, v[8:9]
	v_mov_b32_e32 v9, s3
	v_add_co_u32_e32 v12, vcc, s2, v12
	v_addc_co_u32_e32 v13, vcc, v9, v13, vcc
	global_load_dwordx2 v[12:13], v[12:13], off
	s_mov_b64 s[20:21], 0
	s_waitcnt vmcnt(1)
	v_subrev_u32_e32 v7, s29, v7
	v_mul_lo_u32 v9, v7, s23
	v_and_b32_e32 v9, 0x3ff, v9
	s_waitcnt vmcnt(0)
	v_mul_f64 v[12:13], v[10:11], v[12:13]
	s_branch .LBB32_15
.LBB32_14:                              ;   in Loop: Header=BB32_15 Depth=3
	s_or_b64 exec, exec, s[42:43]
	s_xor_b64 s[42:43], s[44:45], -1
	s_and_b64 s[42:43], exec, s[42:43]
	s_or_b64 s[20:21], s[42:43], s[20:21]
	s_andn2_b64 exec, exec, s[20:21]
	s_cbranch_execz .LBB32_12
.LBB32_15:                              ;   Parent Loop BB32_10 Depth=1
                                        ;     Parent Loop BB32_13 Depth=2
                                        ; =>    This Inner Loop Header: Depth=3
	v_lshl_add_u32 v20, v9, 2, 0
	ds_read_b32 v21, v20
                                        ; implicit-def: $sgpr44_sgpr45
	s_waitcnt lgkmcnt(0)
	v_cmp_ne_u32_e32 vcc, v21, v7
	s_and_saveexec_b64 s[42:43], vcc
	s_xor_b64 s[42:43], exec, s[42:43]
	s_cbranch_execz .LBB32_23
; %bb.16:                               ;   in Loop: Header=BB32_15 Depth=3
	v_cmp_ne_u32_e32 vcc, s33, v21
                                        ; implicit-def: $sgpr44_sgpr45
	s_and_saveexec_b64 s[46:47], vcc
	s_xor_b64 s[46:47], exec, s[46:47]
; %bb.17:                               ;   in Loop: Header=BB32_15 Depth=3
	v_add_u32_e32 v9, 1, v9
	v_and_b32_e32 v9, 0x3ff, v9
	s_mov_b64 s[44:45], -1
                                        ; implicit-def: $vgpr20
; %bb.18:                               ;   in Loop: Header=BB32_15 Depth=3
	s_andn2_saveexec_b64 s[46:47], s[46:47]
	s_cbranch_execz .LBB32_22
; %bb.19:                               ;   in Loop: Header=BB32_15 Depth=3
	v_mov_b32_e32 v21, s33
	ds_cmpst_rtn_b32 v21, v20, v21, v7
	s_mov_b64 s[48:49], -1
	s_waitcnt lgkmcnt(0)
	v_cmp_eq_u32_e32 vcc, s33, v21
	s_and_saveexec_b64 s[50:51], vcc
	s_cbranch_execz .LBB32_21
; %bb.20:                               ;   in Loop: Header=BB32_15 Depth=3
	v_lshl_add_u32 v20, v9, 2, v20
	ds_add_f64 v20, v[12:13] offset:4096
	s_xor_b64 s[48:49], exec, -1
.LBB32_21:                              ;   in Loop: Header=BB32_15 Depth=3
	s_or_b64 exec, exec, s[50:51]
	s_andn2_b64 s[44:45], s[44:45], exec
	s_and_b64 s[48:49], s[48:49], exec
	s_or_b64 s[44:45], s[44:45], s[48:49]
.LBB32_22:                              ;   in Loop: Header=BB32_15 Depth=3
	s_or_b64 exec, exec, s[46:47]
	s_and_b64 s[44:45], s[44:45], exec
                                        ; implicit-def: $vgpr20
.LBB32_23:                              ;   in Loop: Header=BB32_15 Depth=3
	s_andn2_saveexec_b64 s[42:43], s[42:43]
	s_cbranch_execz .LBB32_14
; %bb.24:                               ;   in Loop: Header=BB32_15 Depth=3
	v_lshl_add_u32 v20, v9, 2, v20
	ds_add_f64 v20, v[12:13] offset:4096
	s_andn2_b64 s[44:45], s[44:45], exec
	s_branch .LBB32_14
.LBB32_25:
	s_or_b64 exec, exec, s[4:5]
.LBB32_26:
	s_andn2_b64 vcc, exec, s[40:41]
	s_cbranch_vccnz .LBB32_43
; %bb.27:
	s_waitcnt lgkmcnt(0)
	s_ashr_i32 s35, s34, 31
	s_lshl_b64 s[0:1], s[34:35], 2
	s_add_u32 s0, s12, s0
	s_addc_u32 s1, s13, s1
	s_load_dwordx2 s[0:1], s[0:1], 0x0
	s_waitcnt vmcnt(0)
	v_subrev_u32_e32 v4, s31, v0
	s_waitcnt lgkmcnt(0)
	s_sub_i32 s22, s1, s31
	v_add_u32_e32 v4, s0, v4
	v_cmp_gt_i32_e32 vcc, s22, v4
	s_and_saveexec_b64 s[0:1], vcc
	s_cbranch_execz .LBB32_42
; %bb.28:
	s_mov_b64 s[2:3], 0
	v_mov_b32_e32 v8, s15
	v_mov_b32_e32 v9, s17
	s_movk_i32 s15, 0x89
	s_branch .LBB32_30
.LBB32_29:                              ;   in Loop: Header=BB32_30 Depth=1
	s_or_b64 exec, exec, s[4:5]
	v_add_u32_e32 v4, 0x200, v4
	v_cmp_le_i32_e32 vcc, s22, v4
	s_or_b64 s[2:3], vcc, s[2:3]
	s_andn2_b64 exec, exec, s[2:3]
	s_cbranch_execz .LBB32_42
.LBB32_30:                              ; =>This Loop Header: Depth=1
                                        ;     Child Loop BB32_32 Depth 2
	v_ashrrev_i32_e32 v5, 31, v4
	v_lshlrev_b64 v[6:7], 2, v[4:5]
	v_add_co_u32_e32 v6, vcc, s14, v6
	v_addc_co_u32_e32 v7, vcc, v8, v7, vcc
	global_load_dword v10, v[6:7], off
	v_lshlrev_b64 v[6:7], 3, v[4:5]
	v_add_co_u32_e32 v6, vcc, s16, v6
	v_addc_co_u32_e32 v7, vcc, v9, v7, vcc
	global_load_dwordx2 v[6:7], v[6:7], off
	s_mov_b64 s[4:5], 0
	s_waitcnt vmcnt(1)
	v_subrev_u32_e32 v5, s31, v10
	v_mul_lo_u32 v10, v5, s15
	v_and_b32_e32 v10, 0x3ff, v10
	s_waitcnt vmcnt(0)
	v_mul_f64 v[6:7], v[2:3], v[6:7]
	s_branch .LBB32_32
.LBB32_31:                              ;   in Loop: Header=BB32_32 Depth=2
	s_or_b64 exec, exec, s[6:7]
	s_xor_b64 s[6:7], s[8:9], -1
	s_and_b64 s[6:7], exec, s[6:7]
	s_or_b64 s[4:5], s[6:7], s[4:5]
	s_andn2_b64 exec, exec, s[4:5]
	s_cbranch_execz .LBB32_29
.LBB32_32:                              ;   Parent Loop BB32_30 Depth=1
                                        ; =>  This Inner Loop Header: Depth=2
	v_lshl_add_u32 v11, v10, 2, 0
	ds_read_b32 v12, v11
                                        ; implicit-def: $sgpr8_sgpr9
	s_waitcnt lgkmcnt(0)
	v_cmp_ne_u32_e32 vcc, v12, v5
	s_and_saveexec_b64 s[6:7], vcc
	s_xor_b64 s[6:7], exec, s[6:7]
	s_cbranch_execz .LBB32_40
; %bb.33:                               ;   in Loop: Header=BB32_32 Depth=2
	v_cmp_ne_u32_e32 vcc, s33, v12
                                        ; implicit-def: $sgpr8_sgpr9
	s_and_saveexec_b64 s[10:11], vcc
	s_xor_b64 s[10:11], exec, s[10:11]
; %bb.34:                               ;   in Loop: Header=BB32_32 Depth=2
	v_add_u32_e32 v10, 1, v10
	v_and_b32_e32 v10, 0x3ff, v10
	s_mov_b64 s[8:9], -1
                                        ; implicit-def: $vgpr11
; %bb.35:                               ;   in Loop: Header=BB32_32 Depth=2
	s_andn2_saveexec_b64 s[10:11], s[10:11]
	s_cbranch_execz .LBB32_39
; %bb.36:                               ;   in Loop: Header=BB32_32 Depth=2
	v_mov_b32_e32 v12, s33
	ds_cmpst_rtn_b32 v12, v11, v12, v5
	s_mov_b64 s[12:13], -1
	s_waitcnt lgkmcnt(0)
	v_cmp_eq_u32_e32 vcc, s33, v12
	s_and_saveexec_b64 s[20:21], vcc
	s_cbranch_execz .LBB32_38
; %bb.37:                               ;   in Loop: Header=BB32_32 Depth=2
	v_lshl_add_u32 v11, v10, 2, v11
	ds_add_f64 v11, v[6:7] offset:4096
	s_xor_b64 s[12:13], exec, -1
.LBB32_38:                              ;   in Loop: Header=BB32_32 Depth=2
	s_or_b64 exec, exec, s[20:21]
	s_andn2_b64 s[8:9], s[8:9], exec
	s_and_b64 s[12:13], s[12:13], exec
	s_or_b64 s[8:9], s[8:9], s[12:13]
.LBB32_39:                              ;   in Loop: Header=BB32_32 Depth=2
	s_or_b64 exec, exec, s[10:11]
	s_and_b64 s[8:9], s[8:9], exec
                                        ; implicit-def: $vgpr11
.LBB32_40:                              ;   in Loop: Header=BB32_32 Depth=2
	s_andn2_saveexec_b64 s[6:7], s[6:7]
	s_cbranch_execz .LBB32_31
; %bb.41:                               ;   in Loop: Header=BB32_32 Depth=2
	v_lshl_add_u32 v11, v10, 2, v11
	ds_add_f64 v11, v[6:7] offset:4096
	s_andn2_b64 s[8:9], s[8:9], exec
	s_branch .LBB32_31
.LBB32_42:
	s_or_b64 exec, exec, s[0:1]
.LBB32_43:
	s_waitcnt vmcnt(0)
	v_mbcnt_lo_u32_b32 v2, -1, 0
	v_mbcnt_hi_u32_b32 v2, -1, v2
	v_lshrrev_b32_e32 v4, 4, v0
	v_sub_u32_e32 v2, 63, v2
	v_and_b32_e32 v4, 28, v4
	s_movk_i32 s0, 0x1ff
	s_movk_i32 s4, 0x7f
	s_movk_i32 s6, 0xbf
	s_movk_i32 s8, 0xff
	s_movk_i32 s10, 0x13f
	s_movk_i32 s12, 0x17f
	s_movk_i32 s14, 0x1bf
	v_mov_b32_e32 v6, 0
	v_lshrrev_b64 v[2:3], v2, -1
	v_add_u32_e32 v7, 0, v4
	v_cmp_eq_u32_e64 s[0:1], s0, v0
	v_cmp_lt_u32_e64 s[2:3], 63, v0
	v_cmp_lt_u32_e64 s[4:5], s4, v0
	;; [unrolled: 1-line block ×7, first 2 shown]
	s_mov_b64 s[16:17], 0
	v_mov_b32_e32 v8, 0
	s_waitcnt lgkmcnt(0)
	s_barrier
	s_branch .LBB32_45
.LBB32_44:                              ;   in Loop: Header=BB32_45 Depth=1
	s_or_b64 exec, exec, s[20:21]
	s_waitcnt lgkmcnt(0)
	s_barrier
	ds_read_b32 v4, v6 offset:12316
	v_add_co_u32_e32 v14, vcc, 0x200, v14
	s_xor_b64 s[20:21], vcc, -1
	s_and_b64 s[20:21], exec, s[20:21]
	v_add_u32_e32 v1, 0x1000, v1
	s_waitcnt lgkmcnt(0)
	v_add_u32_e32 v8, v4, v8
	s_or_b64 s[16:17], s[20:21], s[16:17]
	v_add_u32_e32 v15, 0x800, v15
	s_andn2_b64 exec, exec, s[16:17]
	s_cbranch_execz .LBB32_63
.LBB32_45:                              ; =>This Inner Loop Header: Depth=1
	ds_read_b32 v9, v15
	ds_read_b64 v[4:5], v1
	s_waitcnt lgkmcnt(0)
	s_barrier
	v_cmp_gt_i32_e32 vcc, s33, v9
	v_and_b32_e32 v11, vcc_lo, v2
	s_bcnt1_i32_b64 s20, vcc
	v_and_b32_e32 v10, vcc_hi, v3
	v_bcnt_u32_b32 v11, v11, 0
	v_bcnt_u32_b32 v10, v10, v11
	v_mov_b32_e32 v11, s20
	ds_write_b32 v7, v11 offset:12288
	s_waitcnt lgkmcnt(0)
	s_barrier
	s_and_saveexec_b64 s[20:21], s[2:3]
	s_cbranch_execnz .LBB32_54
; %bb.46:                               ;   in Loop: Header=BB32_45 Depth=1
	s_or_b64 exec, exec, s[20:21]
	s_and_saveexec_b64 s[20:21], s[4:5]
	s_cbranch_execnz .LBB32_55
.LBB32_47:                              ;   in Loop: Header=BB32_45 Depth=1
	s_or_b64 exec, exec, s[20:21]
	s_and_saveexec_b64 s[20:21], s[6:7]
	s_cbranch_execnz .LBB32_56
.LBB32_48:                              ;   in Loop: Header=BB32_45 Depth=1
	s_or_b64 exec, exec, s[20:21]
	s_and_saveexec_b64 s[20:21], s[8:9]
	s_cbranch_execnz .LBB32_57
.LBB32_49:                              ;   in Loop: Header=BB32_45 Depth=1
	s_or_b64 exec, exec, s[20:21]
	s_and_saveexec_b64 s[20:21], s[10:11]
	s_cbranch_execnz .LBB32_58
.LBB32_50:                              ;   in Loop: Header=BB32_45 Depth=1
	s_or_b64 exec, exec, s[20:21]
	s_and_saveexec_b64 s[20:21], s[12:13]
	s_cbranch_execnz .LBB32_59
.LBB32_51:                              ;   in Loop: Header=BB32_45 Depth=1
	s_or_b64 exec, exec, s[20:21]
	s_and_saveexec_b64 s[20:21], s[14:15]
	s_cbranch_execnz .LBB32_60
.LBB32_52:                              ;   in Loop: Header=BB32_45 Depth=1
	s_or_b64 exec, exec, s[20:21]
	s_and_saveexec_b64 s[20:21], vcc
	s_cbranch_execnz .LBB32_61
.LBB32_53:                              ;   in Loop: Header=BB32_45 Depth=1
	s_or_b64 exec, exec, s[20:21]
	s_and_saveexec_b64 s[20:21], s[0:1]
	s_cbranch_execz .LBB32_44
	s_branch .LBB32_62
.LBB32_54:                              ;   in Loop: Header=BB32_45 Depth=1
	ds_read_b32 v11, v6 offset:12288
	s_waitcnt lgkmcnt(0)
	v_add_u32_e32 v10, v11, v10
	s_or_b64 exec, exec, s[20:21]
	s_and_saveexec_b64 s[20:21], s[4:5]
	s_cbranch_execz .LBB32_47
.LBB32_55:                              ;   in Loop: Header=BB32_45 Depth=1
	ds_read_b32 v11, v6 offset:12292
	s_waitcnt lgkmcnt(0)
	v_add_u32_e32 v10, v11, v10
	s_or_b64 exec, exec, s[20:21]
	s_and_saveexec_b64 s[20:21], s[6:7]
	s_cbranch_execz .LBB32_48
.LBB32_56:                              ;   in Loop: Header=BB32_45 Depth=1
	ds_read_b32 v11, v6 offset:12296
	s_waitcnt lgkmcnt(0)
	v_add_u32_e32 v10, v11, v10
	s_or_b64 exec, exec, s[20:21]
	s_and_saveexec_b64 s[20:21], s[8:9]
	s_cbranch_execz .LBB32_49
.LBB32_57:                              ;   in Loop: Header=BB32_45 Depth=1
	ds_read_b32 v11, v6 offset:12300
	s_waitcnt lgkmcnt(0)
	v_add_u32_e32 v10, v11, v10
	s_or_b64 exec, exec, s[20:21]
	s_and_saveexec_b64 s[20:21], s[10:11]
	s_cbranch_execz .LBB32_50
.LBB32_58:                              ;   in Loop: Header=BB32_45 Depth=1
	ds_read_b32 v11, v6 offset:12304
	s_waitcnt lgkmcnt(0)
	v_add_u32_e32 v10, v11, v10
	s_or_b64 exec, exec, s[20:21]
	s_and_saveexec_b64 s[20:21], s[12:13]
	s_cbranch_execz .LBB32_51
.LBB32_59:                              ;   in Loop: Header=BB32_45 Depth=1
	ds_read_b32 v11, v6 offset:12308
	s_waitcnt lgkmcnt(0)
	v_add_u32_e32 v10, v11, v10
	s_or_b64 exec, exec, s[20:21]
	s_and_saveexec_b64 s[20:21], s[14:15]
	s_cbranch_execz .LBB32_52
.LBB32_60:                              ;   in Loop: Header=BB32_45 Depth=1
	ds_read_b32 v11, v6 offset:12312
	s_waitcnt lgkmcnt(0)
	v_add_u32_e32 v10, v11, v10
	s_or_b64 exec, exec, s[20:21]
	s_and_saveexec_b64 s[20:21], vcc
	s_cbranch_execz .LBB32_53
.LBB32_61:                              ;   in Loop: Header=BB32_45 Depth=1
	v_add3_u32 v11, v8, -1, v10
	v_lshl_add_u32 v12, v11, 2, 0
	v_lshl_add_u32 v11, v11, 3, 0
	ds_write_b32 v12, v9
	ds_write_b64 v11, v[4:5] offset:4096
	s_or_b64 exec, exec, s[20:21]
	s_and_saveexec_b64 s[20:21], s[0:1]
	s_cbranch_execz .LBB32_44
.LBB32_62:                              ;   in Loop: Header=BB32_45 Depth=1
	ds_write_b32 v6, v10 offset:12316
	s_branch .LBB32_44
.LBB32_63:
	s_or_b64 exec, exec, s[16:17]
	s_ashr_i32 s35, s34, 31
	s_lshl_b64 s[0:1], s[34:35], 2
	s_add_u32 s0, s18, s0
	s_addc_u32 s1, s19, s1
	s_load_dwordx2 s[0:1], s[0:1], 0x0
	s_waitcnt lgkmcnt(0)
	s_sub_i32 s14, s1, s0
	v_cmp_gt_i32_e32 vcc, s14, v0
	s_and_saveexec_b64 s[2:3], vcc
	s_cbranch_execz .LBB32_78
; %bb.64:
	s_sub_i32 s6, s0, s30
	s_add_i32 s0, s14, -2
	s_lshr_b32 s1, s0, 1
	s_add_i32 s2, s1, 1
	s_cmp_gt_u32 s14, 1
	s_cselect_b64 s[8:9], -1, 0
	s_and_b32 s15, s14, -2
	s_and_b32 s4, s2, 7
	s_cmp_gt_u32 s0, 13
	s_cselect_b64 s[0:1], -1, 0
	s_and_b32 s16, s2, -8
	s_cmp_lg_u32 s4, 0
	s_cselect_b64 s[2:3], -1, 0
	v_cndmask_b32_e64 v1, 0, 1, s[0:1]
	s_cmp_lg_u32 s14, s15
	v_cmp_ne_u32_e64 s[0:1], 1, v1
	v_cndmask_b32_e64 v1, 0, 1, s[2:3]
	s_mov_b32 s7, 0
	s_cselect_b64 s[10:11], -1, 0
	s_lshl_b32 s17, s4, 3
	s_mov_b64 s[12:13], 0
	v_cmp_ne_u32_e64 s[2:3], 1, v1
	v_mov_b32_e32 v1, s37
	v_mov_b32_e32 v6, s39
	s_branch .LBB32_66
.LBB32_65:                              ;   in Loop: Header=BB32_66 Depth=1
	v_ashrrev_i32_e32 v5, 31, v4
	v_lshlrev_b64 v[8:9], 2, v[4:5]
	v_add_co_u32_e32 v8, vcc, s36, v8
	v_addc_co_u32_e32 v9, vcc, v1, v9, vcc
	v_lshlrev_b64 v[4:5], 3, v[4:5]
	v_add_co_u32_e32 v4, vcc, s38, v4
	v_addc_co_u32_e32 v5, vcc, v6, v5, vcc
	v_add_u32_e32 v0, 0x200, v0
	v_cmp_le_i32_e32 vcc, s14, v0
	s_waitcnt lgkmcnt(1)
	v_add_u32_e32 v7, s30, v7
	s_or_b64 s[12:13], vcc, s[12:13]
	global_store_dword v[8:9], v7, off
	s_waitcnt lgkmcnt(0)
	global_store_dwordx2 v[4:5], v[2:3], off
	s_andn2_b64 exec, exec, s[12:13]
	s_cbranch_execz .LBB32_78
.LBB32_66:                              ; =>This Loop Header: Depth=1
                                        ;     Child Loop BB32_69 Depth 2
                                        ;     Child Loop BB32_74 Depth 2
	;; [unrolled: 1-line block ×3, first 2 shown]
	v_lshlrev_b32_e32 v2, 2, v0
	v_add_u32_e32 v3, 0, v2
	v_add_u32_e32 v2, v3, v2
	ds_read_b32 v7, v3
	ds_read_b64 v[2:3], v2 offset:4096
	s_and_b64 vcc, exec, s[8:9]
	s_cbranch_vccz .LBB32_71
; %bb.67:                               ;   in Loop: Header=BB32_66 Depth=1
	s_and_b64 vcc, exec, s[0:1]
	s_cbranch_vccnz .LBB32_72
; %bb.68:                               ;   in Loop: Header=BB32_66 Depth=1
	s_mov_b32 s19, 0
	v_mov_b32_e32 v4, s6
	v_mov_b32_e32 v5, 0
	s_mov_b32 s20, s16
	s_mov_b32 s18, 0
.LBB32_69:                              ;   Parent Loop BB32_66 Depth=1
                                        ; =>  This Inner Loop Header: Depth=2
	v_mov_b32_e32 v22, s19
	ds_read2_b32 v[8:9], v22 offset1:1
	ds_read2_b32 v[10:11], v22 offset0:2 offset1:3
	ds_read2_b32 v[12:13], v22 offset0:4 offset1:5
	;; [unrolled: 1-line block ×7, first 2 shown]
	s_waitcnt lgkmcnt(7)
	v_cmp_gt_i32_e32 vcc, v7, v9
	v_cndmask_b32_e64 v9, 0, 1, vcc
	v_cmp_gt_i32_e32 vcc, v7, v8
	s_waitcnt lgkmcnt(5)
	v_cmp_gt_i32_e64 s[4:5], v7, v12
	v_cndmask_b32_e64 v8, 0, 1, vcc
	v_cmp_gt_i32_e32 vcc, v7, v11
	v_cndmask_b32_e64 v11, 0, 1, s[4:5]
	v_cmp_gt_i32_e64 s[4:5], v7, v13
	v_cndmask_b32_e64 v12, 0, 1, s[4:5]
	s_waitcnt lgkmcnt(3)
	v_cmp_gt_i32_e64 s[4:5], v7, v17
	v_cndmask_b32_e64 v13, 0, 1, s[4:5]
	v_cmp_gt_i32_e64 s[4:5], v7, v16
	v_cndmask_b32_e64 v16, 0, 1, s[4:5]
	s_waitcnt lgkmcnt(1)
	v_cmp_gt_i32_e64 s[4:5], v7, v20
	v_cndmask_b32_e64 v17, 0, 1, s[4:5]
	v_cmp_gt_i32_e64 s[4:5], v7, v21
	v_cndmask_b32_e64 v20, 0, 1, s[4:5]
	v_cmp_gt_i32_e64 s[4:5], v7, v10
	v_addc_co_u32_e64 v4, s[4:5], v4, v8, s[4:5]
	v_addc_co_u32_e32 v5, vcc, v5, v9, vcc
	v_cmp_gt_i32_e32 vcc, v7, v14
	v_cmp_gt_i32_e64 s[4:5], v7, v15
	v_addc_co_u32_e64 v5, s[4:5], v5, v12, s[4:5]
	v_addc_co_u32_e32 v4, vcc, v4, v11, vcc
	v_cmp_gt_i32_e32 vcc, v7, v19
	v_cmp_gt_i32_e64 s[4:5], v7, v18
	v_addc_co_u32_e64 v4, s[4:5], v4, v16, s[4:5]
	v_addc_co_u32_e32 v5, vcc, v5, v13, vcc
	s_add_i32 s18, s18, 16
	s_add_i32 s19, s19, 64
	s_add_i32 s20, s20, -8
	s_waitcnt lgkmcnt(0)
	v_cmp_gt_i32_e32 vcc, v7, v22
	v_cmp_gt_i32_e64 s[4:5], v7, v23
	s_cmp_lg_u32 s20, 0
	v_addc_co_u32_e64 v5, s[4:5], v5, v20, s[4:5]
	v_addc_co_u32_e32 v4, vcc, v4, v17, vcc
	s_cbranch_scc1 .LBB32_69
; %bb.70:                               ;   in Loop: Header=BB32_66 Depth=1
	s_and_b64 vcc, exec, s[2:3]
	s_cbranch_vccz .LBB32_73
	s_branch .LBB32_75
.LBB32_71:                              ;   in Loop: Header=BB32_66 Depth=1
	v_mov_b32_e32 v4, s6
	s_mov_b32 s18, 0
	s_cbranch_execz .LBB32_65
	s_branch .LBB32_76
.LBB32_72:                              ;   in Loop: Header=BB32_66 Depth=1
	v_pk_mov_b32 v[4:5], s[6:7], s[6:7] op_sel:[0,1]
	s_mov_b32 s18, 0
	s_and_b64 vcc, exec, s[2:3]
	s_cbranch_vccnz .LBB32_75
.LBB32_73:                              ;   in Loop: Header=BB32_66 Depth=1
	s_lshl_b32 s4, s18, 2
	s_add_i32 s4, s4, 0
	s_mov_b32 s5, s17
.LBB32_74:                              ;   Parent Loop BB32_66 Depth=1
                                        ; =>  This Inner Loop Header: Depth=2
	v_mov_b32_e32 v8, s4
	ds_read2_b32 v[8:9], v8 offset1:1
	s_add_i32 s4, s4, 8
	s_add_i32 s5, s5, -8
	s_cmp_lg_u32 s5, 0
	s_waitcnt lgkmcnt(0)
	v_cmp_gt_i32_e32 vcc, v7, v9
	v_addc_co_u32_e32 v5, vcc, 0, v5, vcc
	v_cmp_gt_i32_e32 vcc, v7, v8
	v_addc_co_u32_e32 v4, vcc, 0, v4, vcc
	s_cbranch_scc1 .LBB32_74
.LBB32_75:                              ;   in Loop: Header=BB32_66 Depth=1
	v_add_u32_e32 v4, v4, v5
	s_mov_b32 s18, s15
	s_mov_b64 s[4:5], s[10:11]
	s_and_b64 vcc, exec, s[4:5]
	s_cbranch_vccz .LBB32_65
.LBB32_76:                              ;   in Loop: Header=BB32_66 Depth=1
	s_lshl_b32 s4, s18, 2
	s_add_i32 s4, s4, 0
.LBB32_77:                              ;   Parent Loop BB32_66 Depth=1
                                        ; =>  This Inner Loop Header: Depth=2
	v_mov_b32_e32 v5, s4
	ds_read_b32 v5, v5
	s_add_i32 s18, s18, 1
	s_add_i32 s4, s4, 4
	s_cmp_ge_i32 s18, s14
	s_waitcnt lgkmcnt(0)
	v_cmp_gt_i32_e32 vcc, v7, v5
	v_addc_co_u32_e32 v4, vcc, 0, v4, vcc
	s_cbranch_scc0 .LBB32_77
	s_branch .LBB32_65
.LBB32_78:
	s_endpgm
	.section	.rodata,"a",@progbits
	.p2align	6, 0x0
	.amdhsa_kernel _ZN9rocsparseL26csrgemm_fill_block_per_rowILj512ELj32ELj1024ELj137ELj64EiidEEvT5_PKS1_S3_NS_24const_host_device_scalarIT6_EEPKT4_S3_PKS5_S9_S3_SB_S6_S9_S3_SB_S9_PS1_PS5_21rocsparse_index_base_SE_SE_SE_bbb
		.amdhsa_group_segment_fixed_size 0
		.amdhsa_private_segment_fixed_size 0
		.amdhsa_kernarg_size 156
		.amdhsa_user_sgpr_count 6
		.amdhsa_user_sgpr_private_segment_buffer 1
		.amdhsa_user_sgpr_dispatch_ptr 0
		.amdhsa_user_sgpr_queue_ptr 0
		.amdhsa_user_sgpr_kernarg_segment_ptr 1
		.amdhsa_user_sgpr_dispatch_id 0
		.amdhsa_user_sgpr_flat_scratch_init 0
		.amdhsa_user_sgpr_kernarg_preload_length 0
		.amdhsa_user_sgpr_kernarg_preload_offset 0
		.amdhsa_user_sgpr_private_segment_size 0
		.amdhsa_uses_dynamic_stack 0
		.amdhsa_system_sgpr_private_segment_wavefront_offset 0
		.amdhsa_system_sgpr_workgroup_id_x 1
		.amdhsa_system_sgpr_workgroup_id_y 0
		.amdhsa_system_sgpr_workgroup_id_z 0
		.amdhsa_system_sgpr_workgroup_info 0
		.amdhsa_system_vgpr_workitem_id 0
		.amdhsa_next_free_vgpr 24
		.amdhsa_next_free_sgpr 52
		.amdhsa_accum_offset 24
		.amdhsa_reserve_vcc 1
		.amdhsa_reserve_flat_scratch 0
		.amdhsa_float_round_mode_32 0
		.amdhsa_float_round_mode_16_64 0
		.amdhsa_float_denorm_mode_32 3
		.amdhsa_float_denorm_mode_16_64 3
		.amdhsa_dx10_clamp 1
		.amdhsa_ieee_mode 1
		.amdhsa_fp16_overflow 0
		.amdhsa_tg_split 0
		.amdhsa_exception_fp_ieee_invalid_op 0
		.amdhsa_exception_fp_denorm_src 0
		.amdhsa_exception_fp_ieee_div_zero 0
		.amdhsa_exception_fp_ieee_overflow 0
		.amdhsa_exception_fp_ieee_underflow 0
		.amdhsa_exception_fp_ieee_inexact 0
		.amdhsa_exception_int_div_zero 0
	.end_amdhsa_kernel
	.section	.text._ZN9rocsparseL26csrgemm_fill_block_per_rowILj512ELj32ELj1024ELj137ELj64EiidEEvT5_PKS1_S3_NS_24const_host_device_scalarIT6_EEPKT4_S3_PKS5_S9_S3_SB_S6_S9_S3_SB_S9_PS1_PS5_21rocsparse_index_base_SE_SE_SE_bbb,"axG",@progbits,_ZN9rocsparseL26csrgemm_fill_block_per_rowILj512ELj32ELj1024ELj137ELj64EiidEEvT5_PKS1_S3_NS_24const_host_device_scalarIT6_EEPKT4_S3_PKS5_S9_S3_SB_S6_S9_S3_SB_S9_PS1_PS5_21rocsparse_index_base_SE_SE_SE_bbb,comdat
.Lfunc_end32:
	.size	_ZN9rocsparseL26csrgemm_fill_block_per_rowILj512ELj32ELj1024ELj137ELj64EiidEEvT5_PKS1_S3_NS_24const_host_device_scalarIT6_EEPKT4_S3_PKS5_S9_S3_SB_S6_S9_S3_SB_S9_PS1_PS5_21rocsparse_index_base_SE_SE_SE_bbb, .Lfunc_end32-_ZN9rocsparseL26csrgemm_fill_block_per_rowILj512ELj32ELj1024ELj137ELj64EiidEEvT5_PKS1_S3_NS_24const_host_device_scalarIT6_EEPKT4_S3_PKS5_S9_S3_SB_S6_S9_S3_SB_S9_PS1_PS5_21rocsparse_index_base_SE_SE_SE_bbb
                                        ; -- End function
	.section	.AMDGPU.csdata,"",@progbits
; Kernel info:
; codeLenInByte = 2904
; NumSgprs: 56
; NumVgprs: 24
; NumAgprs: 0
; TotalNumVgprs: 24
; ScratchSize: 0
; MemoryBound: 0
; FloatMode: 240
; IeeeMode: 1
; LDSByteSize: 0 bytes/workgroup (compile time only)
; SGPRBlocks: 6
; VGPRBlocks: 2
; NumSGPRsForWavesPerEU: 56
; NumVGPRsForWavesPerEU: 24
; AccumOffset: 24
; Occupancy: 8
; WaveLimiterHint : 1
; COMPUTE_PGM_RSRC2:SCRATCH_EN: 0
; COMPUTE_PGM_RSRC2:USER_SGPR: 6
; COMPUTE_PGM_RSRC2:TRAP_HANDLER: 0
; COMPUTE_PGM_RSRC2:TGID_X_EN: 1
; COMPUTE_PGM_RSRC2:TGID_Y_EN: 0
; COMPUTE_PGM_RSRC2:TGID_Z_EN: 0
; COMPUTE_PGM_RSRC2:TIDIG_COMP_CNT: 0
; COMPUTE_PGM_RSRC3_GFX90A:ACCUM_OFFSET: 5
; COMPUTE_PGM_RSRC3_GFX90A:TG_SPLIT: 0
	.section	.text._ZN9rocsparseL26csrgemm_fill_block_per_rowILj1024ELj32ELj2048ELj137ELj32EiidEEvT5_PKS1_S3_NS_24const_host_device_scalarIT6_EEPKT4_S3_PKS5_S9_S3_SB_S6_S9_S3_SB_S9_PS1_PS5_21rocsparse_index_base_SE_SE_SE_bbb,"axG",@progbits,_ZN9rocsparseL26csrgemm_fill_block_per_rowILj1024ELj32ELj2048ELj137ELj32EiidEEvT5_PKS1_S3_NS_24const_host_device_scalarIT6_EEPKT4_S3_PKS5_S9_S3_SB_S6_S9_S3_SB_S9_PS1_PS5_21rocsparse_index_base_SE_SE_SE_bbb,comdat
	.globl	_ZN9rocsparseL26csrgemm_fill_block_per_rowILj1024ELj32ELj2048ELj137ELj32EiidEEvT5_PKS1_S3_NS_24const_host_device_scalarIT6_EEPKT4_S3_PKS5_S9_S3_SB_S6_S9_S3_SB_S9_PS1_PS5_21rocsparse_index_base_SE_SE_SE_bbb ; -- Begin function _ZN9rocsparseL26csrgemm_fill_block_per_rowILj1024ELj32ELj2048ELj137ELj32EiidEEvT5_PKS1_S3_NS_24const_host_device_scalarIT6_EEPKT4_S3_PKS5_S9_S3_SB_S6_S9_S3_SB_S9_PS1_PS5_21rocsparse_index_base_SE_SE_SE_bbb
	.p2align	8
	.type	_ZN9rocsparseL26csrgemm_fill_block_per_rowILj1024ELj32ELj2048ELj137ELj32EiidEEvT5_PKS1_S3_NS_24const_host_device_scalarIT6_EEPKT4_S3_PKS5_S9_S3_SB_S6_S9_S3_SB_S9_PS1_PS5_21rocsparse_index_base_SE_SE_SE_bbb,@function
_ZN9rocsparseL26csrgemm_fill_block_per_rowILj1024ELj32ELj2048ELj137ELj32EiidEEvT5_PKS1_S3_NS_24const_host_device_scalarIT6_EEPKT4_S3_PKS5_S9_S3_SB_S6_S9_S3_SB_S9_PS1_PS5_21rocsparse_index_base_SE_SE_SE_bbb: ; @_ZN9rocsparseL26csrgemm_fill_block_per_rowILj1024ELj32ELj2048ELj137ELj32EiidEEvT5_PKS1_S3_NS_24const_host_device_scalarIT6_EEPKT4_S3_PKS5_S9_S3_SB_S6_S9_S3_SB_S9_PS1_PS5_21rocsparse_index_base_SE_SE_SE_bbb
; %bb.0:
	s_load_dword s7, s[4:5], 0x98
	s_load_dwordx4 s[68:71], s[4:5], 0x88
	s_load_dwordx2 s[0:1], s[4:5], 0x18
	s_load_dwordx2 s[24:25], s[4:5], 0x50
	s_waitcnt lgkmcnt(0)
	s_and_b32 s2, 1, s7
	s_bitcmp1_b32 s7, 16
	s_cselect_b64 s[26:27], -1, 0
	s_cmp_eq_u32 s2, 1
	s_cselect_b64 s[22:23], -1, 0
	s_and_b64 s[2:3], s[22:23], exec
	s_cselect_b32 s3, s1, 0
	s_cselect_b32 s2, s0, 0
	s_xor_b64 s[8:9], s[22:23], -1
	s_or_b64 s[8:9], s[8:9], s[26:27]
	s_and_b64 vcc, exec, s[8:9]
	v_pk_mov_b32 v[4:5], s[2:3], s[2:3] op_sel:[0,1]
	s_cbranch_vccnz .LBB33_2
; %bb.1:
	v_pk_mov_b32 v[2:3], s[0:1], s[0:1] op_sel:[0,1]
	flat_load_dwordx2 v[4:5], v[2:3]
.LBB33_2:
	s_load_dwordx4 s[72:75], s[4:5], 0x78
	s_load_dwordx8 s[60:67], s[4:5], 0x58
	s_load_dwordx4 s[0:3], s[4:5], 0x40
	s_load_dwordx4 s[16:19], s[4:5], 0x8
	s_load_dwordx8 s[8:15], s[4:5], 0x20
	s_bitcmp1_b32 s7, 8
	s_cselect_b64 s[20:21], -1, 0
	s_and_b64 s[28:29], s[20:21], exec
	s_cselect_b32 s29, s25, 0
	s_cselect_b32 s28, s24, 0
	s_xor_b64 s[30:31], s[20:21], -1
	s_or_b64 s[26:27], s[30:31], s[26:27]
	s_and_b64 vcc, exec, s[26:27]
	v_pk_mov_b32 v[2:3], s[28:29], s[28:29] op_sel:[0,1]
	s_cbranch_vccnz .LBB33_4
; %bb.3:
	v_pk_mov_b32 v[2:3], s[24:25], s[24:25] op_sel:[0,1]
	flat_load_dwordx2 v[2:3], v[2:3]
.LBB33_4:
	s_load_dword s33, s[4:5], 0x0
	v_lshl_add_u32 v1, v0, 3, 0
	v_mov_b32_e32 v6, 0
	v_add_u32_e32 v1, 0x2000, v1
	v_or_b32_e32 v14, 0xfffffc00, v0
	v_lshl_add_u32 v15, v0, 2, 0
	s_mov_b64 s[4:5], 0
	s_waitcnt lgkmcnt(0)
	v_mov_b32_e32 v8, s33
	v_mov_b32_e32 v7, v6
	;; [unrolled: 1-line block ×5, first 2 shown]
.LBB33_5:                               ; =>This Inner Loop Header: Depth=1
	v_add_co_u32_e32 v10, vcc, 0x400, v10
	s_xor_b64 s[24:25], vcc, -1
	s_and_b64 s[24:25], exec, s[24:25]
	ds_write_b32 v9, v8
	ds_write_b64 v11, v[6:7]
	v_add_u32_e32 v11, 0x2000, v11
	s_or_b64 s[4:5], s[24:25], s[4:5]
	v_add_u32_e32 v9, 0x1000, v9
	s_andn2_b64 exec, exec, s[4:5]
	s_cbranch_execnz .LBB33_5
; %bb.6:
	s_or_b64 exec, exec, s[4:5]
	s_waitcnt lgkmcnt(0)
	s_barrier
	s_load_dword s4, s[16:17], 0x0
	s_mov_b32 s5, 0
	v_lshrrev_b32_e32 v16, 5, v0
	s_waitcnt lgkmcnt(0)
	s_add_i32 s4, s4, s6
	s_lshl_b64 s[4:5], s[4:5], 2
	s_add_u32 s4, s18, s4
	s_addc_u32 s5, s19, s5
	s_load_dword s76, s[4:5], 0x0
	s_and_b64 vcc, exec, s[22:23]
	s_cbranch_vccz .LBB33_26
; %bb.7:
	s_waitcnt lgkmcnt(0)
	s_ashr_i32 s77, s76, 31
	s_lshl_b64 s[4:5], s[76:77], 2
	s_add_u32 s4, s8, s4
	s_addc_u32 s5, s9, s5
	s_load_dwordx2 s[4:5], s[4:5], 0x0
	v_subrev_u32_e32 v6, s68, v16
	s_waitcnt lgkmcnt(0)
	s_sub_i32 s34, s5, s68
	v_add_u32_e32 v6, s4, v6
	v_cmp_gt_i32_e32 vcc, s34, v6
	s_and_saveexec_b64 s[4:5], vcc
	s_cbranch_execz .LBB33_25
; %bb.8:
	v_and_b32_e32 v7, 31, v0
	v_subrev_u32_e32 v17, s69, v7
	s_mov_b64 s[6:7], 0
	v_mov_b32_e32 v18, s11
	v_mov_b32_e32 v19, s15
	s_movk_i32 s11, 0x89
	s_branch .LBB33_10
.LBB33_9:                               ;   in Loop: Header=BB33_10 Depth=1
	s_or_b64 exec, exec, s[8:9]
	v_add_u32_e32 v6, 32, v6
	v_cmp_le_i32_e32 vcc, s34, v6
	s_or_b64 s[6:7], vcc, s[6:7]
	s_andn2_b64 exec, exec, s[6:7]
	s_cbranch_execz .LBB33_25
.LBB33_10:                              ; =>This Loop Header: Depth=1
                                        ;     Child Loop BB33_13 Depth 2
                                        ;       Child Loop BB33_15 Depth 3
	v_ashrrev_i32_e32 v7, 31, v6
	v_lshlrev_b64 v[8:9], 2, v[6:7]
	v_add_co_u32_e32 v8, vcc, s10, v8
	v_addc_co_u32_e32 v9, vcc, v18, v9, vcc
	global_load_dword v8, v[8:9], off
	s_waitcnt vmcnt(0)
	v_subrev_u32_e32 v8, s68, v8
	v_ashrrev_i32_e32 v9, 31, v8
	v_lshlrev_b64 v[8:9], 2, v[8:9]
	v_add_co_u32_e32 v8, vcc, s14, v8
	v_addc_co_u32_e32 v9, vcc, v19, v9, vcc
	global_load_dwordx2 v[8:9], v[8:9], off
	s_waitcnt vmcnt(0)
	v_subrev_u32_e32 v20, s69, v9
	v_add_u32_e32 v8, v8, v17
	v_cmp_lt_i32_e32 vcc, v8, v20
	s_and_saveexec_b64 s[8:9], vcc
	s_cbranch_execz .LBB33_9
; %bb.11:                               ;   in Loop: Header=BB33_10 Depth=1
	v_lshlrev_b64 v[10:11], 3, v[6:7]
	v_mov_b32_e32 v7, s13
	v_add_co_u32_e32 v10, vcc, s12, v10
	v_addc_co_u32_e32 v11, vcc, v7, v11, vcc
	global_load_dwordx2 v[10:11], v[10:11], off
	s_mov_b64 s[16:17], 0
	s_waitcnt vmcnt(0)
	v_mul_f64 v[10:11], v[4:5], v[10:11]
	s_branch .LBB33_13
.LBB33_12:                              ;   in Loop: Header=BB33_13 Depth=2
	s_or_b64 exec, exec, s[18:19]
	v_add_u32_e32 v8, 32, v8
	v_cmp_ge_i32_e32 vcc, v8, v20
	s_or_b64 s[16:17], vcc, s[16:17]
	s_andn2_b64 exec, exec, s[16:17]
	s_cbranch_execz .LBB33_9
.LBB33_13:                              ;   Parent Loop BB33_10 Depth=1
                                        ; =>  This Loop Header: Depth=2
                                        ;       Child Loop BB33_15 Depth 3
	v_ashrrev_i32_e32 v9, 31, v8
	v_lshlrev_b64 v[12:13], 2, v[8:9]
	v_mov_b32_e32 v7, s1
	v_add_co_u32_e32 v12, vcc, s0, v12
	v_addc_co_u32_e32 v13, vcc, v7, v13, vcc
	global_load_dword v7, v[12:13], off
	v_lshlrev_b64 v[12:13], 3, v[8:9]
	v_mov_b32_e32 v9, s3
	v_add_co_u32_e32 v12, vcc, s2, v12
	v_addc_co_u32_e32 v13, vcc, v9, v13, vcc
	global_load_dwordx2 v[12:13], v[12:13], off
	s_mov_b64 s[18:19], 0
	s_waitcnt vmcnt(1)
	v_subrev_u32_e32 v7, s69, v7
	v_mul_lo_u32 v9, v7, s11
	v_and_b32_e32 v9, 0x7ff, v9
	s_waitcnt vmcnt(0)
	v_mul_f64 v[12:13], v[10:11], v[12:13]
	s_branch .LBB33_15
.LBB33_14:                              ;   in Loop: Header=BB33_15 Depth=3
	s_or_b64 exec, exec, s[22:23]
	s_xor_b64 s[22:23], s[24:25], -1
	s_and_b64 s[22:23], exec, s[22:23]
	s_or_b64 s[18:19], s[22:23], s[18:19]
	s_andn2_b64 exec, exec, s[18:19]
	s_cbranch_execz .LBB33_12
.LBB33_15:                              ;   Parent Loop BB33_10 Depth=1
                                        ;     Parent Loop BB33_13 Depth=2
                                        ; =>    This Inner Loop Header: Depth=3
	v_lshl_add_u32 v21, v9, 2, 0
	ds_read_b32 v22, v21
                                        ; implicit-def: $sgpr24_sgpr25
	s_waitcnt lgkmcnt(0)
	v_cmp_ne_u32_e32 vcc, v22, v7
	s_and_saveexec_b64 s[22:23], vcc
	s_xor_b64 s[22:23], exec, s[22:23]
	s_cbranch_execz .LBB33_23
; %bb.16:                               ;   in Loop: Header=BB33_15 Depth=3
	v_cmp_ne_u32_e32 vcc, s33, v22
                                        ; implicit-def: $sgpr24_sgpr25
	s_and_saveexec_b64 s[26:27], vcc
	s_xor_b64 s[26:27], exec, s[26:27]
; %bb.17:                               ;   in Loop: Header=BB33_15 Depth=3
	v_add_u32_e32 v9, 1, v9
	v_and_b32_e32 v9, 0x7ff, v9
	s_mov_b64 s[24:25], -1
                                        ; implicit-def: $vgpr21
; %bb.18:                               ;   in Loop: Header=BB33_15 Depth=3
	s_andn2_saveexec_b64 s[26:27], s[26:27]
	s_cbranch_execz .LBB33_22
; %bb.19:                               ;   in Loop: Header=BB33_15 Depth=3
	v_mov_b32_e32 v22, s33
	ds_cmpst_rtn_b32 v22, v21, v22, v7
	s_mov_b64 s[28:29], -1
	s_waitcnt lgkmcnt(0)
	v_cmp_eq_u32_e32 vcc, s33, v22
	s_and_saveexec_b64 s[30:31], vcc
	s_cbranch_execz .LBB33_21
; %bb.20:                               ;   in Loop: Header=BB33_15 Depth=3
	v_lshl_add_u32 v21, v9, 2, v21
	ds_add_f64 v21, v[12:13] offset:8192
	s_xor_b64 s[28:29], exec, -1
.LBB33_21:                              ;   in Loop: Header=BB33_15 Depth=3
	s_or_b64 exec, exec, s[30:31]
	s_andn2_b64 s[24:25], s[24:25], exec
	s_and_b64 s[28:29], s[28:29], exec
	s_or_b64 s[24:25], s[24:25], s[28:29]
.LBB33_22:                              ;   in Loop: Header=BB33_15 Depth=3
	s_or_b64 exec, exec, s[26:27]
	s_and_b64 s[24:25], s[24:25], exec
                                        ; implicit-def: $vgpr21
.LBB33_23:                              ;   in Loop: Header=BB33_15 Depth=3
	s_andn2_saveexec_b64 s[22:23], s[22:23]
	s_cbranch_execz .LBB33_14
; %bb.24:                               ;   in Loop: Header=BB33_15 Depth=3
	v_lshl_add_u32 v21, v9, 2, v21
	ds_add_f64 v21, v[12:13] offset:8192
	s_andn2_b64 s[24:25], s[24:25], exec
	s_branch .LBB33_14
.LBB33_25:
	s_or_b64 exec, exec, s[4:5]
.LBB33_26:
	s_andn2_b64 vcc, exec, s[20:21]
	s_cbranch_vccnz .LBB33_43
; %bb.27:
	s_waitcnt lgkmcnt(0)
	s_ashr_i32 s77, s76, 31
	s_lshl_b64 s[0:1], s[76:77], 2
	s_add_u32 s0, s60, s0
	s_addc_u32 s1, s61, s1
	s_load_dwordx2 s[0:1], s[0:1], 0x0
	s_waitcnt vmcnt(0)
	v_subrev_u32_e32 v4, s71, v0
	s_waitcnt lgkmcnt(0)
	s_sub_i32 s16, s1, s71
	v_add_u32_e32 v4, s0, v4
	v_cmp_gt_i32_e32 vcc, s16, v4
	s_and_saveexec_b64 s[0:1], vcc
	s_cbranch_execz .LBB33_42
; %bb.28:
	s_mov_b64 s[2:3], 0
	v_mov_b32_e32 v8, s63
	v_mov_b32_e32 v9, s65
	s_movk_i32 s17, 0x89
	s_branch .LBB33_30
.LBB33_29:                              ;   in Loop: Header=BB33_30 Depth=1
	s_or_b64 exec, exec, s[4:5]
	v_add_u32_e32 v4, 0x400, v4
	v_cmp_le_i32_e32 vcc, s16, v4
	s_or_b64 s[2:3], vcc, s[2:3]
	s_andn2_b64 exec, exec, s[2:3]
	s_cbranch_execz .LBB33_42
.LBB33_30:                              ; =>This Loop Header: Depth=1
                                        ;     Child Loop BB33_32 Depth 2
	v_ashrrev_i32_e32 v5, 31, v4
	v_lshlrev_b64 v[6:7], 2, v[4:5]
	v_add_co_u32_e32 v6, vcc, s62, v6
	v_addc_co_u32_e32 v7, vcc, v8, v7, vcc
	global_load_dword v10, v[6:7], off
	v_lshlrev_b64 v[6:7], 3, v[4:5]
	v_add_co_u32_e32 v6, vcc, s64, v6
	v_addc_co_u32_e32 v7, vcc, v9, v7, vcc
	global_load_dwordx2 v[6:7], v[6:7], off
	s_mov_b64 s[4:5], 0
	s_waitcnt vmcnt(1)
	v_subrev_u32_e32 v5, s71, v10
	v_mul_lo_u32 v10, v5, s17
	v_and_b32_e32 v10, 0x7ff, v10
	s_waitcnt vmcnt(0)
	v_mul_f64 v[6:7], v[2:3], v[6:7]
	s_branch .LBB33_32
.LBB33_31:                              ;   in Loop: Header=BB33_32 Depth=2
	s_or_b64 exec, exec, s[6:7]
	s_xor_b64 s[6:7], s[8:9], -1
	s_and_b64 s[6:7], exec, s[6:7]
	s_or_b64 s[4:5], s[6:7], s[4:5]
	s_andn2_b64 exec, exec, s[4:5]
	s_cbranch_execz .LBB33_29
.LBB33_32:                              ;   Parent Loop BB33_30 Depth=1
                                        ; =>  This Inner Loop Header: Depth=2
	v_lshl_add_u32 v11, v10, 2, 0
	ds_read_b32 v12, v11
                                        ; implicit-def: $sgpr8_sgpr9
	s_waitcnt lgkmcnt(0)
	v_cmp_ne_u32_e32 vcc, v12, v5
	s_and_saveexec_b64 s[6:7], vcc
	s_xor_b64 s[6:7], exec, s[6:7]
	s_cbranch_execz .LBB33_40
; %bb.33:                               ;   in Loop: Header=BB33_32 Depth=2
	v_cmp_ne_u32_e32 vcc, s33, v12
                                        ; implicit-def: $sgpr8_sgpr9
	s_and_saveexec_b64 s[10:11], vcc
	s_xor_b64 s[10:11], exec, s[10:11]
; %bb.34:                               ;   in Loop: Header=BB33_32 Depth=2
	v_add_u32_e32 v10, 1, v10
	v_and_b32_e32 v10, 0x7ff, v10
	s_mov_b64 s[8:9], -1
                                        ; implicit-def: $vgpr11
; %bb.35:                               ;   in Loop: Header=BB33_32 Depth=2
	s_andn2_saveexec_b64 s[10:11], s[10:11]
	s_cbranch_execz .LBB33_39
; %bb.36:                               ;   in Loop: Header=BB33_32 Depth=2
	v_mov_b32_e32 v12, s33
	ds_cmpst_rtn_b32 v12, v11, v12, v5
	s_mov_b64 s[12:13], -1
	s_waitcnt lgkmcnt(0)
	v_cmp_eq_u32_e32 vcc, s33, v12
	s_and_saveexec_b64 s[14:15], vcc
	s_cbranch_execz .LBB33_38
; %bb.37:                               ;   in Loop: Header=BB33_32 Depth=2
	v_lshl_add_u32 v11, v10, 2, v11
	ds_add_f64 v11, v[6:7] offset:8192
	s_xor_b64 s[12:13], exec, -1
.LBB33_38:                              ;   in Loop: Header=BB33_32 Depth=2
	s_or_b64 exec, exec, s[14:15]
	s_andn2_b64 s[8:9], s[8:9], exec
	s_and_b64 s[12:13], s[12:13], exec
	s_or_b64 s[8:9], s[8:9], s[12:13]
.LBB33_39:                              ;   in Loop: Header=BB33_32 Depth=2
	s_or_b64 exec, exec, s[10:11]
	s_and_b64 s[8:9], s[8:9], exec
                                        ; implicit-def: $vgpr11
.LBB33_40:                              ;   in Loop: Header=BB33_32 Depth=2
	s_andn2_saveexec_b64 s[6:7], s[6:7]
	s_cbranch_execz .LBB33_31
; %bb.41:                               ;   in Loop: Header=BB33_32 Depth=2
	v_lshl_add_u32 v11, v10, 2, v11
	ds_add_f64 v11, v[6:7] offset:8192
	s_andn2_b64 s[8:9], s[8:9], exec
	s_branch .LBB33_31
.LBB33_42:
	s_or_b64 exec, exec, s[0:1]
.LBB33_43:
	s_waitcnt vmcnt(0)
	v_mbcnt_lo_u32_b32 v2, -1, 0
	v_mbcnt_hi_u32_b32 v2, -1, v2
	v_sub_u32_e32 v2, 63, v2
	s_movk_i32 s0, 0x3ff
	s_movk_i32 s6, 0x5f
	;; [unrolled: 1-line block ×30, first 2 shown]
	v_mov_b32_e32 v6, 0
	v_lshrrev_b64 v[2:3], v2, -1
	v_lshl_add_u32 v7, v16, 2, 0
	v_cmp_eq_u32_e64 s[0:1], s0, v0
	v_cmp_lt_u32_e64 s[2:3], 31, v0
	v_cmp_lt_u32_e64 s[4:5], 63, v0
	;; [unrolled: 1-line block ×31, first 2 shown]
	s_mov_b64 s[68:69], 0
	v_mov_b32_e32 v8, 0
	s_waitcnt lgkmcnt(0)
	s_barrier
	s_branch .LBB33_45
.LBB33_44:                              ;   in Loop: Header=BB33_45 Depth=1
	s_or_b64 exec, exec, s[78:79]
	s_waitcnt lgkmcnt(0)
	s_barrier
	ds_read_b32 v4, v6 offset:24700
	v_add_co_u32_e32 v14, vcc, 0x400, v14
	s_xor_b64 s[78:79], vcc, -1
	s_and_b64 s[78:79], exec, s[78:79]
	v_add_u32_e32 v1, 0x2000, v1
	s_waitcnt lgkmcnt(0)
	v_add_u32_e32 v8, v4, v8
	s_or_b64 s[68:69], s[78:79], s[68:69]
	v_add_u32_e32 v15, 0x1000, v15
	s_andn2_b64 exec, exec, s[68:69]
	s_cbranch_execz .LBB33_111
.LBB33_45:                              ; =>This Inner Loop Header: Depth=1
	ds_read_b32 v9, v15
	ds_read_b64 v[4:5], v1
	s_waitcnt lgkmcnt(0)
	s_barrier
	v_cmp_gt_i32_e32 vcc, s33, v9
	v_and_b32_e32 v11, vcc_lo, v2
	s_bcnt1_i32_b64 s71, vcc
	v_and_b32_e32 v10, vcc_hi, v3
	v_bcnt_u32_b32 v11, v11, 0
	v_bcnt_u32_b32 v10, v10, v11
	v_mov_b32_e32 v11, s71
	ds_write_b32 v7, v11 offset:24576
	s_waitcnt lgkmcnt(0)
	s_barrier
	s_and_saveexec_b64 s[78:79], s[2:3]
	s_cbranch_execnz .LBB33_78
; %bb.46:                               ;   in Loop: Header=BB33_45 Depth=1
	s_or_b64 exec, exec, s[78:79]
	s_and_saveexec_b64 s[78:79], s[4:5]
	s_cbranch_execnz .LBB33_79
.LBB33_47:                              ;   in Loop: Header=BB33_45 Depth=1
	s_or_b64 exec, exec, s[78:79]
	s_and_saveexec_b64 s[78:79], s[6:7]
	s_cbranch_execnz .LBB33_80
.LBB33_48:                              ;   in Loop: Header=BB33_45 Depth=1
	s_or_b64 exec, exec, s[78:79]
	s_and_saveexec_b64 s[78:79], s[8:9]
	s_cbranch_execnz .LBB33_81
.LBB33_49:                              ;   in Loop: Header=BB33_45 Depth=1
	s_or_b64 exec, exec, s[78:79]
	s_and_saveexec_b64 s[78:79], s[10:11]
	s_cbranch_execnz .LBB33_82
.LBB33_50:                              ;   in Loop: Header=BB33_45 Depth=1
	s_or_b64 exec, exec, s[78:79]
	s_and_saveexec_b64 s[78:79], s[12:13]
	s_cbranch_execnz .LBB33_83
.LBB33_51:                              ;   in Loop: Header=BB33_45 Depth=1
	s_or_b64 exec, exec, s[78:79]
	s_and_saveexec_b64 s[78:79], s[14:15]
	s_cbranch_execnz .LBB33_84
.LBB33_52:                              ;   in Loop: Header=BB33_45 Depth=1
	s_or_b64 exec, exec, s[78:79]
	s_and_saveexec_b64 s[78:79], s[16:17]
	s_cbranch_execnz .LBB33_85
.LBB33_53:                              ;   in Loop: Header=BB33_45 Depth=1
	s_or_b64 exec, exec, s[78:79]
	s_and_saveexec_b64 s[78:79], s[18:19]
	s_cbranch_execnz .LBB33_86
.LBB33_54:                              ;   in Loop: Header=BB33_45 Depth=1
	s_or_b64 exec, exec, s[78:79]
	s_and_saveexec_b64 s[78:79], s[20:21]
	s_cbranch_execnz .LBB33_87
.LBB33_55:                              ;   in Loop: Header=BB33_45 Depth=1
	s_or_b64 exec, exec, s[78:79]
	s_and_saveexec_b64 s[78:79], s[22:23]
	s_cbranch_execnz .LBB33_88
.LBB33_56:                              ;   in Loop: Header=BB33_45 Depth=1
	s_or_b64 exec, exec, s[78:79]
	s_and_saveexec_b64 s[78:79], s[24:25]
	s_cbranch_execnz .LBB33_89
.LBB33_57:                              ;   in Loop: Header=BB33_45 Depth=1
	s_or_b64 exec, exec, s[78:79]
	s_and_saveexec_b64 s[78:79], s[26:27]
	s_cbranch_execnz .LBB33_90
.LBB33_58:                              ;   in Loop: Header=BB33_45 Depth=1
	s_or_b64 exec, exec, s[78:79]
	s_and_saveexec_b64 s[78:79], s[28:29]
	s_cbranch_execnz .LBB33_91
.LBB33_59:                              ;   in Loop: Header=BB33_45 Depth=1
	s_or_b64 exec, exec, s[78:79]
	s_and_saveexec_b64 s[78:79], s[30:31]
	s_cbranch_execnz .LBB33_92
.LBB33_60:                              ;   in Loop: Header=BB33_45 Depth=1
	s_or_b64 exec, exec, s[78:79]
	s_and_saveexec_b64 s[78:79], s[34:35]
	s_cbranch_execnz .LBB33_93
.LBB33_61:                              ;   in Loop: Header=BB33_45 Depth=1
	s_or_b64 exec, exec, s[78:79]
	s_and_saveexec_b64 s[78:79], s[36:37]
	s_cbranch_execnz .LBB33_94
.LBB33_62:                              ;   in Loop: Header=BB33_45 Depth=1
	s_or_b64 exec, exec, s[78:79]
	s_and_saveexec_b64 s[78:79], s[38:39]
	s_cbranch_execnz .LBB33_95
.LBB33_63:                              ;   in Loop: Header=BB33_45 Depth=1
	s_or_b64 exec, exec, s[78:79]
	s_and_saveexec_b64 s[78:79], s[40:41]
	s_cbranch_execnz .LBB33_96
.LBB33_64:                              ;   in Loop: Header=BB33_45 Depth=1
	s_or_b64 exec, exec, s[78:79]
	s_and_saveexec_b64 s[78:79], s[42:43]
	s_cbranch_execnz .LBB33_97
.LBB33_65:                              ;   in Loop: Header=BB33_45 Depth=1
	s_or_b64 exec, exec, s[78:79]
	s_and_saveexec_b64 s[78:79], s[44:45]
	s_cbranch_execnz .LBB33_98
.LBB33_66:                              ;   in Loop: Header=BB33_45 Depth=1
	s_or_b64 exec, exec, s[78:79]
	s_and_saveexec_b64 s[78:79], s[46:47]
	s_cbranch_execnz .LBB33_99
.LBB33_67:                              ;   in Loop: Header=BB33_45 Depth=1
	s_or_b64 exec, exec, s[78:79]
	s_and_saveexec_b64 s[78:79], s[48:49]
	s_cbranch_execnz .LBB33_100
.LBB33_68:                              ;   in Loop: Header=BB33_45 Depth=1
	s_or_b64 exec, exec, s[78:79]
	s_and_saveexec_b64 s[78:79], s[50:51]
	s_cbranch_execnz .LBB33_101
.LBB33_69:                              ;   in Loop: Header=BB33_45 Depth=1
	s_or_b64 exec, exec, s[78:79]
	s_and_saveexec_b64 s[78:79], s[52:53]
	s_cbranch_execnz .LBB33_102
.LBB33_70:                              ;   in Loop: Header=BB33_45 Depth=1
	s_or_b64 exec, exec, s[78:79]
	s_and_saveexec_b64 s[78:79], s[54:55]
	s_cbranch_execnz .LBB33_103
.LBB33_71:                              ;   in Loop: Header=BB33_45 Depth=1
	s_or_b64 exec, exec, s[78:79]
	s_and_saveexec_b64 s[78:79], s[56:57]
	s_cbranch_execnz .LBB33_104
.LBB33_72:                              ;   in Loop: Header=BB33_45 Depth=1
	s_or_b64 exec, exec, s[78:79]
	s_and_saveexec_b64 s[78:79], s[58:59]
	s_cbranch_execnz .LBB33_105
.LBB33_73:                              ;   in Loop: Header=BB33_45 Depth=1
	s_or_b64 exec, exec, s[78:79]
	s_and_saveexec_b64 s[78:79], s[60:61]
	s_cbranch_execnz .LBB33_106
.LBB33_74:                              ;   in Loop: Header=BB33_45 Depth=1
	s_or_b64 exec, exec, s[78:79]
	s_and_saveexec_b64 s[78:79], s[62:63]
	s_cbranch_execnz .LBB33_107
.LBB33_75:                              ;   in Loop: Header=BB33_45 Depth=1
	s_or_b64 exec, exec, s[78:79]
	s_and_saveexec_b64 s[78:79], s[64:65]
	s_cbranch_execnz .LBB33_108
.LBB33_76:                              ;   in Loop: Header=BB33_45 Depth=1
	s_or_b64 exec, exec, s[78:79]
	s_and_saveexec_b64 s[78:79], vcc
	s_cbranch_execnz .LBB33_109
.LBB33_77:                              ;   in Loop: Header=BB33_45 Depth=1
	s_or_b64 exec, exec, s[78:79]
	s_and_saveexec_b64 s[78:79], s[0:1]
	s_cbranch_execz .LBB33_44
	s_branch .LBB33_110
.LBB33_78:                              ;   in Loop: Header=BB33_45 Depth=1
	ds_read_b32 v11, v6 offset:24576
	s_waitcnt lgkmcnt(0)
	v_add_u32_e32 v10, v11, v10
	s_or_b64 exec, exec, s[78:79]
	s_and_saveexec_b64 s[78:79], s[4:5]
	s_cbranch_execz .LBB33_47
.LBB33_79:                              ;   in Loop: Header=BB33_45 Depth=1
	ds_read_b32 v11, v6 offset:24580
	s_waitcnt lgkmcnt(0)
	v_add_u32_e32 v10, v11, v10
	s_or_b64 exec, exec, s[78:79]
	s_and_saveexec_b64 s[78:79], s[6:7]
	s_cbranch_execz .LBB33_48
.LBB33_80:                              ;   in Loop: Header=BB33_45 Depth=1
	ds_read_b32 v11, v6 offset:24584
	s_waitcnt lgkmcnt(0)
	v_add_u32_e32 v10, v11, v10
	s_or_b64 exec, exec, s[78:79]
	s_and_saveexec_b64 s[78:79], s[8:9]
	s_cbranch_execz .LBB33_49
.LBB33_81:                              ;   in Loop: Header=BB33_45 Depth=1
	ds_read_b32 v11, v6 offset:24588
	s_waitcnt lgkmcnt(0)
	v_add_u32_e32 v10, v11, v10
	s_or_b64 exec, exec, s[78:79]
	s_and_saveexec_b64 s[78:79], s[10:11]
	s_cbranch_execz .LBB33_50
.LBB33_82:                              ;   in Loop: Header=BB33_45 Depth=1
	ds_read_b32 v11, v6 offset:24592
	s_waitcnt lgkmcnt(0)
	v_add_u32_e32 v10, v11, v10
	s_or_b64 exec, exec, s[78:79]
	s_and_saveexec_b64 s[78:79], s[12:13]
	s_cbranch_execz .LBB33_51
.LBB33_83:                              ;   in Loop: Header=BB33_45 Depth=1
	ds_read_b32 v11, v6 offset:24596
	s_waitcnt lgkmcnt(0)
	v_add_u32_e32 v10, v11, v10
	s_or_b64 exec, exec, s[78:79]
	s_and_saveexec_b64 s[78:79], s[14:15]
	s_cbranch_execz .LBB33_52
.LBB33_84:                              ;   in Loop: Header=BB33_45 Depth=1
	ds_read_b32 v11, v6 offset:24600
	s_waitcnt lgkmcnt(0)
	v_add_u32_e32 v10, v11, v10
	s_or_b64 exec, exec, s[78:79]
	s_and_saveexec_b64 s[78:79], s[16:17]
	s_cbranch_execz .LBB33_53
.LBB33_85:                              ;   in Loop: Header=BB33_45 Depth=1
	ds_read_b32 v11, v6 offset:24604
	s_waitcnt lgkmcnt(0)
	v_add_u32_e32 v10, v11, v10
	s_or_b64 exec, exec, s[78:79]
	s_and_saveexec_b64 s[78:79], s[18:19]
	s_cbranch_execz .LBB33_54
.LBB33_86:                              ;   in Loop: Header=BB33_45 Depth=1
	ds_read_b32 v11, v6 offset:24608
	s_waitcnt lgkmcnt(0)
	v_add_u32_e32 v10, v11, v10
	s_or_b64 exec, exec, s[78:79]
	s_and_saveexec_b64 s[78:79], s[20:21]
	s_cbranch_execz .LBB33_55
.LBB33_87:                              ;   in Loop: Header=BB33_45 Depth=1
	ds_read_b32 v11, v6 offset:24612
	s_waitcnt lgkmcnt(0)
	v_add_u32_e32 v10, v11, v10
	s_or_b64 exec, exec, s[78:79]
	s_and_saveexec_b64 s[78:79], s[22:23]
	s_cbranch_execz .LBB33_56
.LBB33_88:                              ;   in Loop: Header=BB33_45 Depth=1
	ds_read_b32 v11, v6 offset:24616
	s_waitcnt lgkmcnt(0)
	v_add_u32_e32 v10, v11, v10
	s_or_b64 exec, exec, s[78:79]
	s_and_saveexec_b64 s[78:79], s[24:25]
	s_cbranch_execz .LBB33_57
.LBB33_89:                              ;   in Loop: Header=BB33_45 Depth=1
	ds_read_b32 v11, v6 offset:24620
	s_waitcnt lgkmcnt(0)
	v_add_u32_e32 v10, v11, v10
	s_or_b64 exec, exec, s[78:79]
	s_and_saveexec_b64 s[78:79], s[26:27]
	s_cbranch_execz .LBB33_58
.LBB33_90:                              ;   in Loop: Header=BB33_45 Depth=1
	ds_read_b32 v11, v6 offset:24624
	s_waitcnt lgkmcnt(0)
	v_add_u32_e32 v10, v11, v10
	s_or_b64 exec, exec, s[78:79]
	s_and_saveexec_b64 s[78:79], s[28:29]
	s_cbranch_execz .LBB33_59
.LBB33_91:                              ;   in Loop: Header=BB33_45 Depth=1
	ds_read_b32 v11, v6 offset:24628
	s_waitcnt lgkmcnt(0)
	v_add_u32_e32 v10, v11, v10
	s_or_b64 exec, exec, s[78:79]
	s_and_saveexec_b64 s[78:79], s[30:31]
	s_cbranch_execz .LBB33_60
.LBB33_92:                              ;   in Loop: Header=BB33_45 Depth=1
	ds_read_b32 v11, v6 offset:24632
	s_waitcnt lgkmcnt(0)
	v_add_u32_e32 v10, v11, v10
	s_or_b64 exec, exec, s[78:79]
	s_and_saveexec_b64 s[78:79], s[34:35]
	s_cbranch_execz .LBB33_61
.LBB33_93:                              ;   in Loop: Header=BB33_45 Depth=1
	ds_read_b32 v11, v6 offset:24636
	s_waitcnt lgkmcnt(0)
	v_add_u32_e32 v10, v11, v10
	s_or_b64 exec, exec, s[78:79]
	s_and_saveexec_b64 s[78:79], s[36:37]
	s_cbranch_execz .LBB33_62
.LBB33_94:                              ;   in Loop: Header=BB33_45 Depth=1
	ds_read_b32 v11, v6 offset:24640
	s_waitcnt lgkmcnt(0)
	v_add_u32_e32 v10, v11, v10
	s_or_b64 exec, exec, s[78:79]
	s_and_saveexec_b64 s[78:79], s[38:39]
	s_cbranch_execz .LBB33_63
.LBB33_95:                              ;   in Loop: Header=BB33_45 Depth=1
	ds_read_b32 v11, v6 offset:24644
	s_waitcnt lgkmcnt(0)
	v_add_u32_e32 v10, v11, v10
	s_or_b64 exec, exec, s[78:79]
	s_and_saveexec_b64 s[78:79], s[40:41]
	s_cbranch_execz .LBB33_64
.LBB33_96:                              ;   in Loop: Header=BB33_45 Depth=1
	ds_read_b32 v11, v6 offset:24648
	s_waitcnt lgkmcnt(0)
	v_add_u32_e32 v10, v11, v10
	s_or_b64 exec, exec, s[78:79]
	s_and_saveexec_b64 s[78:79], s[42:43]
	s_cbranch_execz .LBB33_65
.LBB33_97:                              ;   in Loop: Header=BB33_45 Depth=1
	ds_read_b32 v11, v6 offset:24652
	s_waitcnt lgkmcnt(0)
	v_add_u32_e32 v10, v11, v10
	s_or_b64 exec, exec, s[78:79]
	s_and_saveexec_b64 s[78:79], s[44:45]
	s_cbranch_execz .LBB33_66
.LBB33_98:                              ;   in Loop: Header=BB33_45 Depth=1
	ds_read_b32 v11, v6 offset:24656
	s_waitcnt lgkmcnt(0)
	v_add_u32_e32 v10, v11, v10
	s_or_b64 exec, exec, s[78:79]
	s_and_saveexec_b64 s[78:79], s[46:47]
	s_cbranch_execz .LBB33_67
.LBB33_99:                              ;   in Loop: Header=BB33_45 Depth=1
	ds_read_b32 v11, v6 offset:24660
	s_waitcnt lgkmcnt(0)
	v_add_u32_e32 v10, v11, v10
	s_or_b64 exec, exec, s[78:79]
	s_and_saveexec_b64 s[78:79], s[48:49]
	s_cbranch_execz .LBB33_68
.LBB33_100:                             ;   in Loop: Header=BB33_45 Depth=1
	ds_read_b32 v11, v6 offset:24664
	s_waitcnt lgkmcnt(0)
	v_add_u32_e32 v10, v11, v10
	s_or_b64 exec, exec, s[78:79]
	s_and_saveexec_b64 s[78:79], s[50:51]
	s_cbranch_execz .LBB33_69
.LBB33_101:                             ;   in Loop: Header=BB33_45 Depth=1
	ds_read_b32 v11, v6 offset:24668
	s_waitcnt lgkmcnt(0)
	v_add_u32_e32 v10, v11, v10
	s_or_b64 exec, exec, s[78:79]
	s_and_saveexec_b64 s[78:79], s[52:53]
	s_cbranch_execz .LBB33_70
.LBB33_102:                             ;   in Loop: Header=BB33_45 Depth=1
	ds_read_b32 v11, v6 offset:24672
	s_waitcnt lgkmcnt(0)
	v_add_u32_e32 v10, v11, v10
	s_or_b64 exec, exec, s[78:79]
	s_and_saveexec_b64 s[78:79], s[54:55]
	s_cbranch_execz .LBB33_71
.LBB33_103:                             ;   in Loop: Header=BB33_45 Depth=1
	ds_read_b32 v11, v6 offset:24676
	s_waitcnt lgkmcnt(0)
	v_add_u32_e32 v10, v11, v10
	s_or_b64 exec, exec, s[78:79]
	s_and_saveexec_b64 s[78:79], s[56:57]
	s_cbranch_execz .LBB33_72
.LBB33_104:                             ;   in Loop: Header=BB33_45 Depth=1
	ds_read_b32 v11, v6 offset:24680
	s_waitcnt lgkmcnt(0)
	v_add_u32_e32 v10, v11, v10
	s_or_b64 exec, exec, s[78:79]
	s_and_saveexec_b64 s[78:79], s[58:59]
	s_cbranch_execz .LBB33_73
.LBB33_105:                             ;   in Loop: Header=BB33_45 Depth=1
	ds_read_b32 v11, v6 offset:24684
	s_waitcnt lgkmcnt(0)
	v_add_u32_e32 v10, v11, v10
	s_or_b64 exec, exec, s[78:79]
	s_and_saveexec_b64 s[78:79], s[60:61]
	s_cbranch_execz .LBB33_74
.LBB33_106:                             ;   in Loop: Header=BB33_45 Depth=1
	ds_read_b32 v11, v6 offset:24688
	s_waitcnt lgkmcnt(0)
	v_add_u32_e32 v10, v11, v10
	s_or_b64 exec, exec, s[78:79]
	s_and_saveexec_b64 s[78:79], s[62:63]
	s_cbranch_execz .LBB33_75
.LBB33_107:                             ;   in Loop: Header=BB33_45 Depth=1
	ds_read_b32 v11, v6 offset:24692
	s_waitcnt lgkmcnt(0)
	v_add_u32_e32 v10, v11, v10
	s_or_b64 exec, exec, s[78:79]
	s_and_saveexec_b64 s[78:79], s[64:65]
	s_cbranch_execz .LBB33_76
.LBB33_108:                             ;   in Loop: Header=BB33_45 Depth=1
	ds_read_b32 v11, v6 offset:24696
	s_waitcnt lgkmcnt(0)
	v_add_u32_e32 v10, v11, v10
	s_or_b64 exec, exec, s[78:79]
	s_and_saveexec_b64 s[78:79], vcc
	s_cbranch_execz .LBB33_77
.LBB33_109:                             ;   in Loop: Header=BB33_45 Depth=1
	v_add3_u32 v11, v8, -1, v10
	v_lshl_add_u32 v12, v11, 2, 0
	v_lshl_add_u32 v11, v11, 3, 0
	ds_write_b32 v12, v9
	ds_write_b64 v11, v[4:5] offset:8192
	s_or_b64 exec, exec, s[78:79]
	s_and_saveexec_b64 s[78:79], s[0:1]
	s_cbranch_execz .LBB33_44
.LBB33_110:                             ;   in Loop: Header=BB33_45 Depth=1
	ds_write_b32 v6, v10 offset:24700
	s_branch .LBB33_44
.LBB33_111:
	s_or_b64 exec, exec, s[68:69]
	s_ashr_i32 s77, s76, 31
	s_lshl_b64 s[0:1], s[76:77], 2
	s_add_u32 s0, s66, s0
	s_addc_u32 s1, s67, s1
	s_load_dwordx2 s[0:1], s[0:1], 0x0
	s_waitcnt lgkmcnt(0)
	s_sub_i32 s14, s1, s0
	v_cmp_gt_i32_e32 vcc, s14, v0
	s_and_saveexec_b64 s[2:3], vcc
	s_cbranch_execz .LBB33_126
; %bb.112:
	s_sub_i32 s6, s0, s70
	s_add_i32 s0, s14, -2
	s_lshr_b32 s1, s0, 1
	s_add_i32 s2, s1, 1
	s_cmp_gt_u32 s14, 1
	s_cselect_b64 s[8:9], -1, 0
	s_and_b32 s15, s14, -2
	s_and_b32 s4, s2, 7
	s_cmp_gt_u32 s0, 13
	s_cselect_b64 s[0:1], -1, 0
	s_and_b32 s16, s2, -8
	s_cmp_lg_u32 s4, 0
	s_cselect_b64 s[2:3], -1, 0
	v_cndmask_b32_e64 v1, 0, 1, s[0:1]
	s_cmp_lg_u32 s14, s15
	v_cmp_ne_u32_e64 s[0:1], 1, v1
	v_cndmask_b32_e64 v1, 0, 1, s[2:3]
	s_mov_b32 s7, 0
	s_cselect_b64 s[10:11], -1, 0
	s_lshl_b32 s17, s4, 3
	s_mov_b64 s[12:13], 0
	v_cmp_ne_u32_e64 s[2:3], 1, v1
	v_mov_b32_e32 v1, s73
	v_mov_b32_e32 v6, s75
	s_branch .LBB33_114
.LBB33_113:                             ;   in Loop: Header=BB33_114 Depth=1
	v_ashrrev_i32_e32 v5, 31, v4
	v_lshlrev_b64 v[8:9], 2, v[4:5]
	v_add_co_u32_e32 v8, vcc, s72, v8
	v_addc_co_u32_e32 v9, vcc, v1, v9, vcc
	v_lshlrev_b64 v[4:5], 3, v[4:5]
	v_add_co_u32_e32 v4, vcc, s74, v4
	v_addc_co_u32_e32 v5, vcc, v6, v5, vcc
	v_add_u32_e32 v0, 0x400, v0
	v_cmp_le_i32_e32 vcc, s14, v0
	s_waitcnt lgkmcnt(1)
	v_add_u32_e32 v7, s70, v7
	s_or_b64 s[12:13], vcc, s[12:13]
	global_store_dword v[8:9], v7, off
	s_waitcnt lgkmcnt(0)
	global_store_dwordx2 v[4:5], v[2:3], off
	s_andn2_b64 exec, exec, s[12:13]
	s_cbranch_execz .LBB33_126
.LBB33_114:                             ; =>This Loop Header: Depth=1
                                        ;     Child Loop BB33_117 Depth 2
                                        ;     Child Loop BB33_122 Depth 2
	;; [unrolled: 1-line block ×3, first 2 shown]
	v_lshlrev_b32_e32 v2, 2, v0
	v_add_u32_e32 v3, 0, v2
	v_add_u32_e32 v2, v3, v2
	ds_read_b32 v7, v3
	ds_read_b64 v[2:3], v2 offset:8192
	s_and_b64 vcc, exec, s[8:9]
	s_cbranch_vccz .LBB33_119
; %bb.115:                              ;   in Loop: Header=BB33_114 Depth=1
	s_and_b64 vcc, exec, s[0:1]
	s_cbranch_vccnz .LBB33_120
; %bb.116:                              ;   in Loop: Header=BB33_114 Depth=1
	s_mov_b32 s19, 0
	v_mov_b32_e32 v4, s6
	v_mov_b32_e32 v5, 0
	s_mov_b32 s20, s16
	s_mov_b32 s18, 0
.LBB33_117:                             ;   Parent Loop BB33_114 Depth=1
                                        ; =>  This Inner Loop Header: Depth=2
	v_mov_b32_e32 v22, s19
	ds_read2_b32 v[8:9], v22 offset1:1
	ds_read2_b32 v[10:11], v22 offset0:2 offset1:3
	ds_read2_b32 v[12:13], v22 offset0:4 offset1:5
	;; [unrolled: 1-line block ×7, first 2 shown]
	s_waitcnt lgkmcnt(7)
	v_cmp_gt_i32_e32 vcc, v7, v9
	v_cndmask_b32_e64 v9, 0, 1, vcc
	v_cmp_gt_i32_e32 vcc, v7, v8
	s_waitcnt lgkmcnt(5)
	v_cmp_gt_i32_e64 s[4:5], v7, v12
	v_cndmask_b32_e64 v8, 0, 1, vcc
	v_cmp_gt_i32_e32 vcc, v7, v11
	v_cndmask_b32_e64 v11, 0, 1, s[4:5]
	v_cmp_gt_i32_e64 s[4:5], v7, v13
	v_cndmask_b32_e64 v12, 0, 1, s[4:5]
	s_waitcnt lgkmcnt(3)
	v_cmp_gt_i32_e64 s[4:5], v7, v17
	v_cndmask_b32_e64 v13, 0, 1, s[4:5]
	v_cmp_gt_i32_e64 s[4:5], v7, v16
	v_cndmask_b32_e64 v16, 0, 1, s[4:5]
	s_waitcnt lgkmcnt(1)
	v_cmp_gt_i32_e64 s[4:5], v7, v20
	v_cndmask_b32_e64 v17, 0, 1, s[4:5]
	v_cmp_gt_i32_e64 s[4:5], v7, v21
	v_cndmask_b32_e64 v20, 0, 1, s[4:5]
	v_cmp_gt_i32_e64 s[4:5], v7, v10
	v_addc_co_u32_e64 v4, s[4:5], v4, v8, s[4:5]
	v_addc_co_u32_e32 v5, vcc, v5, v9, vcc
	v_cmp_gt_i32_e32 vcc, v7, v14
	v_cmp_gt_i32_e64 s[4:5], v7, v15
	v_addc_co_u32_e64 v5, s[4:5], v5, v12, s[4:5]
	v_addc_co_u32_e32 v4, vcc, v4, v11, vcc
	v_cmp_gt_i32_e32 vcc, v7, v19
	v_cmp_gt_i32_e64 s[4:5], v7, v18
	v_addc_co_u32_e64 v4, s[4:5], v4, v16, s[4:5]
	v_addc_co_u32_e32 v5, vcc, v5, v13, vcc
	s_add_i32 s18, s18, 16
	s_add_i32 s19, s19, 64
	s_add_i32 s20, s20, -8
	s_waitcnt lgkmcnt(0)
	v_cmp_gt_i32_e32 vcc, v7, v22
	v_cmp_gt_i32_e64 s[4:5], v7, v23
	s_cmp_lg_u32 s20, 0
	v_addc_co_u32_e64 v5, s[4:5], v5, v20, s[4:5]
	v_addc_co_u32_e32 v4, vcc, v4, v17, vcc
	s_cbranch_scc1 .LBB33_117
; %bb.118:                              ;   in Loop: Header=BB33_114 Depth=1
	s_and_b64 vcc, exec, s[2:3]
	s_cbranch_vccz .LBB33_121
	s_branch .LBB33_123
.LBB33_119:                             ;   in Loop: Header=BB33_114 Depth=1
	v_mov_b32_e32 v4, s6
	s_mov_b32 s18, 0
	s_cbranch_execz .LBB33_113
	s_branch .LBB33_124
.LBB33_120:                             ;   in Loop: Header=BB33_114 Depth=1
	v_pk_mov_b32 v[4:5], s[6:7], s[6:7] op_sel:[0,1]
	s_mov_b32 s18, 0
	s_and_b64 vcc, exec, s[2:3]
	s_cbranch_vccnz .LBB33_123
.LBB33_121:                             ;   in Loop: Header=BB33_114 Depth=1
	s_lshl_b32 s4, s18, 2
	s_add_i32 s4, s4, 0
	s_mov_b32 s5, s17
.LBB33_122:                             ;   Parent Loop BB33_114 Depth=1
                                        ; =>  This Inner Loop Header: Depth=2
	v_mov_b32_e32 v8, s4
	ds_read2_b32 v[8:9], v8 offset1:1
	s_add_i32 s4, s4, 8
	s_add_i32 s5, s5, -8
	s_cmp_lg_u32 s5, 0
	s_waitcnt lgkmcnt(0)
	v_cmp_gt_i32_e32 vcc, v7, v9
	v_addc_co_u32_e32 v5, vcc, 0, v5, vcc
	v_cmp_gt_i32_e32 vcc, v7, v8
	v_addc_co_u32_e32 v4, vcc, 0, v4, vcc
	s_cbranch_scc1 .LBB33_122
.LBB33_123:                             ;   in Loop: Header=BB33_114 Depth=1
	v_add_u32_e32 v4, v4, v5
	s_mov_b32 s18, s15
	s_mov_b64 s[4:5], s[10:11]
	s_and_b64 vcc, exec, s[4:5]
	s_cbranch_vccz .LBB33_113
.LBB33_124:                             ;   in Loop: Header=BB33_114 Depth=1
	s_lshl_b32 s4, s18, 2
	s_add_i32 s4, s4, 0
.LBB33_125:                             ;   Parent Loop BB33_114 Depth=1
                                        ; =>  This Inner Loop Header: Depth=2
	v_mov_b32_e32 v5, s4
	ds_read_b32 v5, v5
	s_add_i32 s18, s18, 1
	s_add_i32 s4, s4, 4
	s_cmp_ge_i32 s18, s14
	s_waitcnt lgkmcnt(0)
	v_cmp_gt_i32_e32 vcc, v7, v5
	v_addc_co_u32_e32 v4, vcc, 0, v4, vcc
	s_cbranch_scc0 .LBB33_125
	s_branch .LBB33_113
.LBB33_126:
	s_endpgm
	.section	.rodata,"a",@progbits
	.p2align	6, 0x0
	.amdhsa_kernel _ZN9rocsparseL26csrgemm_fill_block_per_rowILj1024ELj32ELj2048ELj137ELj32EiidEEvT5_PKS1_S3_NS_24const_host_device_scalarIT6_EEPKT4_S3_PKS5_S9_S3_SB_S6_S9_S3_SB_S9_PS1_PS5_21rocsparse_index_base_SE_SE_SE_bbb
		.amdhsa_group_segment_fixed_size 0
		.amdhsa_private_segment_fixed_size 0
		.amdhsa_kernarg_size 156
		.amdhsa_user_sgpr_count 6
		.amdhsa_user_sgpr_private_segment_buffer 1
		.amdhsa_user_sgpr_dispatch_ptr 0
		.amdhsa_user_sgpr_queue_ptr 0
		.amdhsa_user_sgpr_kernarg_segment_ptr 1
		.amdhsa_user_sgpr_dispatch_id 0
		.amdhsa_user_sgpr_flat_scratch_init 0
		.amdhsa_user_sgpr_kernarg_preload_length 0
		.amdhsa_user_sgpr_kernarg_preload_offset 0
		.amdhsa_user_sgpr_private_segment_size 0
		.amdhsa_uses_dynamic_stack 0
		.amdhsa_system_sgpr_private_segment_wavefront_offset 0
		.amdhsa_system_sgpr_workgroup_id_x 1
		.amdhsa_system_sgpr_workgroup_id_y 0
		.amdhsa_system_sgpr_workgroup_id_z 0
		.amdhsa_system_sgpr_workgroup_info 0
		.amdhsa_system_vgpr_workitem_id 0
		.amdhsa_next_free_vgpr 24
		.amdhsa_next_free_sgpr 80
		.amdhsa_accum_offset 24
		.amdhsa_reserve_vcc 1
		.amdhsa_reserve_flat_scratch 0
		.amdhsa_float_round_mode_32 0
		.amdhsa_float_round_mode_16_64 0
		.amdhsa_float_denorm_mode_32 3
		.amdhsa_float_denorm_mode_16_64 3
		.amdhsa_dx10_clamp 1
		.amdhsa_ieee_mode 1
		.amdhsa_fp16_overflow 0
		.amdhsa_tg_split 0
		.amdhsa_exception_fp_ieee_invalid_op 0
		.amdhsa_exception_fp_denorm_src 0
		.amdhsa_exception_fp_ieee_div_zero 0
		.amdhsa_exception_fp_ieee_overflow 0
		.amdhsa_exception_fp_ieee_underflow 0
		.amdhsa_exception_fp_ieee_inexact 0
		.amdhsa_exception_int_div_zero 0
	.end_amdhsa_kernel
	.section	.text._ZN9rocsparseL26csrgemm_fill_block_per_rowILj1024ELj32ELj2048ELj137ELj32EiidEEvT5_PKS1_S3_NS_24const_host_device_scalarIT6_EEPKT4_S3_PKS5_S9_S3_SB_S6_S9_S3_SB_S9_PS1_PS5_21rocsparse_index_base_SE_SE_SE_bbb,"axG",@progbits,_ZN9rocsparseL26csrgemm_fill_block_per_rowILj1024ELj32ELj2048ELj137ELj32EiidEEvT5_PKS1_S3_NS_24const_host_device_scalarIT6_EEPKT4_S3_PKS5_S9_S3_SB_S6_S9_S3_SB_S9_PS1_PS5_21rocsparse_index_base_SE_SE_SE_bbb,comdat
.Lfunc_end33:
	.size	_ZN9rocsparseL26csrgemm_fill_block_per_rowILj1024ELj32ELj2048ELj137ELj32EiidEEvT5_PKS1_S3_NS_24const_host_device_scalarIT6_EEPKT4_S3_PKS5_S9_S3_SB_S6_S9_S3_SB_S9_PS1_PS5_21rocsparse_index_base_SE_SE_SE_bbb, .Lfunc_end33-_ZN9rocsparseL26csrgemm_fill_block_per_rowILj1024ELj32ELj2048ELj137ELj32EiidEEvT5_PKS1_S3_NS_24const_host_device_scalarIT6_EEPKT4_S3_PKS5_S9_S3_SB_S6_S9_S3_SB_S9_PS1_PS5_21rocsparse_index_base_SE_SE_SE_bbb
                                        ; -- End function
	.section	.AMDGPU.csdata,"",@progbits
; Kernel info:
; codeLenInByte = 4144
; NumSgprs: 84
; NumVgprs: 24
; NumAgprs: 0
; TotalNumVgprs: 24
; ScratchSize: 0
; MemoryBound: 0
; FloatMode: 240
; IeeeMode: 1
; LDSByteSize: 0 bytes/workgroup (compile time only)
; SGPRBlocks: 10
; VGPRBlocks: 2
; NumSGPRsForWavesPerEU: 84
; NumVGPRsForWavesPerEU: 24
; AccumOffset: 24
; Occupancy: 8
; WaveLimiterHint : 1
; COMPUTE_PGM_RSRC2:SCRATCH_EN: 0
; COMPUTE_PGM_RSRC2:USER_SGPR: 6
; COMPUTE_PGM_RSRC2:TRAP_HANDLER: 0
; COMPUTE_PGM_RSRC2:TGID_X_EN: 1
; COMPUTE_PGM_RSRC2:TGID_Y_EN: 0
; COMPUTE_PGM_RSRC2:TGID_Z_EN: 0
; COMPUTE_PGM_RSRC2:TIDIG_COMP_CNT: 0
; COMPUTE_PGM_RSRC3_GFX90A:ACCUM_OFFSET: 5
; COMPUTE_PGM_RSRC3_GFX90A:TG_SPLIT: 0
	.section	.text._ZN9rocsparseL26csrgemm_fill_block_per_rowILj1024ELj32ELj2048ELj137ELj64EiidEEvT5_PKS1_S3_NS_24const_host_device_scalarIT6_EEPKT4_S3_PKS5_S9_S3_SB_S6_S9_S3_SB_S9_PS1_PS5_21rocsparse_index_base_SE_SE_SE_bbb,"axG",@progbits,_ZN9rocsparseL26csrgemm_fill_block_per_rowILj1024ELj32ELj2048ELj137ELj64EiidEEvT5_PKS1_S3_NS_24const_host_device_scalarIT6_EEPKT4_S3_PKS5_S9_S3_SB_S6_S9_S3_SB_S9_PS1_PS5_21rocsparse_index_base_SE_SE_SE_bbb,comdat
	.globl	_ZN9rocsparseL26csrgemm_fill_block_per_rowILj1024ELj32ELj2048ELj137ELj64EiidEEvT5_PKS1_S3_NS_24const_host_device_scalarIT6_EEPKT4_S3_PKS5_S9_S3_SB_S6_S9_S3_SB_S9_PS1_PS5_21rocsparse_index_base_SE_SE_SE_bbb ; -- Begin function _ZN9rocsparseL26csrgemm_fill_block_per_rowILj1024ELj32ELj2048ELj137ELj64EiidEEvT5_PKS1_S3_NS_24const_host_device_scalarIT6_EEPKT4_S3_PKS5_S9_S3_SB_S6_S9_S3_SB_S9_PS1_PS5_21rocsparse_index_base_SE_SE_SE_bbb
	.p2align	8
	.type	_ZN9rocsparseL26csrgemm_fill_block_per_rowILj1024ELj32ELj2048ELj137ELj64EiidEEvT5_PKS1_S3_NS_24const_host_device_scalarIT6_EEPKT4_S3_PKS5_S9_S3_SB_S6_S9_S3_SB_S9_PS1_PS5_21rocsparse_index_base_SE_SE_SE_bbb,@function
_ZN9rocsparseL26csrgemm_fill_block_per_rowILj1024ELj32ELj2048ELj137ELj64EiidEEvT5_PKS1_S3_NS_24const_host_device_scalarIT6_EEPKT4_S3_PKS5_S9_S3_SB_S6_S9_S3_SB_S9_PS1_PS5_21rocsparse_index_base_SE_SE_SE_bbb: ; @_ZN9rocsparseL26csrgemm_fill_block_per_rowILj1024ELj32ELj2048ELj137ELj64EiidEEvT5_PKS1_S3_NS_24const_host_device_scalarIT6_EEPKT4_S3_PKS5_S9_S3_SB_S6_S9_S3_SB_S9_PS1_PS5_21rocsparse_index_base_SE_SE_SE_bbb
; %bb.0:
	s_load_dword s7, s[4:5], 0x98
	s_load_dwordx4 s[44:47], s[4:5], 0x88
	s_load_dwordx2 s[0:1], s[4:5], 0x18
	s_load_dwordx2 s[24:25], s[4:5], 0x50
	s_waitcnt lgkmcnt(0)
	s_and_b32 s2, 1, s7
	s_bitcmp1_b32 s7, 16
	s_cselect_b64 s[26:27], -1, 0
	s_cmp_eq_u32 s2, 1
	s_cselect_b64 s[22:23], -1, 0
	s_and_b64 s[2:3], s[22:23], exec
	s_cselect_b32 s3, s1, 0
	s_cselect_b32 s2, s0, 0
	s_xor_b64 s[8:9], s[22:23], -1
	s_or_b64 s[8:9], s[8:9], s[26:27]
	s_and_b64 vcc, exec, s[8:9]
	v_pk_mov_b32 v[4:5], s[2:3], s[2:3] op_sel:[0,1]
	s_cbranch_vccnz .LBB34_2
; %bb.1:
	v_pk_mov_b32 v[2:3], s[0:1], s[0:1] op_sel:[0,1]
	flat_load_dwordx2 v[4:5], v[2:3]
.LBB34_2:
	s_load_dwordx4 s[48:51], s[4:5], 0x78
	s_load_dwordx8 s[36:43], s[4:5], 0x58
	s_load_dwordx4 s[0:3], s[4:5], 0x40
	s_load_dwordx4 s[16:19], s[4:5], 0x8
	s_load_dwordx8 s[8:15], s[4:5], 0x20
	s_bitcmp1_b32 s7, 8
	s_cselect_b64 s[20:21], -1, 0
	s_and_b64 s[28:29], s[20:21], exec
	s_cselect_b32 s29, s25, 0
	s_cselect_b32 s28, s24, 0
	s_xor_b64 s[30:31], s[20:21], -1
	s_or_b64 s[26:27], s[30:31], s[26:27]
	s_and_b64 vcc, exec, s[26:27]
	v_pk_mov_b32 v[2:3], s[28:29], s[28:29] op_sel:[0,1]
	s_cbranch_vccnz .LBB34_4
; %bb.3:
	v_pk_mov_b32 v[2:3], s[24:25], s[24:25] op_sel:[0,1]
	flat_load_dwordx2 v[2:3], v[2:3]
.LBB34_4:
	s_load_dword s33, s[4:5], 0x0
	v_lshl_add_u32 v1, v0, 3, 0
	v_mov_b32_e32 v6, 0
	v_add_u32_e32 v1, 0x2000, v1
	v_or_b32_e32 v14, 0xfffffc00, v0
	v_lshl_add_u32 v15, v0, 2, 0
	s_mov_b64 s[4:5], 0
	s_waitcnt lgkmcnt(0)
	v_mov_b32_e32 v8, s33
	v_mov_b32_e32 v7, v6
	;; [unrolled: 1-line block ×5, first 2 shown]
.LBB34_5:                               ; =>This Inner Loop Header: Depth=1
	v_add_co_u32_e32 v10, vcc, 0x400, v10
	s_xor_b64 s[24:25], vcc, -1
	s_and_b64 s[24:25], exec, s[24:25]
	ds_write_b32 v9, v8
	ds_write_b64 v11, v[6:7]
	v_add_u32_e32 v11, 0x2000, v11
	s_or_b64 s[4:5], s[24:25], s[4:5]
	v_add_u32_e32 v9, 0x1000, v9
	s_andn2_b64 exec, exec, s[4:5]
	s_cbranch_execnz .LBB34_5
; %bb.6:
	s_or_b64 exec, exec, s[4:5]
	s_waitcnt lgkmcnt(0)
	s_barrier
	s_load_dword s4, s[16:17], 0x0
	s_mov_b32 s5, 0
	s_waitcnt lgkmcnt(0)
	s_add_i32 s4, s4, s6
	s_lshl_b64 s[4:5], s[4:5], 2
	s_add_u32 s4, s18, s4
	s_addc_u32 s5, s19, s5
	s_load_dword s34, s[4:5], 0x0
	s_and_b64 vcc, exec, s[22:23]
	s_cbranch_vccz .LBB34_26
; %bb.7:
	s_waitcnt lgkmcnt(0)
	s_ashr_i32 s35, s34, 31
	s_lshl_b64 s[4:5], s[34:35], 2
	s_add_u32 s4, s8, s4
	s_addc_u32 s5, s9, s5
	s_load_dwordx2 s[4:5], s[4:5], 0x0
	v_lshrrev_b32_e32 v6, 5, v0
	v_subrev_u32_e32 v6, s44, v6
	s_waitcnt lgkmcnt(0)
	s_sub_i32 s35, s5, s44
	v_add_u32_e32 v6, s4, v6
	v_cmp_gt_i32_e32 vcc, s35, v6
	s_and_saveexec_b64 s[4:5], vcc
	s_cbranch_execz .LBB34_25
; %bb.8:
	v_and_b32_e32 v7, 31, v0
	v_subrev_u32_e32 v16, s45, v7
	s_mov_b64 s[6:7], 0
	v_mov_b32_e32 v17, s11
	v_mov_b32_e32 v18, s15
	s_movk_i32 s11, 0x89
	s_branch .LBB34_10
.LBB34_9:                               ;   in Loop: Header=BB34_10 Depth=1
	s_or_b64 exec, exec, s[8:9]
	v_add_u32_e32 v6, 32, v6
	v_cmp_le_i32_e32 vcc, s35, v6
	s_or_b64 s[6:7], vcc, s[6:7]
	s_andn2_b64 exec, exec, s[6:7]
	s_cbranch_execz .LBB34_25
.LBB34_10:                              ; =>This Loop Header: Depth=1
                                        ;     Child Loop BB34_13 Depth 2
                                        ;       Child Loop BB34_15 Depth 3
	v_ashrrev_i32_e32 v7, 31, v6
	v_lshlrev_b64 v[8:9], 2, v[6:7]
	v_add_co_u32_e32 v8, vcc, s10, v8
	v_addc_co_u32_e32 v9, vcc, v17, v9, vcc
	global_load_dword v8, v[8:9], off
	s_waitcnt vmcnt(0)
	v_subrev_u32_e32 v8, s44, v8
	v_ashrrev_i32_e32 v9, 31, v8
	v_lshlrev_b64 v[8:9], 2, v[8:9]
	v_add_co_u32_e32 v8, vcc, s14, v8
	v_addc_co_u32_e32 v9, vcc, v18, v9, vcc
	global_load_dwordx2 v[8:9], v[8:9], off
	s_waitcnt vmcnt(0)
	v_subrev_u32_e32 v19, s45, v9
	v_add_u32_e32 v8, v8, v16
	v_cmp_lt_i32_e32 vcc, v8, v19
	s_and_saveexec_b64 s[8:9], vcc
	s_cbranch_execz .LBB34_9
; %bb.11:                               ;   in Loop: Header=BB34_10 Depth=1
	v_lshlrev_b64 v[10:11], 3, v[6:7]
	v_mov_b32_e32 v7, s13
	v_add_co_u32_e32 v10, vcc, s12, v10
	v_addc_co_u32_e32 v11, vcc, v7, v11, vcc
	global_load_dwordx2 v[10:11], v[10:11], off
	s_mov_b64 s[16:17], 0
	s_waitcnt vmcnt(0)
	v_mul_f64 v[10:11], v[4:5], v[10:11]
	s_branch .LBB34_13
.LBB34_12:                              ;   in Loop: Header=BB34_13 Depth=2
	s_or_b64 exec, exec, s[18:19]
	v_add_u32_e32 v8, 32, v8
	v_cmp_ge_i32_e32 vcc, v8, v19
	s_or_b64 s[16:17], vcc, s[16:17]
	s_andn2_b64 exec, exec, s[16:17]
	s_cbranch_execz .LBB34_9
.LBB34_13:                              ;   Parent Loop BB34_10 Depth=1
                                        ; =>  This Loop Header: Depth=2
                                        ;       Child Loop BB34_15 Depth 3
	v_ashrrev_i32_e32 v9, 31, v8
	v_lshlrev_b64 v[12:13], 2, v[8:9]
	v_mov_b32_e32 v7, s1
	v_add_co_u32_e32 v12, vcc, s0, v12
	v_addc_co_u32_e32 v13, vcc, v7, v13, vcc
	global_load_dword v7, v[12:13], off
	v_lshlrev_b64 v[12:13], 3, v[8:9]
	v_mov_b32_e32 v9, s3
	v_add_co_u32_e32 v12, vcc, s2, v12
	v_addc_co_u32_e32 v13, vcc, v9, v13, vcc
	global_load_dwordx2 v[12:13], v[12:13], off
	s_mov_b64 s[18:19], 0
	s_waitcnt vmcnt(1)
	v_subrev_u32_e32 v7, s45, v7
	v_mul_lo_u32 v9, v7, s11
	v_and_b32_e32 v9, 0x7ff, v9
	s_waitcnt vmcnt(0)
	v_mul_f64 v[12:13], v[10:11], v[12:13]
	s_branch .LBB34_15
.LBB34_14:                              ;   in Loop: Header=BB34_15 Depth=3
	s_or_b64 exec, exec, s[22:23]
	s_xor_b64 s[22:23], s[24:25], -1
	s_and_b64 s[22:23], exec, s[22:23]
	s_or_b64 s[18:19], s[22:23], s[18:19]
	s_andn2_b64 exec, exec, s[18:19]
	s_cbranch_execz .LBB34_12
.LBB34_15:                              ;   Parent Loop BB34_10 Depth=1
                                        ;     Parent Loop BB34_13 Depth=2
                                        ; =>    This Inner Loop Header: Depth=3
	v_lshl_add_u32 v20, v9, 2, 0
	ds_read_b32 v21, v20
                                        ; implicit-def: $sgpr24_sgpr25
	s_waitcnt lgkmcnt(0)
	v_cmp_ne_u32_e32 vcc, v21, v7
	s_and_saveexec_b64 s[22:23], vcc
	s_xor_b64 s[22:23], exec, s[22:23]
	s_cbranch_execz .LBB34_23
; %bb.16:                               ;   in Loop: Header=BB34_15 Depth=3
	v_cmp_ne_u32_e32 vcc, s33, v21
                                        ; implicit-def: $sgpr24_sgpr25
	s_and_saveexec_b64 s[26:27], vcc
	s_xor_b64 s[26:27], exec, s[26:27]
; %bb.17:                               ;   in Loop: Header=BB34_15 Depth=3
	v_add_u32_e32 v9, 1, v9
	v_and_b32_e32 v9, 0x7ff, v9
	s_mov_b64 s[24:25], -1
                                        ; implicit-def: $vgpr20
; %bb.18:                               ;   in Loop: Header=BB34_15 Depth=3
	s_andn2_saveexec_b64 s[26:27], s[26:27]
	s_cbranch_execz .LBB34_22
; %bb.19:                               ;   in Loop: Header=BB34_15 Depth=3
	v_mov_b32_e32 v21, s33
	ds_cmpst_rtn_b32 v21, v20, v21, v7
	s_mov_b64 s[28:29], -1
	s_waitcnt lgkmcnt(0)
	v_cmp_eq_u32_e32 vcc, s33, v21
	s_and_saveexec_b64 s[30:31], vcc
	s_cbranch_execz .LBB34_21
; %bb.20:                               ;   in Loop: Header=BB34_15 Depth=3
	v_lshl_add_u32 v20, v9, 2, v20
	ds_add_f64 v20, v[12:13] offset:8192
	s_xor_b64 s[28:29], exec, -1
.LBB34_21:                              ;   in Loop: Header=BB34_15 Depth=3
	s_or_b64 exec, exec, s[30:31]
	s_andn2_b64 s[24:25], s[24:25], exec
	s_and_b64 s[28:29], s[28:29], exec
	s_or_b64 s[24:25], s[24:25], s[28:29]
.LBB34_22:                              ;   in Loop: Header=BB34_15 Depth=3
	s_or_b64 exec, exec, s[26:27]
	s_and_b64 s[24:25], s[24:25], exec
                                        ; implicit-def: $vgpr20
.LBB34_23:                              ;   in Loop: Header=BB34_15 Depth=3
	s_andn2_saveexec_b64 s[22:23], s[22:23]
	s_cbranch_execz .LBB34_14
; %bb.24:                               ;   in Loop: Header=BB34_15 Depth=3
	v_lshl_add_u32 v20, v9, 2, v20
	ds_add_f64 v20, v[12:13] offset:8192
	s_andn2_b64 s[24:25], s[24:25], exec
	s_branch .LBB34_14
.LBB34_25:
	s_or_b64 exec, exec, s[4:5]
.LBB34_26:
	s_andn2_b64 vcc, exec, s[20:21]
	s_cbranch_vccnz .LBB34_43
; %bb.27:
	s_waitcnt lgkmcnt(0)
	s_ashr_i32 s35, s34, 31
	s_lshl_b64 s[0:1], s[34:35], 2
	s_add_u32 s0, s36, s0
	s_addc_u32 s1, s37, s1
	s_load_dwordx2 s[0:1], s[0:1], 0x0
	s_waitcnt vmcnt(0)
	v_subrev_u32_e32 v4, s47, v0
	s_waitcnt lgkmcnt(0)
	s_sub_i32 s16, s1, s47
	v_add_u32_e32 v4, s0, v4
	v_cmp_gt_i32_e32 vcc, s16, v4
	s_and_saveexec_b64 s[0:1], vcc
	s_cbranch_execz .LBB34_42
; %bb.28:
	s_mov_b64 s[2:3], 0
	v_mov_b32_e32 v8, s39
	v_mov_b32_e32 v9, s41
	s_movk_i32 s17, 0x89
	s_branch .LBB34_30
.LBB34_29:                              ;   in Loop: Header=BB34_30 Depth=1
	s_or_b64 exec, exec, s[4:5]
	v_add_u32_e32 v4, 0x400, v4
	v_cmp_le_i32_e32 vcc, s16, v4
	s_or_b64 s[2:3], vcc, s[2:3]
	s_andn2_b64 exec, exec, s[2:3]
	s_cbranch_execz .LBB34_42
.LBB34_30:                              ; =>This Loop Header: Depth=1
                                        ;     Child Loop BB34_32 Depth 2
	v_ashrrev_i32_e32 v5, 31, v4
	v_lshlrev_b64 v[6:7], 2, v[4:5]
	v_add_co_u32_e32 v6, vcc, s38, v6
	v_addc_co_u32_e32 v7, vcc, v8, v7, vcc
	global_load_dword v10, v[6:7], off
	v_lshlrev_b64 v[6:7], 3, v[4:5]
	v_add_co_u32_e32 v6, vcc, s40, v6
	v_addc_co_u32_e32 v7, vcc, v9, v7, vcc
	global_load_dwordx2 v[6:7], v[6:7], off
	s_mov_b64 s[4:5], 0
	s_waitcnt vmcnt(1)
	v_subrev_u32_e32 v5, s47, v10
	v_mul_lo_u32 v10, v5, s17
	v_and_b32_e32 v10, 0x7ff, v10
	s_waitcnt vmcnt(0)
	v_mul_f64 v[6:7], v[2:3], v[6:7]
	s_branch .LBB34_32
.LBB34_31:                              ;   in Loop: Header=BB34_32 Depth=2
	s_or_b64 exec, exec, s[6:7]
	s_xor_b64 s[6:7], s[8:9], -1
	s_and_b64 s[6:7], exec, s[6:7]
	s_or_b64 s[4:5], s[6:7], s[4:5]
	s_andn2_b64 exec, exec, s[4:5]
	s_cbranch_execz .LBB34_29
.LBB34_32:                              ;   Parent Loop BB34_30 Depth=1
                                        ; =>  This Inner Loop Header: Depth=2
	v_lshl_add_u32 v11, v10, 2, 0
	ds_read_b32 v12, v11
                                        ; implicit-def: $sgpr8_sgpr9
	s_waitcnt lgkmcnt(0)
	v_cmp_ne_u32_e32 vcc, v12, v5
	s_and_saveexec_b64 s[6:7], vcc
	s_xor_b64 s[6:7], exec, s[6:7]
	s_cbranch_execz .LBB34_40
; %bb.33:                               ;   in Loop: Header=BB34_32 Depth=2
	v_cmp_ne_u32_e32 vcc, s33, v12
                                        ; implicit-def: $sgpr8_sgpr9
	s_and_saveexec_b64 s[10:11], vcc
	s_xor_b64 s[10:11], exec, s[10:11]
; %bb.34:                               ;   in Loop: Header=BB34_32 Depth=2
	v_add_u32_e32 v10, 1, v10
	v_and_b32_e32 v10, 0x7ff, v10
	s_mov_b64 s[8:9], -1
                                        ; implicit-def: $vgpr11
; %bb.35:                               ;   in Loop: Header=BB34_32 Depth=2
	s_andn2_saveexec_b64 s[10:11], s[10:11]
	s_cbranch_execz .LBB34_39
; %bb.36:                               ;   in Loop: Header=BB34_32 Depth=2
	v_mov_b32_e32 v12, s33
	ds_cmpst_rtn_b32 v12, v11, v12, v5
	s_mov_b64 s[12:13], -1
	s_waitcnt lgkmcnt(0)
	v_cmp_eq_u32_e32 vcc, s33, v12
	s_and_saveexec_b64 s[14:15], vcc
	s_cbranch_execz .LBB34_38
; %bb.37:                               ;   in Loop: Header=BB34_32 Depth=2
	v_lshl_add_u32 v11, v10, 2, v11
	ds_add_f64 v11, v[6:7] offset:8192
	s_xor_b64 s[12:13], exec, -1
.LBB34_38:                              ;   in Loop: Header=BB34_32 Depth=2
	s_or_b64 exec, exec, s[14:15]
	s_andn2_b64 s[8:9], s[8:9], exec
	s_and_b64 s[12:13], s[12:13], exec
	s_or_b64 s[8:9], s[8:9], s[12:13]
.LBB34_39:                              ;   in Loop: Header=BB34_32 Depth=2
	s_or_b64 exec, exec, s[10:11]
	s_and_b64 s[8:9], s[8:9], exec
                                        ; implicit-def: $vgpr11
.LBB34_40:                              ;   in Loop: Header=BB34_32 Depth=2
	s_andn2_saveexec_b64 s[6:7], s[6:7]
	s_cbranch_execz .LBB34_31
; %bb.41:                               ;   in Loop: Header=BB34_32 Depth=2
	v_lshl_add_u32 v11, v10, 2, v11
	ds_add_f64 v11, v[6:7] offset:8192
	s_andn2_b64 s[8:9], s[8:9], exec
	s_branch .LBB34_31
.LBB34_42:
	s_or_b64 exec, exec, s[0:1]
.LBB34_43:
	s_waitcnt vmcnt(0)
	v_mbcnt_lo_u32_b32 v2, -1, 0
	v_mbcnt_hi_u32_b32 v2, -1, v2
	v_lshrrev_b32_e32 v4, 4, v0
	v_sub_u32_e32 v2, 63, v2
	v_and_b32_e32 v4, 60, v4
	s_movk_i32 s0, 0x3ff
	s_movk_i32 s4, 0x7f
	;; [unrolled: 1-line block ×15, first 2 shown]
	v_mov_b32_e32 v6, 0
	v_lshrrev_b64 v[2:3], v2, -1
	v_add_u32_e32 v7, 0, v4
	v_cmp_eq_u32_e64 s[0:1], s0, v0
	v_cmp_lt_u32_e64 s[2:3], 63, v0
	v_cmp_lt_u32_e64 s[4:5], s4, v0
	;; [unrolled: 1-line block ×15, first 2 shown]
	s_mov_b64 s[36:37], 0
	v_mov_b32_e32 v8, 0
	s_waitcnt lgkmcnt(0)
	s_barrier
	s_branch .LBB34_45
.LBB34_44:                              ;   in Loop: Header=BB34_45 Depth=1
	s_or_b64 exec, exec, s[38:39]
	s_waitcnt lgkmcnt(0)
	s_barrier
	ds_read_b32 v4, v6 offset:24636
	v_add_co_u32_e32 v14, vcc, 0x400, v14
	s_xor_b64 s[38:39], vcc, -1
	s_and_b64 s[38:39], exec, s[38:39]
	v_add_u32_e32 v1, 0x2000, v1
	s_waitcnt lgkmcnt(0)
	v_add_u32_e32 v8, v4, v8
	s_or_b64 s[36:37], s[38:39], s[36:37]
	v_add_u32_e32 v15, 0x1000, v15
	s_andn2_b64 exec, exec, s[36:37]
	s_cbranch_execz .LBB34_79
.LBB34_45:                              ; =>This Inner Loop Header: Depth=1
	ds_read_b32 v9, v15
	ds_read_b64 v[4:5], v1
	s_waitcnt lgkmcnt(0)
	s_barrier
	v_cmp_gt_i32_e32 vcc, s33, v9
	v_and_b32_e32 v11, vcc_lo, v2
	s_bcnt1_i32_b64 s35, vcc
	v_and_b32_e32 v10, vcc_hi, v3
	v_bcnt_u32_b32 v11, v11, 0
	v_bcnt_u32_b32 v10, v10, v11
	v_mov_b32_e32 v11, s35
	ds_write_b32 v7, v11 offset:24576
	s_waitcnt lgkmcnt(0)
	s_barrier
	s_and_saveexec_b64 s[38:39], s[2:3]
	s_cbranch_execnz .LBB34_62
; %bb.46:                               ;   in Loop: Header=BB34_45 Depth=1
	s_or_b64 exec, exec, s[38:39]
	s_and_saveexec_b64 s[38:39], s[4:5]
	s_cbranch_execnz .LBB34_63
.LBB34_47:                              ;   in Loop: Header=BB34_45 Depth=1
	s_or_b64 exec, exec, s[38:39]
	s_and_saveexec_b64 s[38:39], s[6:7]
	s_cbranch_execnz .LBB34_64
.LBB34_48:                              ;   in Loop: Header=BB34_45 Depth=1
	s_or_b64 exec, exec, s[38:39]
	s_and_saveexec_b64 s[38:39], s[8:9]
	s_cbranch_execnz .LBB34_65
.LBB34_49:                              ;   in Loop: Header=BB34_45 Depth=1
	s_or_b64 exec, exec, s[38:39]
	s_and_saveexec_b64 s[38:39], s[10:11]
	s_cbranch_execnz .LBB34_66
.LBB34_50:                              ;   in Loop: Header=BB34_45 Depth=1
	s_or_b64 exec, exec, s[38:39]
	s_and_saveexec_b64 s[38:39], s[12:13]
	s_cbranch_execnz .LBB34_67
.LBB34_51:                              ;   in Loop: Header=BB34_45 Depth=1
	s_or_b64 exec, exec, s[38:39]
	s_and_saveexec_b64 s[38:39], s[14:15]
	s_cbranch_execnz .LBB34_68
.LBB34_52:                              ;   in Loop: Header=BB34_45 Depth=1
	s_or_b64 exec, exec, s[38:39]
	s_and_saveexec_b64 s[38:39], s[16:17]
	s_cbranch_execnz .LBB34_69
.LBB34_53:                              ;   in Loop: Header=BB34_45 Depth=1
	s_or_b64 exec, exec, s[38:39]
	s_and_saveexec_b64 s[38:39], s[18:19]
	s_cbranch_execnz .LBB34_70
.LBB34_54:                              ;   in Loop: Header=BB34_45 Depth=1
	s_or_b64 exec, exec, s[38:39]
	s_and_saveexec_b64 s[38:39], s[20:21]
	s_cbranch_execnz .LBB34_71
.LBB34_55:                              ;   in Loop: Header=BB34_45 Depth=1
	s_or_b64 exec, exec, s[38:39]
	s_and_saveexec_b64 s[38:39], s[22:23]
	s_cbranch_execnz .LBB34_72
.LBB34_56:                              ;   in Loop: Header=BB34_45 Depth=1
	s_or_b64 exec, exec, s[38:39]
	s_and_saveexec_b64 s[38:39], s[24:25]
	s_cbranch_execnz .LBB34_73
.LBB34_57:                              ;   in Loop: Header=BB34_45 Depth=1
	s_or_b64 exec, exec, s[38:39]
	s_and_saveexec_b64 s[38:39], s[26:27]
	s_cbranch_execnz .LBB34_74
.LBB34_58:                              ;   in Loop: Header=BB34_45 Depth=1
	s_or_b64 exec, exec, s[38:39]
	s_and_saveexec_b64 s[38:39], s[28:29]
	s_cbranch_execnz .LBB34_75
.LBB34_59:                              ;   in Loop: Header=BB34_45 Depth=1
	s_or_b64 exec, exec, s[38:39]
	s_and_saveexec_b64 s[38:39], s[30:31]
	s_cbranch_execnz .LBB34_76
.LBB34_60:                              ;   in Loop: Header=BB34_45 Depth=1
	s_or_b64 exec, exec, s[38:39]
	s_and_saveexec_b64 s[38:39], vcc
	s_cbranch_execnz .LBB34_77
.LBB34_61:                              ;   in Loop: Header=BB34_45 Depth=1
	s_or_b64 exec, exec, s[38:39]
	s_and_saveexec_b64 s[38:39], s[0:1]
	s_cbranch_execz .LBB34_44
	s_branch .LBB34_78
.LBB34_62:                              ;   in Loop: Header=BB34_45 Depth=1
	ds_read_b32 v11, v6 offset:24576
	s_waitcnt lgkmcnt(0)
	v_add_u32_e32 v10, v11, v10
	s_or_b64 exec, exec, s[38:39]
	s_and_saveexec_b64 s[38:39], s[4:5]
	s_cbranch_execz .LBB34_47
.LBB34_63:                              ;   in Loop: Header=BB34_45 Depth=1
	ds_read_b32 v11, v6 offset:24580
	s_waitcnt lgkmcnt(0)
	v_add_u32_e32 v10, v11, v10
	s_or_b64 exec, exec, s[38:39]
	s_and_saveexec_b64 s[38:39], s[6:7]
	s_cbranch_execz .LBB34_48
.LBB34_64:                              ;   in Loop: Header=BB34_45 Depth=1
	ds_read_b32 v11, v6 offset:24584
	s_waitcnt lgkmcnt(0)
	v_add_u32_e32 v10, v11, v10
	s_or_b64 exec, exec, s[38:39]
	s_and_saveexec_b64 s[38:39], s[8:9]
	s_cbranch_execz .LBB34_49
.LBB34_65:                              ;   in Loop: Header=BB34_45 Depth=1
	ds_read_b32 v11, v6 offset:24588
	s_waitcnt lgkmcnt(0)
	v_add_u32_e32 v10, v11, v10
	s_or_b64 exec, exec, s[38:39]
	s_and_saveexec_b64 s[38:39], s[10:11]
	s_cbranch_execz .LBB34_50
.LBB34_66:                              ;   in Loop: Header=BB34_45 Depth=1
	ds_read_b32 v11, v6 offset:24592
	s_waitcnt lgkmcnt(0)
	v_add_u32_e32 v10, v11, v10
	s_or_b64 exec, exec, s[38:39]
	s_and_saveexec_b64 s[38:39], s[12:13]
	s_cbranch_execz .LBB34_51
.LBB34_67:                              ;   in Loop: Header=BB34_45 Depth=1
	ds_read_b32 v11, v6 offset:24596
	s_waitcnt lgkmcnt(0)
	v_add_u32_e32 v10, v11, v10
	s_or_b64 exec, exec, s[38:39]
	s_and_saveexec_b64 s[38:39], s[14:15]
	s_cbranch_execz .LBB34_52
.LBB34_68:                              ;   in Loop: Header=BB34_45 Depth=1
	ds_read_b32 v11, v6 offset:24600
	s_waitcnt lgkmcnt(0)
	v_add_u32_e32 v10, v11, v10
	s_or_b64 exec, exec, s[38:39]
	s_and_saveexec_b64 s[38:39], s[16:17]
	s_cbranch_execz .LBB34_53
.LBB34_69:                              ;   in Loop: Header=BB34_45 Depth=1
	ds_read_b32 v11, v6 offset:24604
	s_waitcnt lgkmcnt(0)
	v_add_u32_e32 v10, v11, v10
	s_or_b64 exec, exec, s[38:39]
	s_and_saveexec_b64 s[38:39], s[18:19]
	s_cbranch_execz .LBB34_54
.LBB34_70:                              ;   in Loop: Header=BB34_45 Depth=1
	ds_read_b32 v11, v6 offset:24608
	s_waitcnt lgkmcnt(0)
	v_add_u32_e32 v10, v11, v10
	s_or_b64 exec, exec, s[38:39]
	s_and_saveexec_b64 s[38:39], s[20:21]
	s_cbranch_execz .LBB34_55
.LBB34_71:                              ;   in Loop: Header=BB34_45 Depth=1
	ds_read_b32 v11, v6 offset:24612
	s_waitcnt lgkmcnt(0)
	v_add_u32_e32 v10, v11, v10
	s_or_b64 exec, exec, s[38:39]
	s_and_saveexec_b64 s[38:39], s[22:23]
	s_cbranch_execz .LBB34_56
.LBB34_72:                              ;   in Loop: Header=BB34_45 Depth=1
	ds_read_b32 v11, v6 offset:24616
	s_waitcnt lgkmcnt(0)
	v_add_u32_e32 v10, v11, v10
	s_or_b64 exec, exec, s[38:39]
	s_and_saveexec_b64 s[38:39], s[24:25]
	s_cbranch_execz .LBB34_57
.LBB34_73:                              ;   in Loop: Header=BB34_45 Depth=1
	ds_read_b32 v11, v6 offset:24620
	s_waitcnt lgkmcnt(0)
	v_add_u32_e32 v10, v11, v10
	s_or_b64 exec, exec, s[38:39]
	s_and_saveexec_b64 s[38:39], s[26:27]
	s_cbranch_execz .LBB34_58
.LBB34_74:                              ;   in Loop: Header=BB34_45 Depth=1
	ds_read_b32 v11, v6 offset:24624
	s_waitcnt lgkmcnt(0)
	v_add_u32_e32 v10, v11, v10
	s_or_b64 exec, exec, s[38:39]
	s_and_saveexec_b64 s[38:39], s[28:29]
	s_cbranch_execz .LBB34_59
.LBB34_75:                              ;   in Loop: Header=BB34_45 Depth=1
	ds_read_b32 v11, v6 offset:24628
	s_waitcnt lgkmcnt(0)
	v_add_u32_e32 v10, v11, v10
	s_or_b64 exec, exec, s[38:39]
	s_and_saveexec_b64 s[38:39], s[30:31]
	s_cbranch_execz .LBB34_60
.LBB34_76:                              ;   in Loop: Header=BB34_45 Depth=1
	ds_read_b32 v11, v6 offset:24632
	s_waitcnt lgkmcnt(0)
	v_add_u32_e32 v10, v11, v10
	s_or_b64 exec, exec, s[38:39]
	s_and_saveexec_b64 s[38:39], vcc
	s_cbranch_execz .LBB34_61
.LBB34_77:                              ;   in Loop: Header=BB34_45 Depth=1
	v_add3_u32 v11, v8, -1, v10
	v_lshl_add_u32 v12, v11, 2, 0
	v_lshl_add_u32 v11, v11, 3, 0
	ds_write_b32 v12, v9
	ds_write_b64 v11, v[4:5] offset:8192
	s_or_b64 exec, exec, s[38:39]
	s_and_saveexec_b64 s[38:39], s[0:1]
	s_cbranch_execz .LBB34_44
.LBB34_78:                              ;   in Loop: Header=BB34_45 Depth=1
	ds_write_b32 v6, v10 offset:24636
	s_branch .LBB34_44
.LBB34_79:
	s_or_b64 exec, exec, s[36:37]
	s_ashr_i32 s35, s34, 31
	s_lshl_b64 s[0:1], s[34:35], 2
	s_add_u32 s0, s42, s0
	s_addc_u32 s1, s43, s1
	s_load_dwordx2 s[0:1], s[0:1], 0x0
	s_waitcnt lgkmcnt(0)
	s_sub_i32 s14, s1, s0
	v_cmp_gt_i32_e32 vcc, s14, v0
	s_and_saveexec_b64 s[2:3], vcc
	s_cbranch_execz .LBB34_94
; %bb.80:
	s_sub_i32 s6, s0, s46
	s_add_i32 s0, s14, -2
	s_lshr_b32 s1, s0, 1
	s_add_i32 s2, s1, 1
	s_cmp_gt_u32 s14, 1
	s_cselect_b64 s[8:9], -1, 0
	s_and_b32 s15, s14, -2
	s_and_b32 s4, s2, 7
	s_cmp_gt_u32 s0, 13
	s_cselect_b64 s[0:1], -1, 0
	s_and_b32 s16, s2, -8
	s_cmp_lg_u32 s4, 0
	s_cselect_b64 s[2:3], -1, 0
	v_cndmask_b32_e64 v1, 0, 1, s[0:1]
	s_cmp_lg_u32 s14, s15
	v_cmp_ne_u32_e64 s[0:1], 1, v1
	v_cndmask_b32_e64 v1, 0, 1, s[2:3]
	s_mov_b32 s7, 0
	s_cselect_b64 s[10:11], -1, 0
	s_lshl_b32 s17, s4, 3
	s_mov_b64 s[12:13], 0
	v_cmp_ne_u32_e64 s[2:3], 1, v1
	v_mov_b32_e32 v1, s49
	v_mov_b32_e32 v6, s51
	s_branch .LBB34_82
.LBB34_81:                              ;   in Loop: Header=BB34_82 Depth=1
	v_ashrrev_i32_e32 v5, 31, v4
	v_lshlrev_b64 v[8:9], 2, v[4:5]
	v_add_co_u32_e32 v8, vcc, s48, v8
	v_addc_co_u32_e32 v9, vcc, v1, v9, vcc
	v_lshlrev_b64 v[4:5], 3, v[4:5]
	v_add_co_u32_e32 v4, vcc, s50, v4
	v_addc_co_u32_e32 v5, vcc, v6, v5, vcc
	v_add_u32_e32 v0, 0x400, v0
	v_cmp_le_i32_e32 vcc, s14, v0
	s_waitcnt lgkmcnt(1)
	v_add_u32_e32 v7, s46, v7
	s_or_b64 s[12:13], vcc, s[12:13]
	global_store_dword v[8:9], v7, off
	s_waitcnt lgkmcnt(0)
	global_store_dwordx2 v[4:5], v[2:3], off
	s_andn2_b64 exec, exec, s[12:13]
	s_cbranch_execz .LBB34_94
.LBB34_82:                              ; =>This Loop Header: Depth=1
                                        ;     Child Loop BB34_85 Depth 2
                                        ;     Child Loop BB34_90 Depth 2
	;; [unrolled: 1-line block ×3, first 2 shown]
	v_lshlrev_b32_e32 v2, 2, v0
	v_add_u32_e32 v3, 0, v2
	v_add_u32_e32 v2, v3, v2
	ds_read_b32 v7, v3
	ds_read_b64 v[2:3], v2 offset:8192
	s_and_b64 vcc, exec, s[8:9]
	s_cbranch_vccz .LBB34_87
; %bb.83:                               ;   in Loop: Header=BB34_82 Depth=1
	s_and_b64 vcc, exec, s[0:1]
	s_cbranch_vccnz .LBB34_88
; %bb.84:                               ;   in Loop: Header=BB34_82 Depth=1
	s_mov_b32 s19, 0
	v_mov_b32_e32 v4, s6
	v_mov_b32_e32 v5, 0
	s_mov_b32 s20, s16
	s_mov_b32 s18, 0
.LBB34_85:                              ;   Parent Loop BB34_82 Depth=1
                                        ; =>  This Inner Loop Header: Depth=2
	v_mov_b32_e32 v22, s19
	ds_read2_b32 v[8:9], v22 offset1:1
	ds_read2_b32 v[10:11], v22 offset0:2 offset1:3
	ds_read2_b32 v[12:13], v22 offset0:4 offset1:5
	;; [unrolled: 1-line block ×7, first 2 shown]
	s_waitcnt lgkmcnt(7)
	v_cmp_gt_i32_e32 vcc, v7, v9
	v_cndmask_b32_e64 v9, 0, 1, vcc
	v_cmp_gt_i32_e32 vcc, v7, v8
	s_waitcnt lgkmcnt(5)
	v_cmp_gt_i32_e64 s[4:5], v7, v12
	v_cndmask_b32_e64 v8, 0, 1, vcc
	v_cmp_gt_i32_e32 vcc, v7, v11
	v_cndmask_b32_e64 v11, 0, 1, s[4:5]
	v_cmp_gt_i32_e64 s[4:5], v7, v13
	v_cndmask_b32_e64 v12, 0, 1, s[4:5]
	s_waitcnt lgkmcnt(3)
	v_cmp_gt_i32_e64 s[4:5], v7, v17
	v_cndmask_b32_e64 v13, 0, 1, s[4:5]
	v_cmp_gt_i32_e64 s[4:5], v7, v16
	v_cndmask_b32_e64 v16, 0, 1, s[4:5]
	s_waitcnt lgkmcnt(1)
	v_cmp_gt_i32_e64 s[4:5], v7, v20
	v_cndmask_b32_e64 v17, 0, 1, s[4:5]
	v_cmp_gt_i32_e64 s[4:5], v7, v21
	v_cndmask_b32_e64 v20, 0, 1, s[4:5]
	v_cmp_gt_i32_e64 s[4:5], v7, v10
	v_addc_co_u32_e64 v4, s[4:5], v4, v8, s[4:5]
	v_addc_co_u32_e32 v5, vcc, v5, v9, vcc
	v_cmp_gt_i32_e32 vcc, v7, v14
	v_cmp_gt_i32_e64 s[4:5], v7, v15
	v_addc_co_u32_e64 v5, s[4:5], v5, v12, s[4:5]
	v_addc_co_u32_e32 v4, vcc, v4, v11, vcc
	v_cmp_gt_i32_e32 vcc, v7, v19
	v_cmp_gt_i32_e64 s[4:5], v7, v18
	v_addc_co_u32_e64 v4, s[4:5], v4, v16, s[4:5]
	v_addc_co_u32_e32 v5, vcc, v5, v13, vcc
	s_add_i32 s18, s18, 16
	s_add_i32 s19, s19, 64
	s_add_i32 s20, s20, -8
	s_waitcnt lgkmcnt(0)
	v_cmp_gt_i32_e32 vcc, v7, v22
	v_cmp_gt_i32_e64 s[4:5], v7, v23
	s_cmp_lg_u32 s20, 0
	v_addc_co_u32_e64 v5, s[4:5], v5, v20, s[4:5]
	v_addc_co_u32_e32 v4, vcc, v4, v17, vcc
	s_cbranch_scc1 .LBB34_85
; %bb.86:                               ;   in Loop: Header=BB34_82 Depth=1
	s_and_b64 vcc, exec, s[2:3]
	s_cbranch_vccz .LBB34_89
	s_branch .LBB34_91
.LBB34_87:                              ;   in Loop: Header=BB34_82 Depth=1
	v_mov_b32_e32 v4, s6
	s_mov_b32 s18, 0
	s_cbranch_execz .LBB34_81
	s_branch .LBB34_92
.LBB34_88:                              ;   in Loop: Header=BB34_82 Depth=1
	v_pk_mov_b32 v[4:5], s[6:7], s[6:7] op_sel:[0,1]
	s_mov_b32 s18, 0
	s_and_b64 vcc, exec, s[2:3]
	s_cbranch_vccnz .LBB34_91
.LBB34_89:                              ;   in Loop: Header=BB34_82 Depth=1
	s_lshl_b32 s4, s18, 2
	s_add_i32 s4, s4, 0
	s_mov_b32 s5, s17
.LBB34_90:                              ;   Parent Loop BB34_82 Depth=1
                                        ; =>  This Inner Loop Header: Depth=2
	v_mov_b32_e32 v8, s4
	ds_read2_b32 v[8:9], v8 offset1:1
	s_add_i32 s4, s4, 8
	s_add_i32 s5, s5, -8
	s_cmp_lg_u32 s5, 0
	s_waitcnt lgkmcnt(0)
	v_cmp_gt_i32_e32 vcc, v7, v9
	v_addc_co_u32_e32 v5, vcc, 0, v5, vcc
	v_cmp_gt_i32_e32 vcc, v7, v8
	v_addc_co_u32_e32 v4, vcc, 0, v4, vcc
	s_cbranch_scc1 .LBB34_90
.LBB34_91:                              ;   in Loop: Header=BB34_82 Depth=1
	v_add_u32_e32 v4, v4, v5
	s_mov_b32 s18, s15
	s_mov_b64 s[4:5], s[10:11]
	s_and_b64 vcc, exec, s[4:5]
	s_cbranch_vccz .LBB34_81
.LBB34_92:                              ;   in Loop: Header=BB34_82 Depth=1
	s_lshl_b32 s4, s18, 2
	s_add_i32 s4, s4, 0
.LBB34_93:                              ;   Parent Loop BB34_82 Depth=1
                                        ; =>  This Inner Loop Header: Depth=2
	v_mov_b32_e32 v5, s4
	ds_read_b32 v5, v5
	s_add_i32 s18, s18, 1
	s_add_i32 s4, s4, 4
	s_cmp_ge_i32 s18, s14
	s_waitcnt lgkmcnt(0)
	v_cmp_gt_i32_e32 vcc, v7, v5
	v_addc_co_u32_e32 v4, vcc, 0, v4, vcc
	s_cbranch_scc0 .LBB34_93
	s_branch .LBB34_81
.LBB34_94:
	s_endpgm
	.section	.rodata,"a",@progbits
	.p2align	6, 0x0
	.amdhsa_kernel _ZN9rocsparseL26csrgemm_fill_block_per_rowILj1024ELj32ELj2048ELj137ELj64EiidEEvT5_PKS1_S3_NS_24const_host_device_scalarIT6_EEPKT4_S3_PKS5_S9_S3_SB_S6_S9_S3_SB_S9_PS1_PS5_21rocsparse_index_base_SE_SE_SE_bbb
		.amdhsa_group_segment_fixed_size 0
		.amdhsa_private_segment_fixed_size 0
		.amdhsa_kernarg_size 156
		.amdhsa_user_sgpr_count 6
		.amdhsa_user_sgpr_private_segment_buffer 1
		.amdhsa_user_sgpr_dispatch_ptr 0
		.amdhsa_user_sgpr_queue_ptr 0
		.amdhsa_user_sgpr_kernarg_segment_ptr 1
		.amdhsa_user_sgpr_dispatch_id 0
		.amdhsa_user_sgpr_flat_scratch_init 0
		.amdhsa_user_sgpr_kernarg_preload_length 0
		.amdhsa_user_sgpr_kernarg_preload_offset 0
		.amdhsa_user_sgpr_private_segment_size 0
		.amdhsa_uses_dynamic_stack 0
		.amdhsa_system_sgpr_private_segment_wavefront_offset 0
		.amdhsa_system_sgpr_workgroup_id_x 1
		.amdhsa_system_sgpr_workgroup_id_y 0
		.amdhsa_system_sgpr_workgroup_id_z 0
		.amdhsa_system_sgpr_workgroup_info 0
		.amdhsa_system_vgpr_workitem_id 0
		.amdhsa_next_free_vgpr 24
		.amdhsa_next_free_sgpr 52
		.amdhsa_accum_offset 24
		.amdhsa_reserve_vcc 1
		.amdhsa_reserve_flat_scratch 0
		.amdhsa_float_round_mode_32 0
		.amdhsa_float_round_mode_16_64 0
		.amdhsa_float_denorm_mode_32 3
		.amdhsa_float_denorm_mode_16_64 3
		.amdhsa_dx10_clamp 1
		.amdhsa_ieee_mode 1
		.amdhsa_fp16_overflow 0
		.amdhsa_tg_split 0
		.amdhsa_exception_fp_ieee_invalid_op 0
		.amdhsa_exception_fp_denorm_src 0
		.amdhsa_exception_fp_ieee_div_zero 0
		.amdhsa_exception_fp_ieee_overflow 0
		.amdhsa_exception_fp_ieee_underflow 0
		.amdhsa_exception_fp_ieee_inexact 0
		.amdhsa_exception_int_div_zero 0
	.end_amdhsa_kernel
	.section	.text._ZN9rocsparseL26csrgemm_fill_block_per_rowILj1024ELj32ELj2048ELj137ELj64EiidEEvT5_PKS1_S3_NS_24const_host_device_scalarIT6_EEPKT4_S3_PKS5_S9_S3_SB_S6_S9_S3_SB_S9_PS1_PS5_21rocsparse_index_base_SE_SE_SE_bbb,"axG",@progbits,_ZN9rocsparseL26csrgemm_fill_block_per_rowILj1024ELj32ELj2048ELj137ELj64EiidEEvT5_PKS1_S3_NS_24const_host_device_scalarIT6_EEPKT4_S3_PKS5_S9_S3_SB_S6_S9_S3_SB_S9_PS1_PS5_21rocsparse_index_base_SE_SE_SE_bbb,comdat
.Lfunc_end34:
	.size	_ZN9rocsparseL26csrgemm_fill_block_per_rowILj1024ELj32ELj2048ELj137ELj64EiidEEvT5_PKS1_S3_NS_24const_host_device_scalarIT6_EEPKT4_S3_PKS5_S9_S3_SB_S6_S9_S3_SB_S9_PS1_PS5_21rocsparse_index_base_SE_SE_SE_bbb, .Lfunc_end34-_ZN9rocsparseL26csrgemm_fill_block_per_rowILj1024ELj32ELj2048ELj137ELj64EiidEEvT5_PKS1_S3_NS_24const_host_device_scalarIT6_EEPKT4_S3_PKS5_S9_S3_SB_S6_S9_S3_SB_S9_PS1_PS5_21rocsparse_index_base_SE_SE_SE_bbb
                                        ; -- End function
	.section	.AMDGPU.csdata,"",@progbits
; Kernel info:
; codeLenInByte = 3320
; NumSgprs: 56
; NumVgprs: 24
; NumAgprs: 0
; TotalNumVgprs: 24
; ScratchSize: 0
; MemoryBound: 0
; FloatMode: 240
; IeeeMode: 1
; LDSByteSize: 0 bytes/workgroup (compile time only)
; SGPRBlocks: 6
; VGPRBlocks: 2
; NumSGPRsForWavesPerEU: 56
; NumVGPRsForWavesPerEU: 24
; AccumOffset: 24
; Occupancy: 8
; WaveLimiterHint : 1
; COMPUTE_PGM_RSRC2:SCRATCH_EN: 0
; COMPUTE_PGM_RSRC2:USER_SGPR: 6
; COMPUTE_PGM_RSRC2:TRAP_HANDLER: 0
; COMPUTE_PGM_RSRC2:TGID_X_EN: 1
; COMPUTE_PGM_RSRC2:TGID_Y_EN: 0
; COMPUTE_PGM_RSRC2:TGID_Z_EN: 0
; COMPUTE_PGM_RSRC2:TIDIG_COMP_CNT: 0
; COMPUTE_PGM_RSRC3_GFX90A:ACCUM_OFFSET: 5
; COMPUTE_PGM_RSRC3_GFX90A:TG_SPLIT: 0
	.section	.text._ZN9rocsparseL26csrgemm_fill_block_per_rowILj1024ELj64ELj4096ELj137ELj32EiidEEvT5_PKS1_S3_NS_24const_host_device_scalarIT6_EEPKT4_S3_PKS5_S9_S3_SB_S6_S9_S3_SB_S9_PS1_PS5_21rocsparse_index_base_SE_SE_SE_bbb,"axG",@progbits,_ZN9rocsparseL26csrgemm_fill_block_per_rowILj1024ELj64ELj4096ELj137ELj32EiidEEvT5_PKS1_S3_NS_24const_host_device_scalarIT6_EEPKT4_S3_PKS5_S9_S3_SB_S6_S9_S3_SB_S9_PS1_PS5_21rocsparse_index_base_SE_SE_SE_bbb,comdat
	.globl	_ZN9rocsparseL26csrgemm_fill_block_per_rowILj1024ELj64ELj4096ELj137ELj32EiidEEvT5_PKS1_S3_NS_24const_host_device_scalarIT6_EEPKT4_S3_PKS5_S9_S3_SB_S6_S9_S3_SB_S9_PS1_PS5_21rocsparse_index_base_SE_SE_SE_bbb ; -- Begin function _ZN9rocsparseL26csrgemm_fill_block_per_rowILj1024ELj64ELj4096ELj137ELj32EiidEEvT5_PKS1_S3_NS_24const_host_device_scalarIT6_EEPKT4_S3_PKS5_S9_S3_SB_S6_S9_S3_SB_S9_PS1_PS5_21rocsparse_index_base_SE_SE_SE_bbb
	.p2align	8
	.type	_ZN9rocsparseL26csrgemm_fill_block_per_rowILj1024ELj64ELj4096ELj137ELj32EiidEEvT5_PKS1_S3_NS_24const_host_device_scalarIT6_EEPKT4_S3_PKS5_S9_S3_SB_S6_S9_S3_SB_S9_PS1_PS5_21rocsparse_index_base_SE_SE_SE_bbb,@function
_ZN9rocsparseL26csrgemm_fill_block_per_rowILj1024ELj64ELj4096ELj137ELj32EiidEEvT5_PKS1_S3_NS_24const_host_device_scalarIT6_EEPKT4_S3_PKS5_S9_S3_SB_S6_S9_S3_SB_S9_PS1_PS5_21rocsparse_index_base_SE_SE_SE_bbb: ; @_ZN9rocsparseL26csrgemm_fill_block_per_rowILj1024ELj64ELj4096ELj137ELj32EiidEEvT5_PKS1_S3_NS_24const_host_device_scalarIT6_EEPKT4_S3_PKS5_S9_S3_SB_S6_S9_S3_SB_S9_PS1_PS5_21rocsparse_index_base_SE_SE_SE_bbb
; %bb.0:
	s_load_dword s7, s[4:5], 0x98
	s_load_dwordx4 s[68:71], s[4:5], 0x88
	s_load_dwordx2 s[0:1], s[4:5], 0x18
	s_load_dwordx2 s[24:25], s[4:5], 0x50
	s_waitcnt lgkmcnt(0)
	s_and_b32 s2, 1, s7
	s_bitcmp1_b32 s7, 16
	s_cselect_b64 s[26:27], -1, 0
	s_cmp_eq_u32 s2, 1
	s_cselect_b64 s[22:23], -1, 0
	s_and_b64 s[2:3], s[22:23], exec
	s_cselect_b32 s3, s1, 0
	s_cselect_b32 s2, s0, 0
	s_xor_b64 s[8:9], s[22:23], -1
	s_or_b64 s[8:9], s[8:9], s[26:27]
	s_and_b64 vcc, exec, s[8:9]
	v_pk_mov_b32 v[4:5], s[2:3], s[2:3] op_sel:[0,1]
	s_cbranch_vccnz .LBB35_2
; %bb.1:
	v_pk_mov_b32 v[2:3], s[0:1], s[0:1] op_sel:[0,1]
	flat_load_dwordx2 v[4:5], v[2:3]
.LBB35_2:
	s_load_dwordx4 s[72:75], s[4:5], 0x78
	s_load_dwordx8 s[60:67], s[4:5], 0x58
	s_load_dwordx4 s[0:3], s[4:5], 0x40
	s_load_dwordx4 s[16:19], s[4:5], 0x8
	s_load_dwordx8 s[8:15], s[4:5], 0x20
	s_bitcmp1_b32 s7, 8
	s_cselect_b64 s[20:21], -1, 0
	s_and_b64 s[28:29], s[20:21], exec
	s_cselect_b32 s29, s25, 0
	s_cselect_b32 s28, s24, 0
	s_xor_b64 s[30:31], s[20:21], -1
	s_or_b64 s[26:27], s[30:31], s[26:27]
	s_and_b64 vcc, exec, s[26:27]
	v_pk_mov_b32 v[2:3], s[28:29], s[28:29] op_sel:[0,1]
	s_cbranch_vccnz .LBB35_4
; %bb.3:
	v_pk_mov_b32 v[2:3], s[24:25], s[24:25] op_sel:[0,1]
	flat_load_dwordx2 v[2:3], v[2:3]
.LBB35_4:
	s_load_dword s33, s[4:5], 0x0
	v_lshl_add_u32 v1, v0, 3, 0
	v_mov_b32_e32 v6, 0
	v_add_u32_e32 v1, 0x4000, v1
	v_or_b32_e32 v14, 0xfffffc00, v0
	v_lshl_add_u32 v15, v0, 2, 0
	s_mov_b64 s[4:5], 0
	s_waitcnt lgkmcnt(0)
	v_mov_b32_e32 v8, s33
	v_mov_b32_e32 v7, v6
	s_movk_i32 s7, 0xbff
	v_mov_b32_e32 v9, v15
	v_mov_b32_e32 v10, v14
	;; [unrolled: 1-line block ×3, first 2 shown]
.LBB35_5:                               ; =>This Inner Loop Header: Depth=1
	v_add_u32_e32 v10, 0x400, v10
	v_cmp_lt_u32_e32 vcc, s7, v10
	ds_write_b32 v9, v8
	ds_write_b64 v11, v[6:7]
	v_add_u32_e32 v11, 0x2000, v11
	s_or_b64 s[4:5], vcc, s[4:5]
	v_add_u32_e32 v9, 0x1000, v9
	s_andn2_b64 exec, exec, s[4:5]
	s_cbranch_execnz .LBB35_5
; %bb.6:
	s_or_b64 exec, exec, s[4:5]
	s_waitcnt lgkmcnt(0)
	s_barrier
	s_load_dword s4, s[16:17], 0x0
	s_mov_b32 s5, 0
	s_waitcnt lgkmcnt(0)
	s_add_i32 s4, s4, s6
	s_lshl_b64 s[4:5], s[4:5], 2
	s_add_u32 s4, s18, s4
	s_addc_u32 s5, s19, s5
	s_load_dword s76, s[4:5], 0x0
	s_and_b64 vcc, exec, s[22:23]
	s_cbranch_vccz .LBB35_26
; %bb.7:
	s_waitcnt lgkmcnt(0)
	s_ashr_i32 s77, s76, 31
	s_lshl_b64 s[4:5], s[76:77], 2
	s_add_u32 s4, s8, s4
	s_addc_u32 s5, s9, s5
	s_load_dwordx2 s[4:5], s[4:5], 0x0
	v_lshrrev_b32_e32 v6, 6, v0
	v_subrev_u32_e32 v6, s68, v6
	s_waitcnt lgkmcnt(0)
	s_sub_i32 s34, s5, s68
	v_add_u32_e32 v6, s4, v6
	v_cmp_gt_i32_e32 vcc, s34, v6
	s_and_saveexec_b64 s[4:5], vcc
	s_cbranch_execz .LBB35_25
; %bb.8:
	v_and_b32_e32 v7, 63, v0
	v_subrev_u32_e32 v16, s69, v7
	s_mov_b64 s[6:7], 0
	v_mov_b32_e32 v17, s11
	v_mov_b32_e32 v18, s15
	s_movk_i32 s11, 0x89
	s_branch .LBB35_10
.LBB35_9:                               ;   in Loop: Header=BB35_10 Depth=1
	s_or_b64 exec, exec, s[8:9]
	v_add_u32_e32 v6, 16, v6
	v_cmp_le_i32_e32 vcc, s34, v6
	s_or_b64 s[6:7], vcc, s[6:7]
	s_andn2_b64 exec, exec, s[6:7]
	s_cbranch_execz .LBB35_25
.LBB35_10:                              ; =>This Loop Header: Depth=1
                                        ;     Child Loop BB35_13 Depth 2
                                        ;       Child Loop BB35_15 Depth 3
	v_ashrrev_i32_e32 v7, 31, v6
	v_lshlrev_b64 v[8:9], 2, v[6:7]
	v_add_co_u32_e32 v8, vcc, s10, v8
	v_addc_co_u32_e32 v9, vcc, v17, v9, vcc
	global_load_dword v8, v[8:9], off
	s_waitcnt vmcnt(0)
	v_subrev_u32_e32 v8, s68, v8
	v_ashrrev_i32_e32 v9, 31, v8
	v_lshlrev_b64 v[8:9], 2, v[8:9]
	v_add_co_u32_e32 v8, vcc, s14, v8
	v_addc_co_u32_e32 v9, vcc, v18, v9, vcc
	global_load_dwordx2 v[8:9], v[8:9], off
	s_waitcnt vmcnt(0)
	v_subrev_u32_e32 v19, s69, v9
	v_add_u32_e32 v8, v8, v16
	v_cmp_lt_i32_e32 vcc, v8, v19
	s_and_saveexec_b64 s[8:9], vcc
	s_cbranch_execz .LBB35_9
; %bb.11:                               ;   in Loop: Header=BB35_10 Depth=1
	v_lshlrev_b64 v[10:11], 3, v[6:7]
	v_mov_b32_e32 v7, s13
	v_add_co_u32_e32 v10, vcc, s12, v10
	v_addc_co_u32_e32 v11, vcc, v7, v11, vcc
	global_load_dwordx2 v[10:11], v[10:11], off
	s_mov_b64 s[16:17], 0
	s_waitcnt vmcnt(0)
	v_mul_f64 v[10:11], v[4:5], v[10:11]
	s_branch .LBB35_13
.LBB35_12:                              ;   in Loop: Header=BB35_13 Depth=2
	s_or_b64 exec, exec, s[18:19]
	v_add_u32_e32 v8, 64, v8
	v_cmp_ge_i32_e32 vcc, v8, v19
	s_or_b64 s[16:17], vcc, s[16:17]
	s_andn2_b64 exec, exec, s[16:17]
	s_cbranch_execz .LBB35_9
.LBB35_13:                              ;   Parent Loop BB35_10 Depth=1
                                        ; =>  This Loop Header: Depth=2
                                        ;       Child Loop BB35_15 Depth 3
	v_ashrrev_i32_e32 v9, 31, v8
	v_lshlrev_b64 v[12:13], 2, v[8:9]
	v_mov_b32_e32 v7, s1
	v_add_co_u32_e32 v12, vcc, s0, v12
	v_addc_co_u32_e32 v13, vcc, v7, v13, vcc
	global_load_dword v7, v[12:13], off
	v_lshlrev_b64 v[12:13], 3, v[8:9]
	v_mov_b32_e32 v9, s3
	v_add_co_u32_e32 v12, vcc, s2, v12
	v_addc_co_u32_e32 v13, vcc, v9, v13, vcc
	global_load_dwordx2 v[12:13], v[12:13], off
	s_mov_b64 s[18:19], 0
	s_waitcnt vmcnt(1)
	v_subrev_u32_e32 v7, s69, v7
	v_mul_lo_u32 v9, v7, s11
	v_and_b32_e32 v9, 0xfff, v9
	s_waitcnt vmcnt(0)
	v_mul_f64 v[12:13], v[10:11], v[12:13]
	s_branch .LBB35_15
.LBB35_14:                              ;   in Loop: Header=BB35_15 Depth=3
	s_or_b64 exec, exec, s[22:23]
	s_xor_b64 s[22:23], s[24:25], -1
	s_and_b64 s[22:23], exec, s[22:23]
	s_or_b64 s[18:19], s[22:23], s[18:19]
	s_andn2_b64 exec, exec, s[18:19]
	s_cbranch_execz .LBB35_12
.LBB35_15:                              ;   Parent Loop BB35_10 Depth=1
                                        ;     Parent Loop BB35_13 Depth=2
                                        ; =>    This Inner Loop Header: Depth=3
	v_lshl_add_u32 v20, v9, 2, 0
	ds_read_b32 v21, v20
                                        ; implicit-def: $sgpr24_sgpr25
	s_waitcnt lgkmcnt(0)
	v_cmp_ne_u32_e32 vcc, v21, v7
	s_and_saveexec_b64 s[22:23], vcc
	s_xor_b64 s[22:23], exec, s[22:23]
	s_cbranch_execz .LBB35_23
; %bb.16:                               ;   in Loop: Header=BB35_15 Depth=3
	v_cmp_ne_u32_e32 vcc, s33, v21
                                        ; implicit-def: $sgpr24_sgpr25
	s_and_saveexec_b64 s[26:27], vcc
	s_xor_b64 s[26:27], exec, s[26:27]
; %bb.17:                               ;   in Loop: Header=BB35_15 Depth=3
	v_add_u32_e32 v9, 1, v9
	v_and_b32_e32 v9, 0xfff, v9
	s_mov_b64 s[24:25], -1
                                        ; implicit-def: $vgpr20
; %bb.18:                               ;   in Loop: Header=BB35_15 Depth=3
	s_andn2_saveexec_b64 s[26:27], s[26:27]
	s_cbranch_execz .LBB35_22
; %bb.19:                               ;   in Loop: Header=BB35_15 Depth=3
	v_mov_b32_e32 v21, s33
	ds_cmpst_rtn_b32 v21, v20, v21, v7
	s_mov_b64 s[28:29], -1
	s_waitcnt lgkmcnt(0)
	v_cmp_eq_u32_e32 vcc, s33, v21
	s_and_saveexec_b64 s[30:31], vcc
	s_cbranch_execz .LBB35_21
; %bb.20:                               ;   in Loop: Header=BB35_15 Depth=3
	v_lshl_add_u32 v20, v9, 2, v20
	ds_add_f64 v20, v[12:13] offset:16384
	s_xor_b64 s[28:29], exec, -1
.LBB35_21:                              ;   in Loop: Header=BB35_15 Depth=3
	s_or_b64 exec, exec, s[30:31]
	s_andn2_b64 s[24:25], s[24:25], exec
	s_and_b64 s[28:29], s[28:29], exec
	s_or_b64 s[24:25], s[24:25], s[28:29]
.LBB35_22:                              ;   in Loop: Header=BB35_15 Depth=3
	s_or_b64 exec, exec, s[26:27]
	s_and_b64 s[24:25], s[24:25], exec
                                        ; implicit-def: $vgpr20
.LBB35_23:                              ;   in Loop: Header=BB35_15 Depth=3
	s_andn2_saveexec_b64 s[22:23], s[22:23]
	s_cbranch_execz .LBB35_14
; %bb.24:                               ;   in Loop: Header=BB35_15 Depth=3
	v_lshl_add_u32 v20, v9, 2, v20
	ds_add_f64 v20, v[12:13] offset:16384
	s_andn2_b64 s[24:25], s[24:25], exec
	s_branch .LBB35_14
.LBB35_25:
	s_or_b64 exec, exec, s[4:5]
.LBB35_26:
	s_andn2_b64 vcc, exec, s[20:21]
	s_cbranch_vccnz .LBB35_43
; %bb.27:
	s_waitcnt lgkmcnt(0)
	s_ashr_i32 s77, s76, 31
	s_lshl_b64 s[0:1], s[76:77], 2
	s_add_u32 s0, s60, s0
	s_addc_u32 s1, s61, s1
	s_load_dwordx2 s[0:1], s[0:1], 0x0
	s_waitcnt vmcnt(0)
	v_subrev_u32_e32 v4, s71, v0
	s_waitcnt lgkmcnt(0)
	s_sub_i32 s16, s1, s71
	v_add_u32_e32 v4, s0, v4
	v_cmp_gt_i32_e32 vcc, s16, v4
	s_and_saveexec_b64 s[0:1], vcc
	s_cbranch_execz .LBB35_42
; %bb.28:
	s_mov_b64 s[2:3], 0
	v_mov_b32_e32 v8, s63
	v_mov_b32_e32 v9, s65
	s_movk_i32 s17, 0x89
	s_branch .LBB35_30
.LBB35_29:                              ;   in Loop: Header=BB35_30 Depth=1
	s_or_b64 exec, exec, s[4:5]
	v_add_u32_e32 v4, 0x400, v4
	v_cmp_le_i32_e32 vcc, s16, v4
	s_or_b64 s[2:3], vcc, s[2:3]
	s_andn2_b64 exec, exec, s[2:3]
	s_cbranch_execz .LBB35_42
.LBB35_30:                              ; =>This Loop Header: Depth=1
                                        ;     Child Loop BB35_32 Depth 2
	v_ashrrev_i32_e32 v5, 31, v4
	v_lshlrev_b64 v[6:7], 2, v[4:5]
	v_add_co_u32_e32 v6, vcc, s62, v6
	v_addc_co_u32_e32 v7, vcc, v8, v7, vcc
	global_load_dword v10, v[6:7], off
	v_lshlrev_b64 v[6:7], 3, v[4:5]
	v_add_co_u32_e32 v6, vcc, s64, v6
	v_addc_co_u32_e32 v7, vcc, v9, v7, vcc
	global_load_dwordx2 v[6:7], v[6:7], off
	s_mov_b64 s[4:5], 0
	s_waitcnt vmcnt(1)
	v_subrev_u32_e32 v5, s71, v10
	v_mul_lo_u32 v10, v5, s17
	v_and_b32_e32 v10, 0xfff, v10
	s_waitcnt vmcnt(0)
	v_mul_f64 v[6:7], v[2:3], v[6:7]
	s_branch .LBB35_32
.LBB35_31:                              ;   in Loop: Header=BB35_32 Depth=2
	s_or_b64 exec, exec, s[6:7]
	s_xor_b64 s[6:7], s[8:9], -1
	s_and_b64 s[6:7], exec, s[6:7]
	s_or_b64 s[4:5], s[6:7], s[4:5]
	s_andn2_b64 exec, exec, s[4:5]
	s_cbranch_execz .LBB35_29
.LBB35_32:                              ;   Parent Loop BB35_30 Depth=1
                                        ; =>  This Inner Loop Header: Depth=2
	v_lshl_add_u32 v11, v10, 2, 0
	ds_read_b32 v12, v11
                                        ; implicit-def: $sgpr8_sgpr9
	s_waitcnt lgkmcnt(0)
	v_cmp_ne_u32_e32 vcc, v12, v5
	s_and_saveexec_b64 s[6:7], vcc
	s_xor_b64 s[6:7], exec, s[6:7]
	s_cbranch_execz .LBB35_40
; %bb.33:                               ;   in Loop: Header=BB35_32 Depth=2
	v_cmp_ne_u32_e32 vcc, s33, v12
                                        ; implicit-def: $sgpr8_sgpr9
	s_and_saveexec_b64 s[10:11], vcc
	s_xor_b64 s[10:11], exec, s[10:11]
; %bb.34:                               ;   in Loop: Header=BB35_32 Depth=2
	v_add_u32_e32 v10, 1, v10
	v_and_b32_e32 v10, 0xfff, v10
	s_mov_b64 s[8:9], -1
                                        ; implicit-def: $vgpr11
; %bb.35:                               ;   in Loop: Header=BB35_32 Depth=2
	s_andn2_saveexec_b64 s[10:11], s[10:11]
	s_cbranch_execz .LBB35_39
; %bb.36:                               ;   in Loop: Header=BB35_32 Depth=2
	v_mov_b32_e32 v12, s33
	ds_cmpst_rtn_b32 v12, v11, v12, v5
	s_mov_b64 s[12:13], -1
	s_waitcnt lgkmcnt(0)
	v_cmp_eq_u32_e32 vcc, s33, v12
	s_and_saveexec_b64 s[14:15], vcc
	s_cbranch_execz .LBB35_38
; %bb.37:                               ;   in Loop: Header=BB35_32 Depth=2
	v_lshl_add_u32 v11, v10, 2, v11
	ds_add_f64 v11, v[6:7] offset:16384
	s_xor_b64 s[12:13], exec, -1
.LBB35_38:                              ;   in Loop: Header=BB35_32 Depth=2
	s_or_b64 exec, exec, s[14:15]
	s_andn2_b64 s[8:9], s[8:9], exec
	s_and_b64 s[12:13], s[12:13], exec
	s_or_b64 s[8:9], s[8:9], s[12:13]
.LBB35_39:                              ;   in Loop: Header=BB35_32 Depth=2
	s_or_b64 exec, exec, s[10:11]
	s_and_b64 s[8:9], s[8:9], exec
                                        ; implicit-def: $vgpr11
.LBB35_40:                              ;   in Loop: Header=BB35_32 Depth=2
	s_andn2_saveexec_b64 s[6:7], s[6:7]
	s_cbranch_execz .LBB35_31
; %bb.41:                               ;   in Loop: Header=BB35_32 Depth=2
	v_lshl_add_u32 v11, v10, 2, v11
	ds_add_f64 v11, v[6:7] offset:16384
	s_andn2_b64 s[8:9], s[8:9], exec
	s_branch .LBB35_31
.LBB35_42:
	s_or_b64 exec, exec, s[0:1]
.LBB35_43:
	s_waitcnt vmcnt(0)
	v_mbcnt_lo_u32_b32 v2, -1, 0
	v_mbcnt_hi_u32_b32 v2, -1, v2
	v_lshrrev_b32_e32 v4, 3, v0
	v_sub_u32_e32 v2, 63, v2
	v_and_b32_e32 v4, 0x7c, v4
	s_movk_i32 s0, 0x3ff
	s_movk_i32 s4, 0x5f
	;; [unrolled: 1-line block ×30, first 2 shown]
	v_mov_b32_e32 v6, 0
	v_lshrrev_b64 v[2:3], v2, -1
	v_add_u32_e32 v7, 0, v4
	v_cmp_eq_u32_e32 vcc, s0, v0
	v_cmp_lt_u32_e64 s[0:1], 31, v0
	v_cmp_lt_u32_e64 s[2:3], 63, v0
	;; [unrolled: 1-line block ×31, first 2 shown]
	s_mov_b64 s[68:69], 0
	s_movk_i32 s71, 0xbff
	v_mov_b32_e32 v8, 0
	s_waitcnt lgkmcnt(0)
	s_barrier
	s_branch .LBB35_45
.LBB35_44:                              ;   in Loop: Header=BB35_45 Depth=1
	s_or_b64 exec, exec, s[64:65]
	s_waitcnt lgkmcnt(0)
	s_barrier
	ds_read_b32 v4, v6 offset:49276
	v_add_u32_e32 v14, 0x400, v14
	v_cmp_lt_u32_e64 s[64:65], s71, v14
	v_add_u32_e32 v1, 0x2000, v1
	s_or_b64 s[68:69], s[64:65], s[68:69]
	s_waitcnt lgkmcnt(0)
	v_add_u32_e32 v8, v4, v8
	v_add_u32_e32 v15, 0x1000, v15
	s_andn2_b64 exec, exec, s[68:69]
	s_cbranch_execz .LBB35_111
.LBB35_45:                              ; =>This Inner Loop Header: Depth=1
	ds_read_b32 v9, v15
	ds_read_b64 v[4:5], v1
	s_waitcnt lgkmcnt(0)
	s_barrier
	v_cmp_gt_i32_e64 s[64:65], s33, v9
	v_and_b32_e32 v11, s64, v2
	s_bcnt1_i32_b64 s77, s[64:65]
	v_and_b32_e32 v10, s65, v3
	v_bcnt_u32_b32 v11, v11, 0
	v_bcnt_u32_b32 v10, v10, v11
	v_mov_b32_e32 v11, s77
	ds_write_b32 v7, v11 offset:49152
	s_waitcnt lgkmcnt(0)
	s_barrier
	s_and_saveexec_b64 s[78:79], s[0:1]
	s_cbranch_execnz .LBB35_78
; %bb.46:                               ;   in Loop: Header=BB35_45 Depth=1
	s_or_b64 exec, exec, s[78:79]
	s_and_saveexec_b64 s[78:79], s[2:3]
	s_cbranch_execnz .LBB35_79
.LBB35_47:                              ;   in Loop: Header=BB35_45 Depth=1
	s_or_b64 exec, exec, s[78:79]
	s_and_saveexec_b64 s[78:79], s[4:5]
	s_cbranch_execnz .LBB35_80
.LBB35_48:                              ;   in Loop: Header=BB35_45 Depth=1
	s_or_b64 exec, exec, s[78:79]
	s_and_saveexec_b64 s[78:79], s[6:7]
	s_cbranch_execnz .LBB35_81
.LBB35_49:                              ;   in Loop: Header=BB35_45 Depth=1
	s_or_b64 exec, exec, s[78:79]
	s_and_saveexec_b64 s[78:79], s[8:9]
	s_cbranch_execnz .LBB35_82
.LBB35_50:                              ;   in Loop: Header=BB35_45 Depth=1
	s_or_b64 exec, exec, s[78:79]
	s_and_saveexec_b64 s[78:79], s[10:11]
	s_cbranch_execnz .LBB35_83
.LBB35_51:                              ;   in Loop: Header=BB35_45 Depth=1
	s_or_b64 exec, exec, s[78:79]
	s_and_saveexec_b64 s[78:79], s[12:13]
	s_cbranch_execnz .LBB35_84
.LBB35_52:                              ;   in Loop: Header=BB35_45 Depth=1
	s_or_b64 exec, exec, s[78:79]
	s_and_saveexec_b64 s[78:79], s[14:15]
	s_cbranch_execnz .LBB35_85
.LBB35_53:                              ;   in Loop: Header=BB35_45 Depth=1
	s_or_b64 exec, exec, s[78:79]
	s_and_saveexec_b64 s[78:79], s[16:17]
	s_cbranch_execnz .LBB35_86
.LBB35_54:                              ;   in Loop: Header=BB35_45 Depth=1
	s_or_b64 exec, exec, s[78:79]
	s_and_saveexec_b64 s[78:79], s[18:19]
	s_cbranch_execnz .LBB35_87
.LBB35_55:                              ;   in Loop: Header=BB35_45 Depth=1
	s_or_b64 exec, exec, s[78:79]
	s_and_saveexec_b64 s[78:79], s[20:21]
	s_cbranch_execnz .LBB35_88
.LBB35_56:                              ;   in Loop: Header=BB35_45 Depth=1
	s_or_b64 exec, exec, s[78:79]
	s_and_saveexec_b64 s[78:79], s[22:23]
	s_cbranch_execnz .LBB35_89
.LBB35_57:                              ;   in Loop: Header=BB35_45 Depth=1
	s_or_b64 exec, exec, s[78:79]
	s_and_saveexec_b64 s[78:79], s[24:25]
	s_cbranch_execnz .LBB35_90
.LBB35_58:                              ;   in Loop: Header=BB35_45 Depth=1
	s_or_b64 exec, exec, s[78:79]
	s_and_saveexec_b64 s[78:79], s[26:27]
	s_cbranch_execnz .LBB35_91
.LBB35_59:                              ;   in Loop: Header=BB35_45 Depth=1
	s_or_b64 exec, exec, s[78:79]
	s_and_saveexec_b64 s[78:79], s[28:29]
	s_cbranch_execnz .LBB35_92
.LBB35_60:                              ;   in Loop: Header=BB35_45 Depth=1
	s_or_b64 exec, exec, s[78:79]
	s_and_saveexec_b64 s[78:79], s[30:31]
	s_cbranch_execnz .LBB35_93
.LBB35_61:                              ;   in Loop: Header=BB35_45 Depth=1
	s_or_b64 exec, exec, s[78:79]
	s_and_saveexec_b64 s[78:79], s[34:35]
	s_cbranch_execnz .LBB35_94
.LBB35_62:                              ;   in Loop: Header=BB35_45 Depth=1
	s_or_b64 exec, exec, s[78:79]
	s_and_saveexec_b64 s[78:79], s[36:37]
	s_cbranch_execnz .LBB35_95
.LBB35_63:                              ;   in Loop: Header=BB35_45 Depth=1
	s_or_b64 exec, exec, s[78:79]
	s_and_saveexec_b64 s[78:79], s[38:39]
	s_cbranch_execnz .LBB35_96
.LBB35_64:                              ;   in Loop: Header=BB35_45 Depth=1
	s_or_b64 exec, exec, s[78:79]
	s_and_saveexec_b64 s[78:79], s[40:41]
	s_cbranch_execnz .LBB35_97
.LBB35_65:                              ;   in Loop: Header=BB35_45 Depth=1
	s_or_b64 exec, exec, s[78:79]
	s_and_saveexec_b64 s[78:79], s[42:43]
	s_cbranch_execnz .LBB35_98
.LBB35_66:                              ;   in Loop: Header=BB35_45 Depth=1
	s_or_b64 exec, exec, s[78:79]
	s_and_saveexec_b64 s[78:79], s[44:45]
	s_cbranch_execnz .LBB35_99
.LBB35_67:                              ;   in Loop: Header=BB35_45 Depth=1
	s_or_b64 exec, exec, s[78:79]
	s_and_saveexec_b64 s[78:79], s[46:47]
	s_cbranch_execnz .LBB35_100
.LBB35_68:                              ;   in Loop: Header=BB35_45 Depth=1
	s_or_b64 exec, exec, s[78:79]
	s_and_saveexec_b64 s[78:79], s[48:49]
	s_cbranch_execnz .LBB35_101
.LBB35_69:                              ;   in Loop: Header=BB35_45 Depth=1
	s_or_b64 exec, exec, s[78:79]
	s_and_saveexec_b64 s[78:79], s[50:51]
	s_cbranch_execnz .LBB35_102
.LBB35_70:                              ;   in Loop: Header=BB35_45 Depth=1
	s_or_b64 exec, exec, s[78:79]
	s_and_saveexec_b64 s[78:79], s[52:53]
	s_cbranch_execnz .LBB35_103
.LBB35_71:                              ;   in Loop: Header=BB35_45 Depth=1
	s_or_b64 exec, exec, s[78:79]
	s_and_saveexec_b64 s[78:79], s[54:55]
	s_cbranch_execnz .LBB35_104
.LBB35_72:                              ;   in Loop: Header=BB35_45 Depth=1
	s_or_b64 exec, exec, s[78:79]
	s_and_saveexec_b64 s[78:79], s[56:57]
	s_cbranch_execnz .LBB35_105
.LBB35_73:                              ;   in Loop: Header=BB35_45 Depth=1
	s_or_b64 exec, exec, s[78:79]
	s_and_saveexec_b64 s[78:79], s[58:59]
	s_cbranch_execnz .LBB35_106
.LBB35_74:                              ;   in Loop: Header=BB35_45 Depth=1
	s_or_b64 exec, exec, s[78:79]
	s_and_saveexec_b64 s[78:79], s[60:61]
	s_cbranch_execnz .LBB35_107
.LBB35_75:                              ;   in Loop: Header=BB35_45 Depth=1
	s_or_b64 exec, exec, s[78:79]
	s_and_saveexec_b64 s[78:79], s[62:63]
	s_cbranch_execnz .LBB35_108
.LBB35_76:                              ;   in Loop: Header=BB35_45 Depth=1
	s_or_b64 exec, exec, s[78:79]
	s_and_saveexec_b64 s[78:79], s[64:65]
	s_cbranch_execnz .LBB35_109
.LBB35_77:                              ;   in Loop: Header=BB35_45 Depth=1
	s_or_b64 exec, exec, s[78:79]
	s_and_saveexec_b64 s[64:65], vcc
	s_cbranch_execz .LBB35_44
	s_branch .LBB35_110
.LBB35_78:                              ;   in Loop: Header=BB35_45 Depth=1
	ds_read_b32 v11, v6 offset:49152
	s_waitcnt lgkmcnt(0)
	v_add_u32_e32 v10, v11, v10
	s_or_b64 exec, exec, s[78:79]
	s_and_saveexec_b64 s[78:79], s[2:3]
	s_cbranch_execz .LBB35_47
.LBB35_79:                              ;   in Loop: Header=BB35_45 Depth=1
	ds_read_b32 v11, v6 offset:49156
	s_waitcnt lgkmcnt(0)
	v_add_u32_e32 v10, v11, v10
	s_or_b64 exec, exec, s[78:79]
	s_and_saveexec_b64 s[78:79], s[4:5]
	s_cbranch_execz .LBB35_48
.LBB35_80:                              ;   in Loop: Header=BB35_45 Depth=1
	ds_read_b32 v11, v6 offset:49160
	s_waitcnt lgkmcnt(0)
	v_add_u32_e32 v10, v11, v10
	s_or_b64 exec, exec, s[78:79]
	s_and_saveexec_b64 s[78:79], s[6:7]
	s_cbranch_execz .LBB35_49
.LBB35_81:                              ;   in Loop: Header=BB35_45 Depth=1
	ds_read_b32 v11, v6 offset:49164
	s_waitcnt lgkmcnt(0)
	v_add_u32_e32 v10, v11, v10
	s_or_b64 exec, exec, s[78:79]
	s_and_saveexec_b64 s[78:79], s[8:9]
	s_cbranch_execz .LBB35_50
.LBB35_82:                              ;   in Loop: Header=BB35_45 Depth=1
	ds_read_b32 v11, v6 offset:49168
	s_waitcnt lgkmcnt(0)
	v_add_u32_e32 v10, v11, v10
	s_or_b64 exec, exec, s[78:79]
	s_and_saveexec_b64 s[78:79], s[10:11]
	s_cbranch_execz .LBB35_51
.LBB35_83:                              ;   in Loop: Header=BB35_45 Depth=1
	ds_read_b32 v11, v6 offset:49172
	s_waitcnt lgkmcnt(0)
	v_add_u32_e32 v10, v11, v10
	s_or_b64 exec, exec, s[78:79]
	s_and_saveexec_b64 s[78:79], s[12:13]
	s_cbranch_execz .LBB35_52
.LBB35_84:                              ;   in Loop: Header=BB35_45 Depth=1
	ds_read_b32 v11, v6 offset:49176
	s_waitcnt lgkmcnt(0)
	v_add_u32_e32 v10, v11, v10
	s_or_b64 exec, exec, s[78:79]
	s_and_saveexec_b64 s[78:79], s[14:15]
	s_cbranch_execz .LBB35_53
.LBB35_85:                              ;   in Loop: Header=BB35_45 Depth=1
	ds_read_b32 v11, v6 offset:49180
	s_waitcnt lgkmcnt(0)
	v_add_u32_e32 v10, v11, v10
	s_or_b64 exec, exec, s[78:79]
	s_and_saveexec_b64 s[78:79], s[16:17]
	s_cbranch_execz .LBB35_54
.LBB35_86:                              ;   in Loop: Header=BB35_45 Depth=1
	ds_read_b32 v11, v6 offset:49184
	s_waitcnt lgkmcnt(0)
	v_add_u32_e32 v10, v11, v10
	s_or_b64 exec, exec, s[78:79]
	s_and_saveexec_b64 s[78:79], s[18:19]
	s_cbranch_execz .LBB35_55
.LBB35_87:                              ;   in Loop: Header=BB35_45 Depth=1
	ds_read_b32 v11, v6 offset:49188
	s_waitcnt lgkmcnt(0)
	v_add_u32_e32 v10, v11, v10
	s_or_b64 exec, exec, s[78:79]
	s_and_saveexec_b64 s[78:79], s[20:21]
	s_cbranch_execz .LBB35_56
.LBB35_88:                              ;   in Loop: Header=BB35_45 Depth=1
	ds_read_b32 v11, v6 offset:49192
	s_waitcnt lgkmcnt(0)
	v_add_u32_e32 v10, v11, v10
	s_or_b64 exec, exec, s[78:79]
	s_and_saveexec_b64 s[78:79], s[22:23]
	s_cbranch_execz .LBB35_57
.LBB35_89:                              ;   in Loop: Header=BB35_45 Depth=1
	ds_read_b32 v11, v6 offset:49196
	s_waitcnt lgkmcnt(0)
	v_add_u32_e32 v10, v11, v10
	s_or_b64 exec, exec, s[78:79]
	s_and_saveexec_b64 s[78:79], s[24:25]
	s_cbranch_execz .LBB35_58
.LBB35_90:                              ;   in Loop: Header=BB35_45 Depth=1
	ds_read_b32 v11, v6 offset:49200
	s_waitcnt lgkmcnt(0)
	v_add_u32_e32 v10, v11, v10
	s_or_b64 exec, exec, s[78:79]
	s_and_saveexec_b64 s[78:79], s[26:27]
	s_cbranch_execz .LBB35_59
.LBB35_91:                              ;   in Loop: Header=BB35_45 Depth=1
	ds_read_b32 v11, v6 offset:49204
	s_waitcnt lgkmcnt(0)
	v_add_u32_e32 v10, v11, v10
	s_or_b64 exec, exec, s[78:79]
	s_and_saveexec_b64 s[78:79], s[28:29]
	s_cbranch_execz .LBB35_60
.LBB35_92:                              ;   in Loop: Header=BB35_45 Depth=1
	ds_read_b32 v11, v6 offset:49208
	s_waitcnt lgkmcnt(0)
	v_add_u32_e32 v10, v11, v10
	s_or_b64 exec, exec, s[78:79]
	s_and_saveexec_b64 s[78:79], s[30:31]
	s_cbranch_execz .LBB35_61
.LBB35_93:                              ;   in Loop: Header=BB35_45 Depth=1
	ds_read_b32 v11, v6 offset:49212
	s_waitcnt lgkmcnt(0)
	v_add_u32_e32 v10, v11, v10
	s_or_b64 exec, exec, s[78:79]
	s_and_saveexec_b64 s[78:79], s[34:35]
	s_cbranch_execz .LBB35_62
.LBB35_94:                              ;   in Loop: Header=BB35_45 Depth=1
	ds_read_b32 v11, v6 offset:49216
	s_waitcnt lgkmcnt(0)
	v_add_u32_e32 v10, v11, v10
	s_or_b64 exec, exec, s[78:79]
	s_and_saveexec_b64 s[78:79], s[36:37]
	s_cbranch_execz .LBB35_63
.LBB35_95:                              ;   in Loop: Header=BB35_45 Depth=1
	ds_read_b32 v11, v6 offset:49220
	s_waitcnt lgkmcnt(0)
	v_add_u32_e32 v10, v11, v10
	s_or_b64 exec, exec, s[78:79]
	s_and_saveexec_b64 s[78:79], s[38:39]
	s_cbranch_execz .LBB35_64
.LBB35_96:                              ;   in Loop: Header=BB35_45 Depth=1
	ds_read_b32 v11, v6 offset:49224
	s_waitcnt lgkmcnt(0)
	v_add_u32_e32 v10, v11, v10
	s_or_b64 exec, exec, s[78:79]
	s_and_saveexec_b64 s[78:79], s[40:41]
	s_cbranch_execz .LBB35_65
.LBB35_97:                              ;   in Loop: Header=BB35_45 Depth=1
	ds_read_b32 v11, v6 offset:49228
	s_waitcnt lgkmcnt(0)
	v_add_u32_e32 v10, v11, v10
	s_or_b64 exec, exec, s[78:79]
	s_and_saveexec_b64 s[78:79], s[42:43]
	s_cbranch_execz .LBB35_66
.LBB35_98:                              ;   in Loop: Header=BB35_45 Depth=1
	ds_read_b32 v11, v6 offset:49232
	s_waitcnt lgkmcnt(0)
	v_add_u32_e32 v10, v11, v10
	s_or_b64 exec, exec, s[78:79]
	s_and_saveexec_b64 s[78:79], s[44:45]
	s_cbranch_execz .LBB35_67
.LBB35_99:                              ;   in Loop: Header=BB35_45 Depth=1
	ds_read_b32 v11, v6 offset:49236
	s_waitcnt lgkmcnt(0)
	v_add_u32_e32 v10, v11, v10
	s_or_b64 exec, exec, s[78:79]
	s_and_saveexec_b64 s[78:79], s[46:47]
	s_cbranch_execz .LBB35_68
.LBB35_100:                             ;   in Loop: Header=BB35_45 Depth=1
	ds_read_b32 v11, v6 offset:49240
	s_waitcnt lgkmcnt(0)
	v_add_u32_e32 v10, v11, v10
	s_or_b64 exec, exec, s[78:79]
	s_and_saveexec_b64 s[78:79], s[48:49]
	s_cbranch_execz .LBB35_69
.LBB35_101:                             ;   in Loop: Header=BB35_45 Depth=1
	ds_read_b32 v11, v6 offset:49244
	s_waitcnt lgkmcnt(0)
	v_add_u32_e32 v10, v11, v10
	s_or_b64 exec, exec, s[78:79]
	s_and_saveexec_b64 s[78:79], s[50:51]
	s_cbranch_execz .LBB35_70
.LBB35_102:                             ;   in Loop: Header=BB35_45 Depth=1
	ds_read_b32 v11, v6 offset:49248
	s_waitcnt lgkmcnt(0)
	v_add_u32_e32 v10, v11, v10
	s_or_b64 exec, exec, s[78:79]
	s_and_saveexec_b64 s[78:79], s[52:53]
	s_cbranch_execz .LBB35_71
.LBB35_103:                             ;   in Loop: Header=BB35_45 Depth=1
	ds_read_b32 v11, v6 offset:49252
	s_waitcnt lgkmcnt(0)
	v_add_u32_e32 v10, v11, v10
	s_or_b64 exec, exec, s[78:79]
	s_and_saveexec_b64 s[78:79], s[54:55]
	s_cbranch_execz .LBB35_72
.LBB35_104:                             ;   in Loop: Header=BB35_45 Depth=1
	ds_read_b32 v11, v6 offset:49256
	s_waitcnt lgkmcnt(0)
	v_add_u32_e32 v10, v11, v10
	s_or_b64 exec, exec, s[78:79]
	s_and_saveexec_b64 s[78:79], s[56:57]
	s_cbranch_execz .LBB35_73
.LBB35_105:                             ;   in Loop: Header=BB35_45 Depth=1
	ds_read_b32 v11, v6 offset:49260
	s_waitcnt lgkmcnt(0)
	v_add_u32_e32 v10, v11, v10
	s_or_b64 exec, exec, s[78:79]
	s_and_saveexec_b64 s[78:79], s[58:59]
	s_cbranch_execz .LBB35_74
.LBB35_106:                             ;   in Loop: Header=BB35_45 Depth=1
	ds_read_b32 v11, v6 offset:49264
	s_waitcnt lgkmcnt(0)
	v_add_u32_e32 v10, v11, v10
	s_or_b64 exec, exec, s[78:79]
	s_and_saveexec_b64 s[78:79], s[60:61]
	s_cbranch_execz .LBB35_75
.LBB35_107:                             ;   in Loop: Header=BB35_45 Depth=1
	ds_read_b32 v11, v6 offset:49268
	s_waitcnt lgkmcnt(0)
	v_add_u32_e32 v10, v11, v10
	s_or_b64 exec, exec, s[78:79]
	s_and_saveexec_b64 s[78:79], s[62:63]
	s_cbranch_execz .LBB35_76
.LBB35_108:                             ;   in Loop: Header=BB35_45 Depth=1
	ds_read_b32 v11, v6 offset:49272
	s_waitcnt lgkmcnt(0)
	v_add_u32_e32 v10, v11, v10
	s_or_b64 exec, exec, s[78:79]
	s_and_saveexec_b64 s[78:79], s[64:65]
	s_cbranch_execz .LBB35_77
.LBB35_109:                             ;   in Loop: Header=BB35_45 Depth=1
	v_add3_u32 v11, v8, -1, v10
	v_lshl_add_u32 v12, v11, 2, 0
	v_lshl_add_u32 v11, v11, 3, 0
	ds_write_b32 v12, v9
	ds_write_b64 v11, v[4:5] offset:16384
	s_or_b64 exec, exec, s[78:79]
	s_and_saveexec_b64 s[64:65], vcc
	s_cbranch_execz .LBB35_44
.LBB35_110:                             ;   in Loop: Header=BB35_45 Depth=1
	ds_write_b32 v6, v10 offset:49276
	s_branch .LBB35_44
.LBB35_111:
	s_or_b64 exec, exec, s[68:69]
	s_ashr_i32 s77, s76, 31
	s_lshl_b64 s[0:1], s[76:77], 2
	s_add_u32 s0, s66, s0
	s_addc_u32 s1, s67, s1
	s_load_dwordx2 s[0:1], s[0:1], 0x0
	s_waitcnt lgkmcnt(0)
	s_sub_i32 s14, s1, s0
	v_cmp_gt_i32_e32 vcc, s14, v0
	s_and_saveexec_b64 s[2:3], vcc
	s_cbranch_execz .LBB35_126
; %bb.112:
	s_sub_i32 s6, s0, s70
	s_add_i32 s0, s14, -2
	s_lshr_b32 s1, s0, 1
	s_add_i32 s2, s1, 1
	s_cmp_gt_u32 s14, 1
	s_cselect_b64 s[8:9], -1, 0
	s_and_b32 s15, s14, -2
	s_and_b32 s4, s2, 7
	s_cmp_gt_u32 s0, 13
	s_cselect_b64 s[0:1], -1, 0
	s_and_b32 s16, s2, -8
	s_cmp_lg_u32 s4, 0
	s_cselect_b64 s[2:3], -1, 0
	v_cndmask_b32_e64 v1, 0, 1, s[0:1]
	s_cmp_lg_u32 s14, s15
	v_cmp_ne_u32_e64 s[0:1], 1, v1
	v_cndmask_b32_e64 v1, 0, 1, s[2:3]
	s_mov_b32 s7, 0
	s_cselect_b64 s[10:11], -1, 0
	s_lshl_b32 s17, s4, 3
	s_mov_b64 s[12:13], 0
	v_cmp_ne_u32_e64 s[2:3], 1, v1
	v_mov_b32_e32 v1, s73
	v_mov_b32_e32 v6, s75
	s_branch .LBB35_114
.LBB35_113:                             ;   in Loop: Header=BB35_114 Depth=1
	v_ashrrev_i32_e32 v5, 31, v4
	v_lshlrev_b64 v[8:9], 2, v[4:5]
	v_add_co_u32_e32 v8, vcc, s72, v8
	v_addc_co_u32_e32 v9, vcc, v1, v9, vcc
	v_lshlrev_b64 v[4:5], 3, v[4:5]
	v_add_co_u32_e32 v4, vcc, s74, v4
	v_addc_co_u32_e32 v5, vcc, v6, v5, vcc
	v_add_u32_e32 v0, 0x400, v0
	v_cmp_le_i32_e32 vcc, s14, v0
	s_waitcnt lgkmcnt(1)
	v_add_u32_e32 v7, s70, v7
	s_or_b64 s[12:13], vcc, s[12:13]
	global_store_dword v[8:9], v7, off
	s_waitcnt lgkmcnt(0)
	global_store_dwordx2 v[4:5], v[2:3], off
	s_andn2_b64 exec, exec, s[12:13]
	s_cbranch_execz .LBB35_126
.LBB35_114:                             ; =>This Loop Header: Depth=1
                                        ;     Child Loop BB35_117 Depth 2
                                        ;     Child Loop BB35_122 Depth 2
	;; [unrolled: 1-line block ×3, first 2 shown]
	v_lshlrev_b32_e32 v2, 2, v0
	v_add_u32_e32 v3, 0, v2
	v_add_u32_e32 v2, v3, v2
	ds_read_b32 v7, v3
	ds_read_b64 v[2:3], v2 offset:16384
	s_and_b64 vcc, exec, s[8:9]
	s_cbranch_vccz .LBB35_119
; %bb.115:                              ;   in Loop: Header=BB35_114 Depth=1
	s_and_b64 vcc, exec, s[0:1]
	s_cbranch_vccnz .LBB35_120
; %bb.116:                              ;   in Loop: Header=BB35_114 Depth=1
	s_mov_b32 s19, 0
	v_mov_b32_e32 v4, s6
	v_mov_b32_e32 v5, 0
	s_mov_b32 s20, s16
	s_mov_b32 s18, 0
.LBB35_117:                             ;   Parent Loop BB35_114 Depth=1
                                        ; =>  This Inner Loop Header: Depth=2
	v_mov_b32_e32 v22, s19
	ds_read2_b32 v[8:9], v22 offset1:1
	ds_read2_b32 v[10:11], v22 offset0:2 offset1:3
	ds_read2_b32 v[12:13], v22 offset0:4 offset1:5
	ds_read2_b32 v[14:15], v22 offset0:6 offset1:7
	ds_read2_b32 v[16:17], v22 offset0:8 offset1:9
	ds_read2_b32 v[18:19], v22 offset0:10 offset1:11
	ds_read2_b32 v[20:21], v22 offset0:12 offset1:13
	ds_read2_b32 v[22:23], v22 offset0:14 offset1:15
	s_waitcnt lgkmcnt(7)
	v_cmp_gt_i32_e32 vcc, v7, v9
	v_cndmask_b32_e64 v9, 0, 1, vcc
	v_cmp_gt_i32_e32 vcc, v7, v8
	s_waitcnt lgkmcnt(5)
	v_cmp_gt_i32_e64 s[4:5], v7, v12
	v_cndmask_b32_e64 v8, 0, 1, vcc
	v_cmp_gt_i32_e32 vcc, v7, v11
	v_cndmask_b32_e64 v11, 0, 1, s[4:5]
	v_cmp_gt_i32_e64 s[4:5], v7, v13
	v_cndmask_b32_e64 v12, 0, 1, s[4:5]
	s_waitcnt lgkmcnt(3)
	v_cmp_gt_i32_e64 s[4:5], v7, v17
	v_cndmask_b32_e64 v13, 0, 1, s[4:5]
	v_cmp_gt_i32_e64 s[4:5], v7, v16
	v_cndmask_b32_e64 v16, 0, 1, s[4:5]
	s_waitcnt lgkmcnt(1)
	v_cmp_gt_i32_e64 s[4:5], v7, v20
	v_cndmask_b32_e64 v17, 0, 1, s[4:5]
	v_cmp_gt_i32_e64 s[4:5], v7, v21
	v_cndmask_b32_e64 v20, 0, 1, s[4:5]
	v_cmp_gt_i32_e64 s[4:5], v7, v10
	v_addc_co_u32_e64 v4, s[4:5], v4, v8, s[4:5]
	v_addc_co_u32_e32 v5, vcc, v5, v9, vcc
	v_cmp_gt_i32_e32 vcc, v7, v14
	v_cmp_gt_i32_e64 s[4:5], v7, v15
	v_addc_co_u32_e64 v5, s[4:5], v5, v12, s[4:5]
	v_addc_co_u32_e32 v4, vcc, v4, v11, vcc
	v_cmp_gt_i32_e32 vcc, v7, v19
	v_cmp_gt_i32_e64 s[4:5], v7, v18
	v_addc_co_u32_e64 v4, s[4:5], v4, v16, s[4:5]
	v_addc_co_u32_e32 v5, vcc, v5, v13, vcc
	s_add_i32 s18, s18, 16
	s_add_i32 s19, s19, 64
	s_add_i32 s20, s20, -8
	s_waitcnt lgkmcnt(0)
	v_cmp_gt_i32_e32 vcc, v7, v22
	v_cmp_gt_i32_e64 s[4:5], v7, v23
	s_cmp_lg_u32 s20, 0
	v_addc_co_u32_e64 v5, s[4:5], v5, v20, s[4:5]
	v_addc_co_u32_e32 v4, vcc, v4, v17, vcc
	s_cbranch_scc1 .LBB35_117
; %bb.118:                              ;   in Loop: Header=BB35_114 Depth=1
	s_and_b64 vcc, exec, s[2:3]
	s_cbranch_vccz .LBB35_121
	s_branch .LBB35_123
.LBB35_119:                             ;   in Loop: Header=BB35_114 Depth=1
	v_mov_b32_e32 v4, s6
	s_mov_b32 s18, 0
	s_cbranch_execz .LBB35_113
	s_branch .LBB35_124
.LBB35_120:                             ;   in Loop: Header=BB35_114 Depth=1
	v_pk_mov_b32 v[4:5], s[6:7], s[6:7] op_sel:[0,1]
	s_mov_b32 s18, 0
	s_and_b64 vcc, exec, s[2:3]
	s_cbranch_vccnz .LBB35_123
.LBB35_121:                             ;   in Loop: Header=BB35_114 Depth=1
	s_lshl_b32 s4, s18, 2
	s_add_i32 s4, s4, 0
	s_mov_b32 s5, s17
.LBB35_122:                             ;   Parent Loop BB35_114 Depth=1
                                        ; =>  This Inner Loop Header: Depth=2
	v_mov_b32_e32 v8, s4
	ds_read2_b32 v[8:9], v8 offset1:1
	s_add_i32 s4, s4, 8
	s_add_i32 s5, s5, -8
	s_cmp_lg_u32 s5, 0
	s_waitcnt lgkmcnt(0)
	v_cmp_gt_i32_e32 vcc, v7, v9
	v_addc_co_u32_e32 v5, vcc, 0, v5, vcc
	v_cmp_gt_i32_e32 vcc, v7, v8
	v_addc_co_u32_e32 v4, vcc, 0, v4, vcc
	s_cbranch_scc1 .LBB35_122
.LBB35_123:                             ;   in Loop: Header=BB35_114 Depth=1
	v_add_u32_e32 v4, v4, v5
	s_mov_b32 s18, s15
	s_mov_b64 s[4:5], s[10:11]
	s_and_b64 vcc, exec, s[4:5]
	s_cbranch_vccz .LBB35_113
.LBB35_124:                             ;   in Loop: Header=BB35_114 Depth=1
	s_lshl_b32 s4, s18, 2
	s_add_i32 s4, s4, 0
.LBB35_125:                             ;   Parent Loop BB35_114 Depth=1
                                        ; =>  This Inner Loop Header: Depth=2
	v_mov_b32_e32 v5, s4
	ds_read_b32 v5, v5
	s_add_i32 s18, s18, 1
	s_add_i32 s4, s4, 4
	s_cmp_ge_i32 s18, s14
	s_waitcnt lgkmcnt(0)
	v_cmp_gt_i32_e32 vcc, v7, v5
	v_addc_co_u32_e32 v4, vcc, 0, v4, vcc
	s_cbranch_scc0 .LBB35_125
	s_branch .LBB35_113
.LBB35_126:
	s_endpgm
	.section	.rodata,"a",@progbits
	.p2align	6, 0x0
	.amdhsa_kernel _ZN9rocsparseL26csrgemm_fill_block_per_rowILj1024ELj64ELj4096ELj137ELj32EiidEEvT5_PKS1_S3_NS_24const_host_device_scalarIT6_EEPKT4_S3_PKS5_S9_S3_SB_S6_S9_S3_SB_S9_PS1_PS5_21rocsparse_index_base_SE_SE_SE_bbb
		.amdhsa_group_segment_fixed_size 0
		.amdhsa_private_segment_fixed_size 0
		.amdhsa_kernarg_size 156
		.amdhsa_user_sgpr_count 6
		.amdhsa_user_sgpr_private_segment_buffer 1
		.amdhsa_user_sgpr_dispatch_ptr 0
		.amdhsa_user_sgpr_queue_ptr 0
		.amdhsa_user_sgpr_kernarg_segment_ptr 1
		.amdhsa_user_sgpr_dispatch_id 0
		.amdhsa_user_sgpr_flat_scratch_init 0
		.amdhsa_user_sgpr_kernarg_preload_length 0
		.amdhsa_user_sgpr_kernarg_preload_offset 0
		.amdhsa_user_sgpr_private_segment_size 0
		.amdhsa_uses_dynamic_stack 0
		.amdhsa_system_sgpr_private_segment_wavefront_offset 0
		.amdhsa_system_sgpr_workgroup_id_x 1
		.amdhsa_system_sgpr_workgroup_id_y 0
		.amdhsa_system_sgpr_workgroup_id_z 0
		.amdhsa_system_sgpr_workgroup_info 0
		.amdhsa_system_vgpr_workitem_id 0
		.amdhsa_next_free_vgpr 24
		.amdhsa_next_free_sgpr 80
		.amdhsa_accum_offset 24
		.amdhsa_reserve_vcc 1
		.amdhsa_reserve_flat_scratch 0
		.amdhsa_float_round_mode_32 0
		.amdhsa_float_round_mode_16_64 0
		.amdhsa_float_denorm_mode_32 3
		.amdhsa_float_denorm_mode_16_64 3
		.amdhsa_dx10_clamp 1
		.amdhsa_ieee_mode 1
		.amdhsa_fp16_overflow 0
		.amdhsa_tg_split 0
		.amdhsa_exception_fp_ieee_invalid_op 0
		.amdhsa_exception_fp_denorm_src 0
		.amdhsa_exception_fp_ieee_div_zero 0
		.amdhsa_exception_fp_ieee_overflow 0
		.amdhsa_exception_fp_ieee_underflow 0
		.amdhsa_exception_fp_ieee_inexact 0
		.amdhsa_exception_int_div_zero 0
	.end_amdhsa_kernel
	.section	.text._ZN9rocsparseL26csrgemm_fill_block_per_rowILj1024ELj64ELj4096ELj137ELj32EiidEEvT5_PKS1_S3_NS_24const_host_device_scalarIT6_EEPKT4_S3_PKS5_S9_S3_SB_S6_S9_S3_SB_S9_PS1_PS5_21rocsparse_index_base_SE_SE_SE_bbb,"axG",@progbits,_ZN9rocsparseL26csrgemm_fill_block_per_rowILj1024ELj64ELj4096ELj137ELj32EiidEEvT5_PKS1_S3_NS_24const_host_device_scalarIT6_EEPKT4_S3_PKS5_S9_S3_SB_S6_S9_S3_SB_S9_PS1_PS5_21rocsparse_index_base_SE_SE_SE_bbb,comdat
.Lfunc_end35:
	.size	_ZN9rocsparseL26csrgemm_fill_block_per_rowILj1024ELj64ELj4096ELj137ELj32EiidEEvT5_PKS1_S3_NS_24const_host_device_scalarIT6_EEPKT4_S3_PKS5_S9_S3_SB_S6_S9_S3_SB_S9_PS1_PS5_21rocsparse_index_base_SE_SE_SE_bbb, .Lfunc_end35-_ZN9rocsparseL26csrgemm_fill_block_per_rowILj1024ELj64ELj4096ELj137ELj32EiidEEvT5_PKS1_S3_NS_24const_host_device_scalarIT6_EEPKT4_S3_PKS5_S9_S3_SB_S6_S9_S3_SB_S9_PS1_PS5_21rocsparse_index_base_SE_SE_SE_bbb
                                        ; -- End function
	.section	.AMDGPU.csdata,"",@progbits
; Kernel info:
; codeLenInByte = 4156
; NumSgprs: 84
; NumVgprs: 24
; NumAgprs: 0
; TotalNumVgprs: 24
; ScratchSize: 0
; MemoryBound: 0
; FloatMode: 240
; IeeeMode: 1
; LDSByteSize: 0 bytes/workgroup (compile time only)
; SGPRBlocks: 10
; VGPRBlocks: 2
; NumSGPRsForWavesPerEU: 84
; NumVGPRsForWavesPerEU: 24
; AccumOffset: 24
; Occupancy: 8
; WaveLimiterHint : 1
; COMPUTE_PGM_RSRC2:SCRATCH_EN: 0
; COMPUTE_PGM_RSRC2:USER_SGPR: 6
; COMPUTE_PGM_RSRC2:TRAP_HANDLER: 0
; COMPUTE_PGM_RSRC2:TGID_X_EN: 1
; COMPUTE_PGM_RSRC2:TGID_Y_EN: 0
; COMPUTE_PGM_RSRC2:TGID_Z_EN: 0
; COMPUTE_PGM_RSRC2:TIDIG_COMP_CNT: 0
; COMPUTE_PGM_RSRC3_GFX90A:ACCUM_OFFSET: 5
; COMPUTE_PGM_RSRC3_GFX90A:TG_SPLIT: 0
	.section	.text._ZN9rocsparseL26csrgemm_fill_block_per_rowILj1024ELj64ELj4096ELj137ELj64EiidEEvT5_PKS1_S3_NS_24const_host_device_scalarIT6_EEPKT4_S3_PKS5_S9_S3_SB_S6_S9_S3_SB_S9_PS1_PS5_21rocsparse_index_base_SE_SE_SE_bbb,"axG",@progbits,_ZN9rocsparseL26csrgemm_fill_block_per_rowILj1024ELj64ELj4096ELj137ELj64EiidEEvT5_PKS1_S3_NS_24const_host_device_scalarIT6_EEPKT4_S3_PKS5_S9_S3_SB_S6_S9_S3_SB_S9_PS1_PS5_21rocsparse_index_base_SE_SE_SE_bbb,comdat
	.globl	_ZN9rocsparseL26csrgemm_fill_block_per_rowILj1024ELj64ELj4096ELj137ELj64EiidEEvT5_PKS1_S3_NS_24const_host_device_scalarIT6_EEPKT4_S3_PKS5_S9_S3_SB_S6_S9_S3_SB_S9_PS1_PS5_21rocsparse_index_base_SE_SE_SE_bbb ; -- Begin function _ZN9rocsparseL26csrgemm_fill_block_per_rowILj1024ELj64ELj4096ELj137ELj64EiidEEvT5_PKS1_S3_NS_24const_host_device_scalarIT6_EEPKT4_S3_PKS5_S9_S3_SB_S6_S9_S3_SB_S9_PS1_PS5_21rocsparse_index_base_SE_SE_SE_bbb
	.p2align	8
	.type	_ZN9rocsparseL26csrgemm_fill_block_per_rowILj1024ELj64ELj4096ELj137ELj64EiidEEvT5_PKS1_S3_NS_24const_host_device_scalarIT6_EEPKT4_S3_PKS5_S9_S3_SB_S6_S9_S3_SB_S9_PS1_PS5_21rocsparse_index_base_SE_SE_SE_bbb,@function
_ZN9rocsparseL26csrgemm_fill_block_per_rowILj1024ELj64ELj4096ELj137ELj64EiidEEvT5_PKS1_S3_NS_24const_host_device_scalarIT6_EEPKT4_S3_PKS5_S9_S3_SB_S6_S9_S3_SB_S9_PS1_PS5_21rocsparse_index_base_SE_SE_SE_bbb: ; @_ZN9rocsparseL26csrgemm_fill_block_per_rowILj1024ELj64ELj4096ELj137ELj64EiidEEvT5_PKS1_S3_NS_24const_host_device_scalarIT6_EEPKT4_S3_PKS5_S9_S3_SB_S6_S9_S3_SB_S9_PS1_PS5_21rocsparse_index_base_SE_SE_SE_bbb
; %bb.0:
	s_load_dword s7, s[4:5], 0x98
	s_load_dwordx4 s[44:47], s[4:5], 0x88
	s_load_dwordx2 s[0:1], s[4:5], 0x18
	s_load_dwordx2 s[24:25], s[4:5], 0x50
	s_waitcnt lgkmcnt(0)
	s_and_b32 s2, 1, s7
	s_bitcmp1_b32 s7, 16
	s_cselect_b64 s[26:27], -1, 0
	s_cmp_eq_u32 s2, 1
	s_cselect_b64 s[22:23], -1, 0
	s_and_b64 s[2:3], s[22:23], exec
	s_cselect_b32 s3, s1, 0
	s_cselect_b32 s2, s0, 0
	s_xor_b64 s[8:9], s[22:23], -1
	s_or_b64 s[8:9], s[8:9], s[26:27]
	s_and_b64 vcc, exec, s[8:9]
	v_pk_mov_b32 v[4:5], s[2:3], s[2:3] op_sel:[0,1]
	s_cbranch_vccnz .LBB36_2
; %bb.1:
	v_pk_mov_b32 v[2:3], s[0:1], s[0:1] op_sel:[0,1]
	flat_load_dwordx2 v[4:5], v[2:3]
.LBB36_2:
	s_load_dwordx4 s[48:51], s[4:5], 0x78
	s_load_dwordx8 s[36:43], s[4:5], 0x58
	s_load_dwordx4 s[0:3], s[4:5], 0x40
	s_load_dwordx4 s[16:19], s[4:5], 0x8
	s_load_dwordx8 s[8:15], s[4:5], 0x20
	s_bitcmp1_b32 s7, 8
	s_cselect_b64 s[20:21], -1, 0
	s_and_b64 s[28:29], s[20:21], exec
	s_cselect_b32 s29, s25, 0
	s_cselect_b32 s28, s24, 0
	s_xor_b64 s[30:31], s[20:21], -1
	s_or_b64 s[26:27], s[30:31], s[26:27]
	s_and_b64 vcc, exec, s[26:27]
	v_pk_mov_b32 v[2:3], s[28:29], s[28:29] op_sel:[0,1]
	s_cbranch_vccnz .LBB36_4
; %bb.3:
	v_pk_mov_b32 v[2:3], s[24:25], s[24:25] op_sel:[0,1]
	flat_load_dwordx2 v[2:3], v[2:3]
.LBB36_4:
	s_load_dword s33, s[4:5], 0x0
	v_lshl_add_u32 v1, v0, 3, 0
	v_mov_b32_e32 v6, 0
	v_add_u32_e32 v1, 0x4000, v1
	v_or_b32_e32 v14, 0xfffffc00, v0
	v_lshl_add_u32 v15, v0, 2, 0
	s_mov_b64 s[4:5], 0
	s_waitcnt lgkmcnt(0)
	v_mov_b32_e32 v8, s33
	v_mov_b32_e32 v7, v6
	s_movk_i32 s7, 0xbff
	v_mov_b32_e32 v9, v15
	v_mov_b32_e32 v10, v14
	;; [unrolled: 1-line block ×3, first 2 shown]
.LBB36_5:                               ; =>This Inner Loop Header: Depth=1
	v_add_u32_e32 v10, 0x400, v10
	v_cmp_lt_u32_e32 vcc, s7, v10
	ds_write_b32 v9, v8
	ds_write_b64 v11, v[6:7]
	v_add_u32_e32 v11, 0x2000, v11
	s_or_b64 s[4:5], vcc, s[4:5]
	v_add_u32_e32 v9, 0x1000, v9
	s_andn2_b64 exec, exec, s[4:5]
	s_cbranch_execnz .LBB36_5
; %bb.6:
	s_or_b64 exec, exec, s[4:5]
	s_waitcnt lgkmcnt(0)
	s_barrier
	s_load_dword s4, s[16:17], 0x0
	s_mov_b32 s5, 0
	v_lshrrev_b32_e32 v16, 6, v0
	s_waitcnt lgkmcnt(0)
	s_add_i32 s4, s4, s6
	s_lshl_b64 s[4:5], s[4:5], 2
	s_add_u32 s4, s18, s4
	s_addc_u32 s5, s19, s5
	s_load_dword s34, s[4:5], 0x0
	s_and_b64 vcc, exec, s[22:23]
	s_cbranch_vccz .LBB36_26
; %bb.7:
	s_waitcnt lgkmcnt(0)
	s_ashr_i32 s35, s34, 31
	s_lshl_b64 s[4:5], s[34:35], 2
	s_add_u32 s4, s8, s4
	s_addc_u32 s5, s9, s5
	s_load_dwordx2 s[4:5], s[4:5], 0x0
	v_subrev_u32_e32 v6, s44, v16
	s_waitcnt lgkmcnt(0)
	s_sub_i32 s35, s5, s44
	v_add_u32_e32 v6, s4, v6
	v_cmp_gt_i32_e32 vcc, s35, v6
	s_and_saveexec_b64 s[4:5], vcc
	s_cbranch_execz .LBB36_25
; %bb.8:
	v_and_b32_e32 v7, 63, v0
	v_subrev_u32_e32 v17, s45, v7
	s_mov_b64 s[6:7], 0
	v_mov_b32_e32 v18, s11
	v_mov_b32_e32 v19, s15
	s_movk_i32 s11, 0x89
	s_branch .LBB36_10
.LBB36_9:                               ;   in Loop: Header=BB36_10 Depth=1
	s_or_b64 exec, exec, s[8:9]
	v_add_u32_e32 v6, 16, v6
	v_cmp_le_i32_e32 vcc, s35, v6
	s_or_b64 s[6:7], vcc, s[6:7]
	s_andn2_b64 exec, exec, s[6:7]
	s_cbranch_execz .LBB36_25
.LBB36_10:                              ; =>This Loop Header: Depth=1
                                        ;     Child Loop BB36_13 Depth 2
                                        ;       Child Loop BB36_15 Depth 3
	v_ashrrev_i32_e32 v7, 31, v6
	v_lshlrev_b64 v[8:9], 2, v[6:7]
	v_add_co_u32_e32 v8, vcc, s10, v8
	v_addc_co_u32_e32 v9, vcc, v18, v9, vcc
	global_load_dword v8, v[8:9], off
	s_waitcnt vmcnt(0)
	v_subrev_u32_e32 v8, s44, v8
	v_ashrrev_i32_e32 v9, 31, v8
	v_lshlrev_b64 v[8:9], 2, v[8:9]
	v_add_co_u32_e32 v8, vcc, s14, v8
	v_addc_co_u32_e32 v9, vcc, v19, v9, vcc
	global_load_dwordx2 v[8:9], v[8:9], off
	s_waitcnt vmcnt(0)
	v_subrev_u32_e32 v20, s45, v9
	v_add_u32_e32 v8, v8, v17
	v_cmp_lt_i32_e32 vcc, v8, v20
	s_and_saveexec_b64 s[8:9], vcc
	s_cbranch_execz .LBB36_9
; %bb.11:                               ;   in Loop: Header=BB36_10 Depth=1
	v_lshlrev_b64 v[10:11], 3, v[6:7]
	v_mov_b32_e32 v7, s13
	v_add_co_u32_e32 v10, vcc, s12, v10
	v_addc_co_u32_e32 v11, vcc, v7, v11, vcc
	global_load_dwordx2 v[10:11], v[10:11], off
	s_mov_b64 s[16:17], 0
	s_waitcnt vmcnt(0)
	v_mul_f64 v[10:11], v[4:5], v[10:11]
	s_branch .LBB36_13
.LBB36_12:                              ;   in Loop: Header=BB36_13 Depth=2
	s_or_b64 exec, exec, s[18:19]
	v_add_u32_e32 v8, 64, v8
	v_cmp_ge_i32_e32 vcc, v8, v20
	s_or_b64 s[16:17], vcc, s[16:17]
	s_andn2_b64 exec, exec, s[16:17]
	s_cbranch_execz .LBB36_9
.LBB36_13:                              ;   Parent Loop BB36_10 Depth=1
                                        ; =>  This Loop Header: Depth=2
                                        ;       Child Loop BB36_15 Depth 3
	v_ashrrev_i32_e32 v9, 31, v8
	v_lshlrev_b64 v[12:13], 2, v[8:9]
	v_mov_b32_e32 v7, s1
	v_add_co_u32_e32 v12, vcc, s0, v12
	v_addc_co_u32_e32 v13, vcc, v7, v13, vcc
	global_load_dword v7, v[12:13], off
	v_lshlrev_b64 v[12:13], 3, v[8:9]
	v_mov_b32_e32 v9, s3
	v_add_co_u32_e32 v12, vcc, s2, v12
	v_addc_co_u32_e32 v13, vcc, v9, v13, vcc
	global_load_dwordx2 v[12:13], v[12:13], off
	s_mov_b64 s[18:19], 0
	s_waitcnt vmcnt(1)
	v_subrev_u32_e32 v7, s45, v7
	v_mul_lo_u32 v9, v7, s11
	v_and_b32_e32 v9, 0xfff, v9
	s_waitcnt vmcnt(0)
	v_mul_f64 v[12:13], v[10:11], v[12:13]
	s_branch .LBB36_15
.LBB36_14:                              ;   in Loop: Header=BB36_15 Depth=3
	s_or_b64 exec, exec, s[22:23]
	s_xor_b64 s[22:23], s[24:25], -1
	s_and_b64 s[22:23], exec, s[22:23]
	s_or_b64 s[18:19], s[22:23], s[18:19]
	s_andn2_b64 exec, exec, s[18:19]
	s_cbranch_execz .LBB36_12
.LBB36_15:                              ;   Parent Loop BB36_10 Depth=1
                                        ;     Parent Loop BB36_13 Depth=2
                                        ; =>    This Inner Loop Header: Depth=3
	v_lshl_add_u32 v21, v9, 2, 0
	ds_read_b32 v22, v21
                                        ; implicit-def: $sgpr24_sgpr25
	s_waitcnt lgkmcnt(0)
	v_cmp_ne_u32_e32 vcc, v22, v7
	s_and_saveexec_b64 s[22:23], vcc
	s_xor_b64 s[22:23], exec, s[22:23]
	s_cbranch_execz .LBB36_23
; %bb.16:                               ;   in Loop: Header=BB36_15 Depth=3
	v_cmp_ne_u32_e32 vcc, s33, v22
                                        ; implicit-def: $sgpr24_sgpr25
	s_and_saveexec_b64 s[26:27], vcc
	s_xor_b64 s[26:27], exec, s[26:27]
; %bb.17:                               ;   in Loop: Header=BB36_15 Depth=3
	v_add_u32_e32 v9, 1, v9
	v_and_b32_e32 v9, 0xfff, v9
	s_mov_b64 s[24:25], -1
                                        ; implicit-def: $vgpr21
; %bb.18:                               ;   in Loop: Header=BB36_15 Depth=3
	s_andn2_saveexec_b64 s[26:27], s[26:27]
	s_cbranch_execz .LBB36_22
; %bb.19:                               ;   in Loop: Header=BB36_15 Depth=3
	v_mov_b32_e32 v22, s33
	ds_cmpst_rtn_b32 v22, v21, v22, v7
	s_mov_b64 s[28:29], -1
	s_waitcnt lgkmcnt(0)
	v_cmp_eq_u32_e32 vcc, s33, v22
	s_and_saveexec_b64 s[30:31], vcc
	s_cbranch_execz .LBB36_21
; %bb.20:                               ;   in Loop: Header=BB36_15 Depth=3
	v_lshl_add_u32 v21, v9, 2, v21
	ds_add_f64 v21, v[12:13] offset:16384
	s_xor_b64 s[28:29], exec, -1
.LBB36_21:                              ;   in Loop: Header=BB36_15 Depth=3
	s_or_b64 exec, exec, s[30:31]
	s_andn2_b64 s[24:25], s[24:25], exec
	s_and_b64 s[28:29], s[28:29], exec
	s_or_b64 s[24:25], s[24:25], s[28:29]
.LBB36_22:                              ;   in Loop: Header=BB36_15 Depth=3
	s_or_b64 exec, exec, s[26:27]
	s_and_b64 s[24:25], s[24:25], exec
                                        ; implicit-def: $vgpr21
.LBB36_23:                              ;   in Loop: Header=BB36_15 Depth=3
	s_andn2_saveexec_b64 s[22:23], s[22:23]
	s_cbranch_execz .LBB36_14
; %bb.24:                               ;   in Loop: Header=BB36_15 Depth=3
	v_lshl_add_u32 v21, v9, 2, v21
	ds_add_f64 v21, v[12:13] offset:16384
	s_andn2_b64 s[24:25], s[24:25], exec
	s_branch .LBB36_14
.LBB36_25:
	s_or_b64 exec, exec, s[4:5]
.LBB36_26:
	s_andn2_b64 vcc, exec, s[20:21]
	s_cbranch_vccnz .LBB36_43
; %bb.27:
	s_waitcnt lgkmcnt(0)
	s_ashr_i32 s35, s34, 31
	s_lshl_b64 s[0:1], s[34:35], 2
	s_add_u32 s0, s36, s0
	s_addc_u32 s1, s37, s1
	s_load_dwordx2 s[0:1], s[0:1], 0x0
	s_waitcnt vmcnt(0)
	v_subrev_u32_e32 v4, s47, v0
	s_waitcnt lgkmcnt(0)
	s_sub_i32 s16, s1, s47
	v_add_u32_e32 v4, s0, v4
	v_cmp_gt_i32_e32 vcc, s16, v4
	s_and_saveexec_b64 s[0:1], vcc
	s_cbranch_execz .LBB36_42
; %bb.28:
	s_mov_b64 s[2:3], 0
	v_mov_b32_e32 v8, s39
	v_mov_b32_e32 v9, s41
	s_movk_i32 s17, 0x89
	s_branch .LBB36_30
.LBB36_29:                              ;   in Loop: Header=BB36_30 Depth=1
	s_or_b64 exec, exec, s[4:5]
	v_add_u32_e32 v4, 0x400, v4
	v_cmp_le_i32_e32 vcc, s16, v4
	s_or_b64 s[2:3], vcc, s[2:3]
	s_andn2_b64 exec, exec, s[2:3]
	s_cbranch_execz .LBB36_42
.LBB36_30:                              ; =>This Loop Header: Depth=1
                                        ;     Child Loop BB36_32 Depth 2
	v_ashrrev_i32_e32 v5, 31, v4
	v_lshlrev_b64 v[6:7], 2, v[4:5]
	v_add_co_u32_e32 v6, vcc, s38, v6
	v_addc_co_u32_e32 v7, vcc, v8, v7, vcc
	global_load_dword v10, v[6:7], off
	v_lshlrev_b64 v[6:7], 3, v[4:5]
	v_add_co_u32_e32 v6, vcc, s40, v6
	v_addc_co_u32_e32 v7, vcc, v9, v7, vcc
	global_load_dwordx2 v[6:7], v[6:7], off
	s_mov_b64 s[4:5], 0
	s_waitcnt vmcnt(1)
	v_subrev_u32_e32 v5, s47, v10
	v_mul_lo_u32 v10, v5, s17
	v_and_b32_e32 v10, 0xfff, v10
	s_waitcnt vmcnt(0)
	v_mul_f64 v[6:7], v[2:3], v[6:7]
	s_branch .LBB36_32
.LBB36_31:                              ;   in Loop: Header=BB36_32 Depth=2
	s_or_b64 exec, exec, s[6:7]
	s_xor_b64 s[6:7], s[8:9], -1
	s_and_b64 s[6:7], exec, s[6:7]
	s_or_b64 s[4:5], s[6:7], s[4:5]
	s_andn2_b64 exec, exec, s[4:5]
	s_cbranch_execz .LBB36_29
.LBB36_32:                              ;   Parent Loop BB36_30 Depth=1
                                        ; =>  This Inner Loop Header: Depth=2
	v_lshl_add_u32 v11, v10, 2, 0
	ds_read_b32 v12, v11
                                        ; implicit-def: $sgpr8_sgpr9
	s_waitcnt lgkmcnt(0)
	v_cmp_ne_u32_e32 vcc, v12, v5
	s_and_saveexec_b64 s[6:7], vcc
	s_xor_b64 s[6:7], exec, s[6:7]
	s_cbranch_execz .LBB36_40
; %bb.33:                               ;   in Loop: Header=BB36_32 Depth=2
	v_cmp_ne_u32_e32 vcc, s33, v12
                                        ; implicit-def: $sgpr8_sgpr9
	s_and_saveexec_b64 s[10:11], vcc
	s_xor_b64 s[10:11], exec, s[10:11]
; %bb.34:                               ;   in Loop: Header=BB36_32 Depth=2
	v_add_u32_e32 v10, 1, v10
	v_and_b32_e32 v10, 0xfff, v10
	s_mov_b64 s[8:9], -1
                                        ; implicit-def: $vgpr11
; %bb.35:                               ;   in Loop: Header=BB36_32 Depth=2
	s_andn2_saveexec_b64 s[10:11], s[10:11]
	s_cbranch_execz .LBB36_39
; %bb.36:                               ;   in Loop: Header=BB36_32 Depth=2
	v_mov_b32_e32 v12, s33
	ds_cmpst_rtn_b32 v12, v11, v12, v5
	s_mov_b64 s[12:13], -1
	s_waitcnt lgkmcnt(0)
	v_cmp_eq_u32_e32 vcc, s33, v12
	s_and_saveexec_b64 s[14:15], vcc
	s_cbranch_execz .LBB36_38
; %bb.37:                               ;   in Loop: Header=BB36_32 Depth=2
	v_lshl_add_u32 v11, v10, 2, v11
	ds_add_f64 v11, v[6:7] offset:16384
	s_xor_b64 s[12:13], exec, -1
.LBB36_38:                              ;   in Loop: Header=BB36_32 Depth=2
	s_or_b64 exec, exec, s[14:15]
	s_andn2_b64 s[8:9], s[8:9], exec
	s_and_b64 s[12:13], s[12:13], exec
	s_or_b64 s[8:9], s[8:9], s[12:13]
.LBB36_39:                              ;   in Loop: Header=BB36_32 Depth=2
	s_or_b64 exec, exec, s[10:11]
	s_and_b64 s[8:9], s[8:9], exec
                                        ; implicit-def: $vgpr11
.LBB36_40:                              ;   in Loop: Header=BB36_32 Depth=2
	s_andn2_saveexec_b64 s[6:7], s[6:7]
	s_cbranch_execz .LBB36_31
; %bb.41:                               ;   in Loop: Header=BB36_32 Depth=2
	v_lshl_add_u32 v11, v10, 2, v11
	ds_add_f64 v11, v[6:7] offset:16384
	s_andn2_b64 s[8:9], s[8:9], exec
	s_branch .LBB36_31
.LBB36_42:
	s_or_b64 exec, exec, s[0:1]
.LBB36_43:
	s_waitcnt vmcnt(0)
	v_mbcnt_lo_u32_b32 v2, -1, 0
	v_mbcnt_hi_u32_b32 v2, -1, v2
	v_sub_u32_e32 v2, 63, v2
	s_movk_i32 s0, 0x3ff
	s_movk_i32 s2, 0x7f
	;; [unrolled: 1-line block ×15, first 2 shown]
	v_mov_b32_e32 v6, 0
	v_lshrrev_b64 v[2:3], v2, -1
	v_lshl_add_u32 v7, v16, 2, 0
	v_cmp_eq_u32_e32 vcc, s0, v0
	v_cmp_lt_u32_e64 s[0:1], 63, v0
	v_cmp_lt_u32_e64 s[2:3], s2, v0
	;; [unrolled: 1-line block ×15, first 2 shown]
	s_mov_b64 s[36:37], 0
	s_movk_i32 s35, 0xbff
	v_mov_b32_e32 v8, 0
	s_waitcnt lgkmcnt(0)
	s_barrier
	s_branch .LBB36_45
.LBB36_44:                              ;   in Loop: Header=BB36_45 Depth=1
	s_or_b64 exec, exec, s[30:31]
	s_waitcnt lgkmcnt(0)
	s_barrier
	ds_read_b32 v4, v6 offset:49212
	v_add_u32_e32 v14, 0x400, v14
	v_cmp_lt_u32_e64 s[30:31], s35, v14
	v_add_u32_e32 v1, 0x2000, v1
	s_or_b64 s[36:37], s[30:31], s[36:37]
	s_waitcnt lgkmcnt(0)
	v_add_u32_e32 v8, v4, v8
	v_add_u32_e32 v15, 0x1000, v15
	s_andn2_b64 exec, exec, s[36:37]
	s_cbranch_execz .LBB36_79
.LBB36_45:                              ; =>This Inner Loop Header: Depth=1
	ds_read_b32 v9, v15
	ds_read_b64 v[4:5], v1
	s_waitcnt lgkmcnt(0)
	s_barrier
	v_cmp_gt_i32_e64 s[30:31], s33, v9
	v_and_b32_e32 v11, s30, v2
	s_bcnt1_i32_b64 s38, s[30:31]
	v_and_b32_e32 v10, s31, v3
	v_bcnt_u32_b32 v11, v11, 0
	v_bcnt_u32_b32 v10, v10, v11
	v_mov_b32_e32 v11, s38
	ds_write_b32 v7, v11 offset:49152
	s_waitcnt lgkmcnt(0)
	s_barrier
	s_and_saveexec_b64 s[38:39], s[0:1]
	s_cbranch_execnz .LBB36_62
; %bb.46:                               ;   in Loop: Header=BB36_45 Depth=1
	s_or_b64 exec, exec, s[38:39]
	s_and_saveexec_b64 s[38:39], s[2:3]
	s_cbranch_execnz .LBB36_63
.LBB36_47:                              ;   in Loop: Header=BB36_45 Depth=1
	s_or_b64 exec, exec, s[38:39]
	s_and_saveexec_b64 s[38:39], s[4:5]
	s_cbranch_execnz .LBB36_64
.LBB36_48:                              ;   in Loop: Header=BB36_45 Depth=1
	s_or_b64 exec, exec, s[38:39]
	s_and_saveexec_b64 s[38:39], s[6:7]
	s_cbranch_execnz .LBB36_65
.LBB36_49:                              ;   in Loop: Header=BB36_45 Depth=1
	s_or_b64 exec, exec, s[38:39]
	s_and_saveexec_b64 s[38:39], s[8:9]
	s_cbranch_execnz .LBB36_66
.LBB36_50:                              ;   in Loop: Header=BB36_45 Depth=1
	s_or_b64 exec, exec, s[38:39]
	s_and_saveexec_b64 s[38:39], s[10:11]
	s_cbranch_execnz .LBB36_67
.LBB36_51:                              ;   in Loop: Header=BB36_45 Depth=1
	s_or_b64 exec, exec, s[38:39]
	s_and_saveexec_b64 s[38:39], s[12:13]
	s_cbranch_execnz .LBB36_68
.LBB36_52:                              ;   in Loop: Header=BB36_45 Depth=1
	s_or_b64 exec, exec, s[38:39]
	s_and_saveexec_b64 s[38:39], s[14:15]
	s_cbranch_execnz .LBB36_69
.LBB36_53:                              ;   in Loop: Header=BB36_45 Depth=1
	s_or_b64 exec, exec, s[38:39]
	s_and_saveexec_b64 s[38:39], s[16:17]
	s_cbranch_execnz .LBB36_70
.LBB36_54:                              ;   in Loop: Header=BB36_45 Depth=1
	s_or_b64 exec, exec, s[38:39]
	s_and_saveexec_b64 s[38:39], s[18:19]
	s_cbranch_execnz .LBB36_71
.LBB36_55:                              ;   in Loop: Header=BB36_45 Depth=1
	s_or_b64 exec, exec, s[38:39]
	s_and_saveexec_b64 s[38:39], s[20:21]
	s_cbranch_execnz .LBB36_72
.LBB36_56:                              ;   in Loop: Header=BB36_45 Depth=1
	s_or_b64 exec, exec, s[38:39]
	s_and_saveexec_b64 s[38:39], s[22:23]
	s_cbranch_execnz .LBB36_73
.LBB36_57:                              ;   in Loop: Header=BB36_45 Depth=1
	s_or_b64 exec, exec, s[38:39]
	s_and_saveexec_b64 s[38:39], s[24:25]
	s_cbranch_execnz .LBB36_74
.LBB36_58:                              ;   in Loop: Header=BB36_45 Depth=1
	s_or_b64 exec, exec, s[38:39]
	s_and_saveexec_b64 s[38:39], s[26:27]
	s_cbranch_execnz .LBB36_75
.LBB36_59:                              ;   in Loop: Header=BB36_45 Depth=1
	s_or_b64 exec, exec, s[38:39]
	s_and_saveexec_b64 s[38:39], s[28:29]
	s_cbranch_execnz .LBB36_76
.LBB36_60:                              ;   in Loop: Header=BB36_45 Depth=1
	s_or_b64 exec, exec, s[38:39]
	s_and_saveexec_b64 s[38:39], s[30:31]
	s_cbranch_execnz .LBB36_77
.LBB36_61:                              ;   in Loop: Header=BB36_45 Depth=1
	s_or_b64 exec, exec, s[38:39]
	s_and_saveexec_b64 s[30:31], vcc
	s_cbranch_execz .LBB36_44
	s_branch .LBB36_78
.LBB36_62:                              ;   in Loop: Header=BB36_45 Depth=1
	ds_read_b32 v11, v6 offset:49152
	s_waitcnt lgkmcnt(0)
	v_add_u32_e32 v10, v11, v10
	s_or_b64 exec, exec, s[38:39]
	s_and_saveexec_b64 s[38:39], s[2:3]
	s_cbranch_execz .LBB36_47
.LBB36_63:                              ;   in Loop: Header=BB36_45 Depth=1
	ds_read_b32 v11, v6 offset:49156
	s_waitcnt lgkmcnt(0)
	v_add_u32_e32 v10, v11, v10
	s_or_b64 exec, exec, s[38:39]
	s_and_saveexec_b64 s[38:39], s[4:5]
	s_cbranch_execz .LBB36_48
.LBB36_64:                              ;   in Loop: Header=BB36_45 Depth=1
	ds_read_b32 v11, v6 offset:49160
	s_waitcnt lgkmcnt(0)
	v_add_u32_e32 v10, v11, v10
	s_or_b64 exec, exec, s[38:39]
	s_and_saveexec_b64 s[38:39], s[6:7]
	s_cbranch_execz .LBB36_49
.LBB36_65:                              ;   in Loop: Header=BB36_45 Depth=1
	ds_read_b32 v11, v6 offset:49164
	s_waitcnt lgkmcnt(0)
	v_add_u32_e32 v10, v11, v10
	s_or_b64 exec, exec, s[38:39]
	s_and_saveexec_b64 s[38:39], s[8:9]
	s_cbranch_execz .LBB36_50
.LBB36_66:                              ;   in Loop: Header=BB36_45 Depth=1
	ds_read_b32 v11, v6 offset:49168
	s_waitcnt lgkmcnt(0)
	v_add_u32_e32 v10, v11, v10
	s_or_b64 exec, exec, s[38:39]
	s_and_saveexec_b64 s[38:39], s[10:11]
	s_cbranch_execz .LBB36_51
.LBB36_67:                              ;   in Loop: Header=BB36_45 Depth=1
	ds_read_b32 v11, v6 offset:49172
	s_waitcnt lgkmcnt(0)
	v_add_u32_e32 v10, v11, v10
	s_or_b64 exec, exec, s[38:39]
	s_and_saveexec_b64 s[38:39], s[12:13]
	s_cbranch_execz .LBB36_52
.LBB36_68:                              ;   in Loop: Header=BB36_45 Depth=1
	ds_read_b32 v11, v6 offset:49176
	s_waitcnt lgkmcnt(0)
	v_add_u32_e32 v10, v11, v10
	s_or_b64 exec, exec, s[38:39]
	s_and_saveexec_b64 s[38:39], s[14:15]
	s_cbranch_execz .LBB36_53
.LBB36_69:                              ;   in Loop: Header=BB36_45 Depth=1
	ds_read_b32 v11, v6 offset:49180
	s_waitcnt lgkmcnt(0)
	v_add_u32_e32 v10, v11, v10
	s_or_b64 exec, exec, s[38:39]
	s_and_saveexec_b64 s[38:39], s[16:17]
	s_cbranch_execz .LBB36_54
.LBB36_70:                              ;   in Loop: Header=BB36_45 Depth=1
	ds_read_b32 v11, v6 offset:49184
	s_waitcnt lgkmcnt(0)
	v_add_u32_e32 v10, v11, v10
	s_or_b64 exec, exec, s[38:39]
	s_and_saveexec_b64 s[38:39], s[18:19]
	s_cbranch_execz .LBB36_55
.LBB36_71:                              ;   in Loop: Header=BB36_45 Depth=1
	ds_read_b32 v11, v6 offset:49188
	s_waitcnt lgkmcnt(0)
	v_add_u32_e32 v10, v11, v10
	s_or_b64 exec, exec, s[38:39]
	s_and_saveexec_b64 s[38:39], s[20:21]
	s_cbranch_execz .LBB36_56
.LBB36_72:                              ;   in Loop: Header=BB36_45 Depth=1
	ds_read_b32 v11, v6 offset:49192
	s_waitcnt lgkmcnt(0)
	v_add_u32_e32 v10, v11, v10
	s_or_b64 exec, exec, s[38:39]
	s_and_saveexec_b64 s[38:39], s[22:23]
	s_cbranch_execz .LBB36_57
.LBB36_73:                              ;   in Loop: Header=BB36_45 Depth=1
	ds_read_b32 v11, v6 offset:49196
	s_waitcnt lgkmcnt(0)
	v_add_u32_e32 v10, v11, v10
	s_or_b64 exec, exec, s[38:39]
	s_and_saveexec_b64 s[38:39], s[24:25]
	s_cbranch_execz .LBB36_58
.LBB36_74:                              ;   in Loop: Header=BB36_45 Depth=1
	ds_read_b32 v11, v6 offset:49200
	s_waitcnt lgkmcnt(0)
	v_add_u32_e32 v10, v11, v10
	s_or_b64 exec, exec, s[38:39]
	s_and_saveexec_b64 s[38:39], s[26:27]
	s_cbranch_execz .LBB36_59
.LBB36_75:                              ;   in Loop: Header=BB36_45 Depth=1
	ds_read_b32 v11, v6 offset:49204
	s_waitcnt lgkmcnt(0)
	v_add_u32_e32 v10, v11, v10
	s_or_b64 exec, exec, s[38:39]
	s_and_saveexec_b64 s[38:39], s[28:29]
	s_cbranch_execz .LBB36_60
.LBB36_76:                              ;   in Loop: Header=BB36_45 Depth=1
	ds_read_b32 v11, v6 offset:49208
	s_waitcnt lgkmcnt(0)
	v_add_u32_e32 v10, v11, v10
	s_or_b64 exec, exec, s[38:39]
	s_and_saveexec_b64 s[38:39], s[30:31]
	s_cbranch_execz .LBB36_61
.LBB36_77:                              ;   in Loop: Header=BB36_45 Depth=1
	v_add3_u32 v11, v8, -1, v10
	v_lshl_add_u32 v12, v11, 2, 0
	v_lshl_add_u32 v11, v11, 3, 0
	ds_write_b32 v12, v9
	ds_write_b64 v11, v[4:5] offset:16384
	s_or_b64 exec, exec, s[38:39]
	s_and_saveexec_b64 s[30:31], vcc
	s_cbranch_execz .LBB36_44
.LBB36_78:                              ;   in Loop: Header=BB36_45 Depth=1
	ds_write_b32 v6, v10 offset:49212
	s_branch .LBB36_44
.LBB36_79:
	s_or_b64 exec, exec, s[36:37]
	s_ashr_i32 s35, s34, 31
	s_lshl_b64 s[0:1], s[34:35], 2
	s_add_u32 s0, s42, s0
	s_addc_u32 s1, s43, s1
	s_load_dwordx2 s[0:1], s[0:1], 0x0
	s_waitcnt lgkmcnt(0)
	s_sub_i32 s14, s1, s0
	v_cmp_gt_i32_e32 vcc, s14, v0
	s_and_saveexec_b64 s[2:3], vcc
	s_cbranch_execz .LBB36_94
; %bb.80:
	s_sub_i32 s6, s0, s46
	s_add_i32 s0, s14, -2
	s_lshr_b32 s1, s0, 1
	s_add_i32 s2, s1, 1
	s_cmp_gt_u32 s14, 1
	s_cselect_b64 s[8:9], -1, 0
	s_and_b32 s15, s14, -2
	s_and_b32 s4, s2, 7
	s_cmp_gt_u32 s0, 13
	s_cselect_b64 s[0:1], -1, 0
	s_and_b32 s16, s2, -8
	s_cmp_lg_u32 s4, 0
	s_cselect_b64 s[2:3], -1, 0
	v_cndmask_b32_e64 v1, 0, 1, s[0:1]
	s_cmp_lg_u32 s14, s15
	v_cmp_ne_u32_e64 s[0:1], 1, v1
	v_cndmask_b32_e64 v1, 0, 1, s[2:3]
	s_mov_b32 s7, 0
	s_cselect_b64 s[10:11], -1, 0
	s_lshl_b32 s17, s4, 3
	s_mov_b64 s[12:13], 0
	v_cmp_ne_u32_e64 s[2:3], 1, v1
	v_mov_b32_e32 v1, s49
	v_mov_b32_e32 v6, s51
	s_branch .LBB36_82
.LBB36_81:                              ;   in Loop: Header=BB36_82 Depth=1
	v_ashrrev_i32_e32 v5, 31, v4
	v_lshlrev_b64 v[8:9], 2, v[4:5]
	v_add_co_u32_e32 v8, vcc, s48, v8
	v_addc_co_u32_e32 v9, vcc, v1, v9, vcc
	v_lshlrev_b64 v[4:5], 3, v[4:5]
	v_add_co_u32_e32 v4, vcc, s50, v4
	v_addc_co_u32_e32 v5, vcc, v6, v5, vcc
	v_add_u32_e32 v0, 0x400, v0
	v_cmp_le_i32_e32 vcc, s14, v0
	s_waitcnt lgkmcnt(1)
	v_add_u32_e32 v7, s46, v7
	s_or_b64 s[12:13], vcc, s[12:13]
	global_store_dword v[8:9], v7, off
	s_waitcnt lgkmcnt(0)
	global_store_dwordx2 v[4:5], v[2:3], off
	s_andn2_b64 exec, exec, s[12:13]
	s_cbranch_execz .LBB36_94
.LBB36_82:                              ; =>This Loop Header: Depth=1
                                        ;     Child Loop BB36_85 Depth 2
                                        ;     Child Loop BB36_90 Depth 2
	;; [unrolled: 1-line block ×3, first 2 shown]
	v_lshlrev_b32_e32 v2, 2, v0
	v_add_u32_e32 v3, 0, v2
	v_add_u32_e32 v2, v3, v2
	ds_read_b32 v7, v3
	ds_read_b64 v[2:3], v2 offset:16384
	s_and_b64 vcc, exec, s[8:9]
	s_cbranch_vccz .LBB36_87
; %bb.83:                               ;   in Loop: Header=BB36_82 Depth=1
	s_and_b64 vcc, exec, s[0:1]
	s_cbranch_vccnz .LBB36_88
; %bb.84:                               ;   in Loop: Header=BB36_82 Depth=1
	s_mov_b32 s19, 0
	v_mov_b32_e32 v4, s6
	v_mov_b32_e32 v5, 0
	s_mov_b32 s20, s16
	s_mov_b32 s18, 0
.LBB36_85:                              ;   Parent Loop BB36_82 Depth=1
                                        ; =>  This Inner Loop Header: Depth=2
	v_mov_b32_e32 v22, s19
	ds_read2_b32 v[8:9], v22 offset1:1
	ds_read2_b32 v[10:11], v22 offset0:2 offset1:3
	ds_read2_b32 v[12:13], v22 offset0:4 offset1:5
	;; [unrolled: 1-line block ×7, first 2 shown]
	s_waitcnt lgkmcnt(7)
	v_cmp_gt_i32_e32 vcc, v7, v9
	v_cndmask_b32_e64 v9, 0, 1, vcc
	v_cmp_gt_i32_e32 vcc, v7, v8
	s_waitcnt lgkmcnt(5)
	v_cmp_gt_i32_e64 s[4:5], v7, v12
	v_cndmask_b32_e64 v8, 0, 1, vcc
	v_cmp_gt_i32_e32 vcc, v7, v11
	v_cndmask_b32_e64 v11, 0, 1, s[4:5]
	v_cmp_gt_i32_e64 s[4:5], v7, v13
	v_cndmask_b32_e64 v12, 0, 1, s[4:5]
	s_waitcnt lgkmcnt(3)
	v_cmp_gt_i32_e64 s[4:5], v7, v17
	v_cndmask_b32_e64 v13, 0, 1, s[4:5]
	v_cmp_gt_i32_e64 s[4:5], v7, v16
	v_cndmask_b32_e64 v16, 0, 1, s[4:5]
	s_waitcnt lgkmcnt(1)
	v_cmp_gt_i32_e64 s[4:5], v7, v20
	v_cndmask_b32_e64 v17, 0, 1, s[4:5]
	v_cmp_gt_i32_e64 s[4:5], v7, v21
	v_cndmask_b32_e64 v20, 0, 1, s[4:5]
	v_cmp_gt_i32_e64 s[4:5], v7, v10
	v_addc_co_u32_e64 v4, s[4:5], v4, v8, s[4:5]
	v_addc_co_u32_e32 v5, vcc, v5, v9, vcc
	v_cmp_gt_i32_e32 vcc, v7, v14
	v_cmp_gt_i32_e64 s[4:5], v7, v15
	v_addc_co_u32_e64 v5, s[4:5], v5, v12, s[4:5]
	v_addc_co_u32_e32 v4, vcc, v4, v11, vcc
	v_cmp_gt_i32_e32 vcc, v7, v19
	v_cmp_gt_i32_e64 s[4:5], v7, v18
	v_addc_co_u32_e64 v4, s[4:5], v4, v16, s[4:5]
	v_addc_co_u32_e32 v5, vcc, v5, v13, vcc
	s_add_i32 s18, s18, 16
	s_add_i32 s19, s19, 64
	s_add_i32 s20, s20, -8
	s_waitcnt lgkmcnt(0)
	v_cmp_gt_i32_e32 vcc, v7, v22
	v_cmp_gt_i32_e64 s[4:5], v7, v23
	s_cmp_lg_u32 s20, 0
	v_addc_co_u32_e64 v5, s[4:5], v5, v20, s[4:5]
	v_addc_co_u32_e32 v4, vcc, v4, v17, vcc
	s_cbranch_scc1 .LBB36_85
; %bb.86:                               ;   in Loop: Header=BB36_82 Depth=1
	s_and_b64 vcc, exec, s[2:3]
	s_cbranch_vccz .LBB36_89
	s_branch .LBB36_91
.LBB36_87:                              ;   in Loop: Header=BB36_82 Depth=1
	v_mov_b32_e32 v4, s6
	s_mov_b32 s18, 0
	s_cbranch_execz .LBB36_81
	s_branch .LBB36_92
.LBB36_88:                              ;   in Loop: Header=BB36_82 Depth=1
	v_pk_mov_b32 v[4:5], s[6:7], s[6:7] op_sel:[0,1]
	s_mov_b32 s18, 0
	s_and_b64 vcc, exec, s[2:3]
	s_cbranch_vccnz .LBB36_91
.LBB36_89:                              ;   in Loop: Header=BB36_82 Depth=1
	s_lshl_b32 s4, s18, 2
	s_add_i32 s4, s4, 0
	s_mov_b32 s5, s17
.LBB36_90:                              ;   Parent Loop BB36_82 Depth=1
                                        ; =>  This Inner Loop Header: Depth=2
	v_mov_b32_e32 v8, s4
	ds_read2_b32 v[8:9], v8 offset1:1
	s_add_i32 s4, s4, 8
	s_add_i32 s5, s5, -8
	s_cmp_lg_u32 s5, 0
	s_waitcnt lgkmcnt(0)
	v_cmp_gt_i32_e32 vcc, v7, v9
	v_addc_co_u32_e32 v5, vcc, 0, v5, vcc
	v_cmp_gt_i32_e32 vcc, v7, v8
	v_addc_co_u32_e32 v4, vcc, 0, v4, vcc
	s_cbranch_scc1 .LBB36_90
.LBB36_91:                              ;   in Loop: Header=BB36_82 Depth=1
	v_add_u32_e32 v4, v4, v5
	s_mov_b32 s18, s15
	s_mov_b64 s[4:5], s[10:11]
	s_and_b64 vcc, exec, s[4:5]
	s_cbranch_vccz .LBB36_81
.LBB36_92:                              ;   in Loop: Header=BB36_82 Depth=1
	s_lshl_b32 s4, s18, 2
	s_add_i32 s4, s4, 0
.LBB36_93:                              ;   Parent Loop BB36_82 Depth=1
                                        ; =>  This Inner Loop Header: Depth=2
	v_mov_b32_e32 v5, s4
	ds_read_b32 v5, v5
	s_add_i32 s18, s18, 1
	s_add_i32 s4, s4, 4
	s_cmp_ge_i32 s18, s14
	s_waitcnt lgkmcnt(0)
	v_cmp_gt_i32_e32 vcc, v7, v5
	v_addc_co_u32_e32 v4, vcc, 0, v4, vcc
	s_cbranch_scc0 .LBB36_93
	s_branch .LBB36_81
.LBB36_94:
	s_endpgm
	.section	.rodata,"a",@progbits
	.p2align	6, 0x0
	.amdhsa_kernel _ZN9rocsparseL26csrgemm_fill_block_per_rowILj1024ELj64ELj4096ELj137ELj64EiidEEvT5_PKS1_S3_NS_24const_host_device_scalarIT6_EEPKT4_S3_PKS5_S9_S3_SB_S6_S9_S3_SB_S9_PS1_PS5_21rocsparse_index_base_SE_SE_SE_bbb
		.amdhsa_group_segment_fixed_size 0
		.amdhsa_private_segment_fixed_size 0
		.amdhsa_kernarg_size 156
		.amdhsa_user_sgpr_count 6
		.amdhsa_user_sgpr_private_segment_buffer 1
		.amdhsa_user_sgpr_dispatch_ptr 0
		.amdhsa_user_sgpr_queue_ptr 0
		.amdhsa_user_sgpr_kernarg_segment_ptr 1
		.amdhsa_user_sgpr_dispatch_id 0
		.amdhsa_user_sgpr_flat_scratch_init 0
		.amdhsa_user_sgpr_kernarg_preload_length 0
		.amdhsa_user_sgpr_kernarg_preload_offset 0
		.amdhsa_user_sgpr_private_segment_size 0
		.amdhsa_uses_dynamic_stack 0
		.amdhsa_system_sgpr_private_segment_wavefront_offset 0
		.amdhsa_system_sgpr_workgroup_id_x 1
		.amdhsa_system_sgpr_workgroup_id_y 0
		.amdhsa_system_sgpr_workgroup_id_z 0
		.amdhsa_system_sgpr_workgroup_info 0
		.amdhsa_system_vgpr_workitem_id 0
		.amdhsa_next_free_vgpr 24
		.amdhsa_next_free_sgpr 52
		.amdhsa_accum_offset 24
		.amdhsa_reserve_vcc 1
		.amdhsa_reserve_flat_scratch 0
		.amdhsa_float_round_mode_32 0
		.amdhsa_float_round_mode_16_64 0
		.amdhsa_float_denorm_mode_32 3
		.amdhsa_float_denorm_mode_16_64 3
		.amdhsa_dx10_clamp 1
		.amdhsa_ieee_mode 1
		.amdhsa_fp16_overflow 0
		.amdhsa_tg_split 0
		.amdhsa_exception_fp_ieee_invalid_op 0
		.amdhsa_exception_fp_denorm_src 0
		.amdhsa_exception_fp_ieee_div_zero 0
		.amdhsa_exception_fp_ieee_overflow 0
		.amdhsa_exception_fp_ieee_underflow 0
		.amdhsa_exception_fp_ieee_inexact 0
		.amdhsa_exception_int_div_zero 0
	.end_amdhsa_kernel
	.section	.text._ZN9rocsparseL26csrgemm_fill_block_per_rowILj1024ELj64ELj4096ELj137ELj64EiidEEvT5_PKS1_S3_NS_24const_host_device_scalarIT6_EEPKT4_S3_PKS5_S9_S3_SB_S6_S9_S3_SB_S9_PS1_PS5_21rocsparse_index_base_SE_SE_SE_bbb,"axG",@progbits,_ZN9rocsparseL26csrgemm_fill_block_per_rowILj1024ELj64ELj4096ELj137ELj64EiidEEvT5_PKS1_S3_NS_24const_host_device_scalarIT6_EEPKT4_S3_PKS5_S9_S3_SB_S6_S9_S3_SB_S9_PS1_PS5_21rocsparse_index_base_SE_SE_SE_bbb,comdat
.Lfunc_end36:
	.size	_ZN9rocsparseL26csrgemm_fill_block_per_rowILj1024ELj64ELj4096ELj137ELj64EiidEEvT5_PKS1_S3_NS_24const_host_device_scalarIT6_EEPKT4_S3_PKS5_S9_S3_SB_S6_S9_S3_SB_S9_PS1_PS5_21rocsparse_index_base_SE_SE_SE_bbb, .Lfunc_end36-_ZN9rocsparseL26csrgemm_fill_block_per_rowILj1024ELj64ELj4096ELj137ELj64EiidEEvT5_PKS1_S3_NS_24const_host_device_scalarIT6_EEPKT4_S3_PKS5_S9_S3_SB_S6_S9_S3_SB_S9_PS1_PS5_21rocsparse_index_base_SE_SE_SE_bbb
                                        ; -- End function
	.section	.AMDGPU.csdata,"",@progbits
; Kernel info:
; codeLenInByte = 3320
; NumSgprs: 56
; NumVgprs: 24
; NumAgprs: 0
; TotalNumVgprs: 24
; ScratchSize: 0
; MemoryBound: 0
; FloatMode: 240
; IeeeMode: 1
; LDSByteSize: 0 bytes/workgroup (compile time only)
; SGPRBlocks: 6
; VGPRBlocks: 2
; NumSGPRsForWavesPerEU: 56
; NumVGPRsForWavesPerEU: 24
; AccumOffset: 24
; Occupancy: 8
; WaveLimiterHint : 1
; COMPUTE_PGM_RSRC2:SCRATCH_EN: 0
; COMPUTE_PGM_RSRC2:USER_SGPR: 6
; COMPUTE_PGM_RSRC2:TRAP_HANDLER: 0
; COMPUTE_PGM_RSRC2:TGID_X_EN: 1
; COMPUTE_PGM_RSRC2:TGID_Y_EN: 0
; COMPUTE_PGM_RSRC2:TGID_Z_EN: 0
; COMPUTE_PGM_RSRC2:TIDIG_COMP_CNT: 0
; COMPUTE_PGM_RSRC3_GFX90A:ACCUM_OFFSET: 5
; COMPUTE_PGM_RSRC3_GFX90A:TG_SPLIT: 0
	.section	.text._ZN9rocsparseL26csrgemm_fill_block_per_rowILj1024ELj64ELj8192ELj137ELj32EiidEEvT5_PKS1_S3_NS_24const_host_device_scalarIT6_EEPKT4_S3_PKS5_S9_S3_SB_S6_S9_S3_SB_S9_PS1_PS5_21rocsparse_index_base_SE_SE_SE_bbb,"axG",@progbits,_ZN9rocsparseL26csrgemm_fill_block_per_rowILj1024ELj64ELj8192ELj137ELj32EiidEEvT5_PKS1_S3_NS_24const_host_device_scalarIT6_EEPKT4_S3_PKS5_S9_S3_SB_S6_S9_S3_SB_S9_PS1_PS5_21rocsparse_index_base_SE_SE_SE_bbb,comdat
	.globl	_ZN9rocsparseL26csrgemm_fill_block_per_rowILj1024ELj64ELj8192ELj137ELj32EiidEEvT5_PKS1_S3_NS_24const_host_device_scalarIT6_EEPKT4_S3_PKS5_S9_S3_SB_S6_S9_S3_SB_S9_PS1_PS5_21rocsparse_index_base_SE_SE_SE_bbb ; -- Begin function _ZN9rocsparseL26csrgemm_fill_block_per_rowILj1024ELj64ELj8192ELj137ELj32EiidEEvT5_PKS1_S3_NS_24const_host_device_scalarIT6_EEPKT4_S3_PKS5_S9_S3_SB_S6_S9_S3_SB_S9_PS1_PS5_21rocsparse_index_base_SE_SE_SE_bbb
	.p2align	8
	.type	_ZN9rocsparseL26csrgemm_fill_block_per_rowILj1024ELj64ELj8192ELj137ELj32EiidEEvT5_PKS1_S3_NS_24const_host_device_scalarIT6_EEPKT4_S3_PKS5_S9_S3_SB_S6_S9_S3_SB_S9_PS1_PS5_21rocsparse_index_base_SE_SE_SE_bbb,@function
_ZN9rocsparseL26csrgemm_fill_block_per_rowILj1024ELj64ELj8192ELj137ELj32EiidEEvT5_PKS1_S3_NS_24const_host_device_scalarIT6_EEPKT4_S3_PKS5_S9_S3_SB_S6_S9_S3_SB_S9_PS1_PS5_21rocsparse_index_base_SE_SE_SE_bbb: ; @_ZN9rocsparseL26csrgemm_fill_block_per_rowILj1024ELj64ELj8192ELj137ELj32EiidEEvT5_PKS1_S3_NS_24const_host_device_scalarIT6_EEPKT4_S3_PKS5_S9_S3_SB_S6_S9_S3_SB_S9_PS1_PS5_21rocsparse_index_base_SE_SE_SE_bbb
; %bb.0:
	s_load_dword s7, s[4:5], 0x98
	s_load_dwordx4 s[0:3], s[4:5], 0x8
	s_load_dwordx2 s[14:15], s[4:5], 0x18
	s_load_dwordx4 s[64:67], s[4:5], 0x88
	s_load_dwordx2 s[10:11], s[4:5], 0x50
	s_waitcnt lgkmcnt(0)
	s_and_b32 s8, 1, s7
	s_bitcmp1_b32 s7, 16
	s_cselect_b64 s[12:13], -1, 0
	s_cmp_eq_u32 s8, 1
	s_cselect_b64 s[8:9], -1, 0
	s_and_b64 s[16:17], s[8:9], exec
	s_cselect_b32 s17, s15, 0
	s_cselect_b32 s16, s14, 0
	s_xor_b64 s[18:19], s[8:9], -1
	s_or_b64 s[18:19], s[18:19], s[12:13]
	s_and_b64 vcc, exec, s[18:19]
	v_pk_mov_b32 v[4:5], s[16:17], s[16:17] op_sel:[0,1]
	s_cbranch_vccnz .LBB37_2
; %bb.1:
	v_pk_mov_b32 v[2:3], s[14:15], s[14:15] op_sel:[0,1]
	flat_load_dwordx2 v[4:5], v[2:3]
.LBB37_2:
	s_bitcmp1_b32 s7, 8
	s_cselect_b64 s[16:17], -1, 0
	s_and_b64 s[14:15], s[16:17], exec
	s_cselect_b32 s15, s11, 0
	s_cselect_b32 s14, s10, 0
	s_xor_b64 s[18:19], s[16:17], -1
	s_or_b64 s[12:13], s[18:19], s[12:13]
	s_and_b64 vcc, exec, s[12:13]
	v_pk_mov_b32 v[2:3], s[14:15], s[14:15] op_sel:[0,1]
	s_cbranch_vccnz .LBB37_4
; %bb.3:
	v_pk_mov_b32 v[2:3], s[10:11], s[10:11] op_sel:[0,1]
	flat_load_dwordx2 v[2:3], v[2:3]
.LBB37_4:
	s_load_dword s33, s[4:5], 0x0
	v_lshlrev_b32_e32 v6, 2, v0
	s_mov_b32 s10, 0
	v_add_u32_e32 v1, 0, v6
	s_mov_b32 s11, s10
	v_add_u32_e32 v8, v1, v6
	v_pk_mov_b32 v[6:7], s[10:11], s[10:11] op_sel:[0,1]
	s_waitcnt lgkmcnt(0)
	v_mov_b32_e32 v9, s33
	ds_write_b64 v8, v[6:7] offset:32768
	v_mov_b32_e32 v8, s33
	s_add_i32 s7, 0, 0x8000
	ds_write2st64_b32 v1, v9, v8 offset1:16
	v_lshl_add_u32 v8, v0, 3, s7
	v_mov_b32_e32 v10, s33
	ds_write2st64_b64 v8, v[6:7], v[6:7] offset0:16 offset1:32
	ds_write2st64_b32 v1, v9, v10 offset0:32 offset1:48
	ds_write2st64_b64 v8, v[6:7], v[6:7] offset0:48 offset1:64
	ds_write2st64_b32 v1, v9, v10 offset0:64 offset1:80
	;; [unrolled: 2-line block ×3, first 2 shown]
	ds_write_b64 v8, v[6:7] offset:57344
	s_waitcnt lgkmcnt(0)
	s_barrier
	s_load_dword s0, s[0:1], 0x0
	s_mov_b32 s1, s10
                                        ; implicit-def: $vgpr24 : SGPR spill to VGPR lane
	s_waitcnt lgkmcnt(0)
	s_add_i32 s0, s0, s6
	s_lshl_b64 s[0:1], s[0:1], 2
	s_add_u32 s0, s2, s0
	s_addc_u32 s1, s3, s1
	s_load_dword s0, s[0:1], 0x0
	s_andn2_b64 vcc, exec, s[8:9]
	s_waitcnt lgkmcnt(0)
	v_writelane_b32 v24, s0, 0
	v_writelane_b32 v24, s1, 1
	s_cbranch_vccnz .LBB37_24
; %bb.5:
	s_load_dwordx2 s[0:1], s[4:5], 0x20
	v_readlane_b32 s2, v24, 0
	v_readlane_b32 s3, v24, 1
	s_mov_b32 s6, s2
	s_ashr_i32 s7, s2, 31
	v_writelane_b32 v24, s2, 0
	v_writelane_b32 v24, s3, 1
	s_lshl_b64 s[2:3], s[6:7], 2
	s_waitcnt lgkmcnt(0)
	s_add_u32 s0, s0, s2
	s_addc_u32 s1, s1, s3
	s_load_dwordx2 s[0:1], s[0:1], 0x0
	v_lshrrev_b32_e32 v6, 6, v0
	v_subrev_u32_e32 v6, s64, v6
	s_waitcnt lgkmcnt(0)
	s_sub_i32 s36, s1, s64
	v_add_u32_e32 v6, s0, v6
	v_cmp_gt_i32_e32 vcc, s36, v6
	s_and_saveexec_b64 s[0:1], vcc
	s_cbranch_execz .LBB37_23
; %bb.6:
	s_load_dwordx8 s[8:15], s[4:5], 0x28
	s_load_dwordx2 s[2:3], s[4:5], 0x48
	v_and_b32_e32 v7, 63, v0
	s_mov_b64 s[6:7], 0
	v_subrev_u32_e32 v14, s65, v7
	s_waitcnt lgkmcnt(0)
	v_mov_b32_e32 v15, s9
	v_mov_b32_e32 v16, s13
	s_movk_i32 s9, 0x89
	s_branch .LBB37_8
.LBB37_7:                               ;   in Loop: Header=BB37_8 Depth=1
	s_or_b64 exec, exec, s[18:19]
	v_add_u32_e32 v6, 16, v6
	v_cmp_le_i32_e32 vcc, s36, v6
	s_or_b64 s[6:7], vcc, s[6:7]
	s_andn2_b64 exec, exec, s[6:7]
	s_cbranch_execz .LBB37_23
.LBB37_8:                               ; =>This Loop Header: Depth=1
                                        ;     Child Loop BB37_11 Depth 2
                                        ;       Child Loop BB37_13 Depth 3
	v_ashrrev_i32_e32 v7, 31, v6
	v_lshlrev_b64 v[8:9], 2, v[6:7]
	v_add_co_u32_e32 v8, vcc, s8, v8
	v_addc_co_u32_e32 v9, vcc, v15, v9, vcc
	global_load_dword v8, v[8:9], off
	s_waitcnt vmcnt(0)
	v_subrev_u32_e32 v8, s64, v8
	v_ashrrev_i32_e32 v9, 31, v8
	v_lshlrev_b64 v[8:9], 2, v[8:9]
	v_add_co_u32_e32 v8, vcc, s12, v8
	v_addc_co_u32_e32 v9, vcc, v16, v9, vcc
	global_load_dwordx2 v[8:9], v[8:9], off
	s_waitcnt vmcnt(0)
	v_subrev_u32_e32 v17, s65, v9
	v_add_u32_e32 v8, v8, v14
	v_cmp_lt_i32_e32 vcc, v8, v17
	s_and_saveexec_b64 s[18:19], vcc
	s_cbranch_execz .LBB37_7
; %bb.9:                                ;   in Loop: Header=BB37_8 Depth=1
	v_lshlrev_b64 v[10:11], 3, v[6:7]
	v_mov_b32_e32 v7, s11
	v_add_co_u32_e32 v10, vcc, s10, v10
	v_addc_co_u32_e32 v11, vcc, v7, v11, vcc
	global_load_dwordx2 v[10:11], v[10:11], off
	s_mov_b64 s[20:21], 0
	s_waitcnt vmcnt(0)
	v_mul_f64 v[10:11], v[4:5], v[10:11]
	s_branch .LBB37_11
.LBB37_10:                              ;   in Loop: Header=BB37_11 Depth=2
	s_or_b64 exec, exec, s[22:23]
	v_add_u32_e32 v8, 64, v8
	v_cmp_ge_i32_e32 vcc, v8, v17
	s_or_b64 s[20:21], vcc, s[20:21]
	s_andn2_b64 exec, exec, s[20:21]
	s_cbranch_execz .LBB37_7
.LBB37_11:                              ;   Parent Loop BB37_8 Depth=1
                                        ; =>  This Loop Header: Depth=2
                                        ;       Child Loop BB37_13 Depth 3
	v_ashrrev_i32_e32 v9, 31, v8
	v_lshlrev_b64 v[12:13], 2, v[8:9]
	v_mov_b32_e32 v7, s15
	v_add_co_u32_e32 v12, vcc, s14, v12
	v_addc_co_u32_e32 v13, vcc, v7, v13, vcc
	global_load_dword v7, v[12:13], off
	v_lshlrev_b64 v[12:13], 3, v[8:9]
	v_mov_b32_e32 v9, s3
	v_add_co_u32_e32 v12, vcc, s2, v12
	v_addc_co_u32_e32 v13, vcc, v9, v13, vcc
	global_load_dwordx2 v[12:13], v[12:13], off
	s_mov_b64 s[22:23], 0
	s_waitcnt vmcnt(1)
	v_subrev_u32_e32 v7, s65, v7
	v_mul_lo_u32 v9, v7, s9
	v_and_b32_e32 v9, 0x1fff, v9
	s_waitcnt vmcnt(0)
	v_mul_f64 v[12:13], v[10:11], v[12:13]
	s_branch .LBB37_13
.LBB37_12:                              ;   in Loop: Header=BB37_13 Depth=3
	s_or_b64 exec, exec, s[24:25]
	s_xor_b64 s[24:25], s[26:27], -1
	s_and_b64 s[24:25], exec, s[24:25]
	s_or_b64 s[22:23], s[24:25], s[22:23]
	s_andn2_b64 exec, exec, s[22:23]
	s_cbranch_execz .LBB37_10
.LBB37_13:                              ;   Parent Loop BB37_8 Depth=1
                                        ;     Parent Loop BB37_11 Depth=2
                                        ; =>    This Inner Loop Header: Depth=3
	v_lshl_add_u32 v18, v9, 2, 0
	ds_read_b32 v19, v18
                                        ; implicit-def: $sgpr26_sgpr27
	s_waitcnt lgkmcnt(0)
	v_cmp_ne_u32_e32 vcc, v19, v7
	s_and_saveexec_b64 s[24:25], vcc
	s_xor_b64 s[24:25], exec, s[24:25]
	s_cbranch_execz .LBB37_21
; %bb.14:                               ;   in Loop: Header=BB37_13 Depth=3
	v_cmp_ne_u32_e32 vcc, s33, v19
                                        ; implicit-def: $sgpr26_sgpr27
	s_and_saveexec_b64 s[28:29], vcc
	s_xor_b64 s[28:29], exec, s[28:29]
; %bb.15:                               ;   in Loop: Header=BB37_13 Depth=3
	v_add_u32_e32 v9, 1, v9
	v_and_b32_e32 v9, 0x1fff, v9
	s_mov_b64 s[26:27], -1
                                        ; implicit-def: $vgpr18
; %bb.16:                               ;   in Loop: Header=BB37_13 Depth=3
	s_andn2_saveexec_b64 s[28:29], s[28:29]
	s_cbranch_execz .LBB37_20
; %bb.17:                               ;   in Loop: Header=BB37_13 Depth=3
	v_mov_b32_e32 v19, s33
	ds_cmpst_rtn_b32 v19, v18, v19, v7
	s_mov_b64 s[30:31], -1
	s_waitcnt lgkmcnt(0)
	v_cmp_eq_u32_e32 vcc, s33, v19
	s_and_saveexec_b64 s[34:35], vcc
	s_cbranch_execz .LBB37_19
; %bb.18:                               ;   in Loop: Header=BB37_13 Depth=3
	v_lshl_add_u32 v18, v9, 2, v18
	ds_add_f64 v18, v[12:13] offset:32768
	s_xor_b64 s[30:31], exec, -1
.LBB37_19:                              ;   in Loop: Header=BB37_13 Depth=3
	s_or_b64 exec, exec, s[34:35]
	s_andn2_b64 s[26:27], s[26:27], exec
	s_and_b64 s[30:31], s[30:31], exec
	s_or_b64 s[26:27], s[26:27], s[30:31]
.LBB37_20:                              ;   in Loop: Header=BB37_13 Depth=3
	s_or_b64 exec, exec, s[28:29]
	s_and_b64 s[26:27], s[26:27], exec
                                        ; implicit-def: $vgpr18
.LBB37_21:                              ;   in Loop: Header=BB37_13 Depth=3
	s_andn2_saveexec_b64 s[24:25], s[24:25]
	s_cbranch_execz .LBB37_12
; %bb.22:                               ;   in Loop: Header=BB37_13 Depth=3
	v_lshl_add_u32 v18, v9, 2, v18
	ds_add_f64 v18, v[12:13] offset:32768
	s_andn2_b64 s[26:27], s[26:27], exec
	s_branch .LBB37_12
.LBB37_23:
	s_or_b64 exec, exec, s[0:1]
.LBB37_24:
	s_load_dwordx2 s[24:25], s[4:5], 0x80
	s_load_dwordx4 s[0:3], s[4:5], 0x70
	s_andn2_b64 vcc, exec, s[16:17]
	s_waitcnt lgkmcnt(0)
	v_writelane_b32 v24, s0, 2
	v_writelane_b32 v24, s1, 3
	;; [unrolled: 1-line block ×4, first 2 shown]
	s_cbranch_vccnz .LBB37_41
; %bb.25:
	s_load_dwordx2 s[0:1], s[4:5], 0x58
	v_readlane_b32 s2, v24, 0
	v_readlane_b32 s3, v24, 1
	s_mov_b32 s6, s2
	s_ashr_i32 s7, s2, 31
	v_writelane_b32 v24, s2, 0
	v_writelane_b32 v24, s3, 1
	s_lshl_b64 s[2:3], s[6:7], 2
	s_waitcnt lgkmcnt(0)
	s_add_u32 s0, s0, s2
	s_addc_u32 s1, s1, s3
	s_load_dwordx2 s[0:1], s[0:1], 0x0
	s_waitcnt vmcnt(0)
	v_subrev_u32_e32 v4, s67, v0
	s_waitcnt lgkmcnt(0)
	s_sub_i32 s20, s1, s67
	v_add_u32_e32 v4, s0, v4
	v_cmp_gt_i32_e32 vcc, s20, v4
	s_and_saveexec_b64 s[6:7], vcc
	s_cbranch_execz .LBB37_40
; %bb.26:
	s_load_dwordx4 s[0:3], s[4:5], 0x60
	s_mov_b64 s[4:5], 0
	s_waitcnt lgkmcnt(0)
	v_mov_b32_e32 v8, s1
	v_mov_b32_e32 v9, s3
	s_movk_i32 s1, 0x89
	s_branch .LBB37_28
.LBB37_27:                              ;   in Loop: Header=BB37_28 Depth=1
	s_or_b64 exec, exec, s[8:9]
	v_add_u32_e32 v4, 0x400, v4
	v_cmp_le_i32_e32 vcc, s20, v4
	s_or_b64 s[4:5], vcc, s[4:5]
	s_andn2_b64 exec, exec, s[4:5]
	s_cbranch_execz .LBB37_40
.LBB37_28:                              ; =>This Loop Header: Depth=1
                                        ;     Child Loop BB37_30 Depth 2
	v_ashrrev_i32_e32 v5, 31, v4
	v_lshlrev_b64 v[6:7], 2, v[4:5]
	v_add_co_u32_e32 v6, vcc, s0, v6
	v_addc_co_u32_e32 v7, vcc, v8, v7, vcc
	global_load_dword v10, v[6:7], off
	v_lshlrev_b64 v[6:7], 3, v[4:5]
	v_add_co_u32_e32 v6, vcc, s2, v6
	v_addc_co_u32_e32 v7, vcc, v9, v7, vcc
	global_load_dwordx2 v[6:7], v[6:7], off
	s_mov_b64 s[8:9], 0
	s_waitcnt vmcnt(1)
	v_subrev_u32_e32 v5, s67, v10
	v_mul_lo_u32 v10, v5, s1
	v_and_b32_e32 v10, 0x1fff, v10
	s_waitcnt vmcnt(0)
	v_mul_f64 v[6:7], v[2:3], v[6:7]
	s_branch .LBB37_30
.LBB37_29:                              ;   in Loop: Header=BB37_30 Depth=2
	s_or_b64 exec, exec, s[10:11]
	s_xor_b64 s[10:11], s[12:13], -1
	s_and_b64 s[10:11], exec, s[10:11]
	s_or_b64 s[8:9], s[10:11], s[8:9]
	s_andn2_b64 exec, exec, s[8:9]
	s_cbranch_execz .LBB37_27
.LBB37_30:                              ;   Parent Loop BB37_28 Depth=1
                                        ; =>  This Inner Loop Header: Depth=2
	v_lshl_add_u32 v11, v10, 2, 0
	ds_read_b32 v12, v11
                                        ; implicit-def: $sgpr12_sgpr13
	s_waitcnt lgkmcnt(0)
	v_cmp_ne_u32_e32 vcc, v12, v5
	s_and_saveexec_b64 s[10:11], vcc
	s_xor_b64 s[10:11], exec, s[10:11]
	s_cbranch_execz .LBB37_38
; %bb.31:                               ;   in Loop: Header=BB37_30 Depth=2
	v_cmp_ne_u32_e32 vcc, s33, v12
                                        ; implicit-def: $sgpr12_sgpr13
	s_and_saveexec_b64 s[14:15], vcc
	s_xor_b64 s[14:15], exec, s[14:15]
; %bb.32:                               ;   in Loop: Header=BB37_30 Depth=2
	v_add_u32_e32 v10, 1, v10
	v_and_b32_e32 v10, 0x1fff, v10
	s_mov_b64 s[12:13], -1
                                        ; implicit-def: $vgpr11
; %bb.33:                               ;   in Loop: Header=BB37_30 Depth=2
	s_andn2_saveexec_b64 s[14:15], s[14:15]
	s_cbranch_execz .LBB37_37
; %bb.34:                               ;   in Loop: Header=BB37_30 Depth=2
	v_mov_b32_e32 v12, s33
	ds_cmpst_rtn_b32 v12, v11, v12, v5
	s_mov_b64 s[16:17], -1
	s_waitcnt lgkmcnt(0)
	v_cmp_eq_u32_e32 vcc, s33, v12
	s_and_saveexec_b64 s[18:19], vcc
	s_cbranch_execz .LBB37_36
; %bb.35:                               ;   in Loop: Header=BB37_30 Depth=2
	v_lshl_add_u32 v11, v10, 2, v11
	ds_add_f64 v11, v[6:7] offset:32768
	s_xor_b64 s[16:17], exec, -1
.LBB37_36:                              ;   in Loop: Header=BB37_30 Depth=2
	s_or_b64 exec, exec, s[18:19]
	s_andn2_b64 s[12:13], s[12:13], exec
	s_and_b64 s[16:17], s[16:17], exec
	s_or_b64 s[12:13], s[12:13], s[16:17]
.LBB37_37:                              ;   in Loop: Header=BB37_30 Depth=2
	s_or_b64 exec, exec, s[14:15]
	s_and_b64 s[12:13], s[12:13], exec
                                        ; implicit-def: $vgpr11
.LBB37_38:                              ;   in Loop: Header=BB37_30 Depth=2
	s_andn2_saveexec_b64 s[10:11], s[10:11]
	s_cbranch_execz .LBB37_29
; %bb.39:                               ;   in Loop: Header=BB37_30 Depth=2
	v_lshl_add_u32 v11, v10, 2, v11
	ds_add_f64 v11, v[6:7] offset:32768
	s_andn2_b64 s[12:13], s[12:13], exec
	s_branch .LBB37_29
.LBB37_40:
	s_or_b64 exec, exec, s[6:7]
.LBB37_41:
	v_writelane_b32 v24, s24, 6
	v_writelane_b32 v24, s25, 7
	s_add_i32 s0, 0, 0x18000
	v_writelane_b32 v24, s0, 8
	s_add_i32 s60, 0, 0x18004
	v_writelane_b32 v24, s60, 9
	s_add_i32 s60, 0, 0x18008
	v_writelane_b32 v24, s60, 10
	s_add_i32 s60, 0, 0x1800c
	v_writelane_b32 v24, s60, 11
	s_add_i32 s60, 0, 0x18010
	v_writelane_b32 v24, s60, 12
	s_add_i32 s60, 0, 0x18014
	s_waitcnt vmcnt(0)
	v_lshrrev_b32_e32 v4, 3, v0
	v_writelane_b32 v24, s60, 13
	s_add_i32 s60, 0, 0x18018
	v_mbcnt_lo_u32_b32 v2, -1, 0
	v_and_b32_e32 v4, 0x7c, v4
	v_writelane_b32 v24, s60, 14
	s_add_i32 s60, 0, 0x1801c
	v_mbcnt_hi_u32_b32 v2, -1, v2
	v_add_u32_e32 v7, s0, v4
	s_movk_i32 s0, 0x3ff
	v_writelane_b32 v24, s60, 15
	s_add_i32 s60, 0, 0x18020
	v_sub_u32_e32 v2, 63, v2
	v_cmp_eq_u32_e32 vcc, s0, v0
	s_movk_i32 s0, 0x5f
	s_movk_i32 s2, 0x7f
	;; [unrolled: 1-line block ×29, first 2 shown]
	v_lshl_add_u32 v4, v0, 3, 0
	v_writelane_b32 v24, s60, 16
	s_add_i32 s60, 0, 0x18024
	v_mov_b32_e32 v6, 0
	v_lshrrev_b64 v[2:3], v2, -1
	v_cmp_lt_u32_e64 s[0:1], s0, v0
	v_cmp_lt_u32_e64 s[2:3], s2, v0
	;; [unrolled: 1-line block ×29, first 2 shown]
	v_add_u32_e32 v8, 0x8000, v4
	v_or_b32_e32 v9, 0xfffffc00, v0
	v_writelane_b32 v24, s60, 17
	s_add_i32 s88, 0, 0x18028
	s_add_i32 s89, 0, 0x1802c
	;; [unrolled: 1-line block ×22, first 2 shown]
	s_movk_i32 s85, 0x1bff
	v_cmp_lt_u32_e64 s[60:61], 31, v0
	v_cmp_lt_u32_e64 s[62:63], 63, v0
	s_mov_b64 s[76:77], 0
	s_waitcnt lgkmcnt(0)
	s_barrier
	s_branch .LBB37_43
.LBB37_42:                              ;   in Loop: Header=BB37_43 Depth=1
	s_or_b64 exec, exec, s[64:65]
	v_mov_b32_e32 v4, s84
	s_waitcnt lgkmcnt(0)
	s_barrier
	ds_read_b32 v4, v4
	v_add_u32_e32 v9, 0x400, v9
	v_cmp_lt_u32_e64 s[64:65], s85, v9
	v_add_u32_e32 v8, 0x2000, v8
	s_or_b64 s[76:77], s[64:65], s[76:77]
	s_waitcnt lgkmcnt(0)
	v_add_u32_e32 v6, v4, v6
	v_add_u32_e32 v1, 0x1000, v1
	s_andn2_b64 exec, exec, s[76:77]
	s_cbranch_execz .LBB37_109
.LBB37_43:                              ; =>This Inner Loop Header: Depth=1
	ds_read_b32 v10, v1
	ds_read_b64 v[4:5], v8
	s_waitcnt lgkmcnt(0)
	s_barrier
	v_cmp_gt_i32_e64 s[64:65], s33, v10
	v_and_b32_e32 v12, s64, v2
	s_bcnt1_i32_b64 s78, s[64:65]
	v_and_b32_e32 v11, s65, v3
	v_bcnt_u32_b32 v12, v12, 0
	v_bcnt_u32_b32 v11, v11, v12
	v_mov_b32_e32 v12, s78
	ds_write_b32 v7, v12
	s_waitcnt lgkmcnt(0)
	s_barrier
	s_and_saveexec_b64 s[78:79], s[60:61]
	s_cbranch_execnz .LBB37_76
; %bb.44:                               ;   in Loop: Header=BB37_43 Depth=1
	s_or_b64 exec, exec, s[78:79]
	s_and_saveexec_b64 s[78:79], s[62:63]
	s_cbranch_execnz .LBB37_77
.LBB37_45:                              ;   in Loop: Header=BB37_43 Depth=1
	s_or_b64 exec, exec, s[78:79]
	s_and_saveexec_b64 s[78:79], s[0:1]
	s_cbranch_execnz .LBB37_78
.LBB37_46:                              ;   in Loop: Header=BB37_43 Depth=1
	s_or_b64 exec, exec, s[78:79]
	s_and_saveexec_b64 s[78:79], s[2:3]
	s_cbranch_execnz .LBB37_79
.LBB37_47:                              ;   in Loop: Header=BB37_43 Depth=1
	s_or_b64 exec, exec, s[78:79]
	s_and_saveexec_b64 s[78:79], s[4:5]
	s_cbranch_execnz .LBB37_80
.LBB37_48:                              ;   in Loop: Header=BB37_43 Depth=1
	s_or_b64 exec, exec, s[78:79]
	s_and_saveexec_b64 s[78:79], s[6:7]
	s_cbranch_execnz .LBB37_81
.LBB37_49:                              ;   in Loop: Header=BB37_43 Depth=1
	s_or_b64 exec, exec, s[78:79]
	s_and_saveexec_b64 s[78:79], s[8:9]
	s_cbranch_execnz .LBB37_82
.LBB37_50:                              ;   in Loop: Header=BB37_43 Depth=1
	s_or_b64 exec, exec, s[78:79]
	s_and_saveexec_b64 s[78:79], s[10:11]
	s_cbranch_execnz .LBB37_83
.LBB37_51:                              ;   in Loop: Header=BB37_43 Depth=1
	s_or_b64 exec, exec, s[78:79]
	s_and_saveexec_b64 s[78:79], s[12:13]
	s_cbranch_execnz .LBB37_84
.LBB37_52:                              ;   in Loop: Header=BB37_43 Depth=1
	s_or_b64 exec, exec, s[78:79]
	s_and_saveexec_b64 s[78:79], s[14:15]
	s_cbranch_execnz .LBB37_85
.LBB37_53:                              ;   in Loop: Header=BB37_43 Depth=1
	s_or_b64 exec, exec, s[78:79]
	s_and_saveexec_b64 s[78:79], s[16:17]
	s_cbranch_execnz .LBB37_86
.LBB37_54:                              ;   in Loop: Header=BB37_43 Depth=1
	s_or_b64 exec, exec, s[78:79]
	s_and_saveexec_b64 s[78:79], s[18:19]
	s_cbranch_execnz .LBB37_87
.LBB37_55:                              ;   in Loop: Header=BB37_43 Depth=1
	s_or_b64 exec, exec, s[78:79]
	s_and_saveexec_b64 s[78:79], s[20:21]
	s_cbranch_execnz .LBB37_88
.LBB37_56:                              ;   in Loop: Header=BB37_43 Depth=1
	s_or_b64 exec, exec, s[78:79]
	s_and_saveexec_b64 s[78:79], s[22:23]
	s_cbranch_execnz .LBB37_89
.LBB37_57:                              ;   in Loop: Header=BB37_43 Depth=1
	s_or_b64 exec, exec, s[78:79]
	s_and_saveexec_b64 s[78:79], s[24:25]
	s_cbranch_execnz .LBB37_90
.LBB37_58:                              ;   in Loop: Header=BB37_43 Depth=1
	s_or_b64 exec, exec, s[78:79]
	s_and_saveexec_b64 s[78:79], s[26:27]
	s_cbranch_execnz .LBB37_91
.LBB37_59:                              ;   in Loop: Header=BB37_43 Depth=1
	s_or_b64 exec, exec, s[78:79]
	s_and_saveexec_b64 s[78:79], s[28:29]
	s_cbranch_execnz .LBB37_92
.LBB37_60:                              ;   in Loop: Header=BB37_43 Depth=1
	s_or_b64 exec, exec, s[78:79]
	s_and_saveexec_b64 s[78:79], s[30:31]
	s_cbranch_execnz .LBB37_93
.LBB37_61:                              ;   in Loop: Header=BB37_43 Depth=1
	s_or_b64 exec, exec, s[78:79]
	s_and_saveexec_b64 s[78:79], s[34:35]
	s_cbranch_execnz .LBB37_94
.LBB37_62:                              ;   in Loop: Header=BB37_43 Depth=1
	s_or_b64 exec, exec, s[78:79]
	s_and_saveexec_b64 s[78:79], s[36:37]
	s_cbranch_execnz .LBB37_95
.LBB37_63:                              ;   in Loop: Header=BB37_43 Depth=1
	s_or_b64 exec, exec, s[78:79]
	s_and_saveexec_b64 s[78:79], s[38:39]
	s_cbranch_execnz .LBB37_96
.LBB37_64:                              ;   in Loop: Header=BB37_43 Depth=1
	s_or_b64 exec, exec, s[78:79]
	s_and_saveexec_b64 s[78:79], s[40:41]
	s_cbranch_execnz .LBB37_97
.LBB37_65:                              ;   in Loop: Header=BB37_43 Depth=1
	s_or_b64 exec, exec, s[78:79]
	s_and_saveexec_b64 s[78:79], s[42:43]
	s_cbranch_execnz .LBB37_98
.LBB37_66:                              ;   in Loop: Header=BB37_43 Depth=1
	s_or_b64 exec, exec, s[78:79]
	s_and_saveexec_b64 s[78:79], s[44:45]
	s_cbranch_execnz .LBB37_99
.LBB37_67:                              ;   in Loop: Header=BB37_43 Depth=1
	s_or_b64 exec, exec, s[78:79]
	s_and_saveexec_b64 s[78:79], s[46:47]
	s_cbranch_execnz .LBB37_100
.LBB37_68:                              ;   in Loop: Header=BB37_43 Depth=1
	s_or_b64 exec, exec, s[78:79]
	s_and_saveexec_b64 s[78:79], s[48:49]
	s_cbranch_execnz .LBB37_101
.LBB37_69:                              ;   in Loop: Header=BB37_43 Depth=1
	s_or_b64 exec, exec, s[78:79]
	s_and_saveexec_b64 s[78:79], s[50:51]
	s_cbranch_execnz .LBB37_102
.LBB37_70:                              ;   in Loop: Header=BB37_43 Depth=1
	s_or_b64 exec, exec, s[78:79]
	s_and_saveexec_b64 s[78:79], s[52:53]
	s_cbranch_execnz .LBB37_103
.LBB37_71:                              ;   in Loop: Header=BB37_43 Depth=1
	s_or_b64 exec, exec, s[78:79]
	s_and_saveexec_b64 s[78:79], s[54:55]
	s_cbranch_execnz .LBB37_104
.LBB37_72:                              ;   in Loop: Header=BB37_43 Depth=1
	s_or_b64 exec, exec, s[78:79]
	s_and_saveexec_b64 s[78:79], s[56:57]
	s_cbranch_execnz .LBB37_105
.LBB37_73:                              ;   in Loop: Header=BB37_43 Depth=1
	s_or_b64 exec, exec, s[78:79]
	s_and_saveexec_b64 s[78:79], s[58:59]
	s_cbranch_execnz .LBB37_106
.LBB37_74:                              ;   in Loop: Header=BB37_43 Depth=1
	s_or_b64 exec, exec, s[78:79]
	s_and_saveexec_b64 s[78:79], s[64:65]
	s_cbranch_execnz .LBB37_107
.LBB37_75:                              ;   in Loop: Header=BB37_43 Depth=1
	s_or_b64 exec, exec, s[78:79]
	s_and_saveexec_b64 s[64:65], vcc
	s_cbranch_execz .LBB37_42
	s_branch .LBB37_108
.LBB37_76:                              ;   in Loop: Header=BB37_43 Depth=1
	v_readlane_b32 s86, v24, 8
	v_mov_b32_e32 v12, s86
	ds_read_b32 v12, v12
	s_waitcnt lgkmcnt(0)
	v_add_u32_e32 v11, v12, v11
	s_or_b64 exec, exec, s[78:79]
	s_and_saveexec_b64 s[78:79], s[62:63]
	s_cbranch_execz .LBB37_45
.LBB37_77:                              ;   in Loop: Header=BB37_43 Depth=1
	v_readlane_b32 s86, v24, 9
	v_mov_b32_e32 v12, s86
	ds_read_b32 v12, v12
	s_waitcnt lgkmcnt(0)
	v_add_u32_e32 v11, v12, v11
	s_or_b64 exec, exec, s[78:79]
	s_and_saveexec_b64 s[78:79], s[0:1]
	s_cbranch_execz .LBB37_46
.LBB37_78:                              ;   in Loop: Header=BB37_43 Depth=1
	v_readlane_b32 s86, v24, 10
	v_mov_b32_e32 v12, s86
	ds_read_b32 v12, v12
	s_waitcnt lgkmcnt(0)
	v_add_u32_e32 v11, v12, v11
	s_or_b64 exec, exec, s[78:79]
	s_and_saveexec_b64 s[78:79], s[2:3]
	s_cbranch_execz .LBB37_47
.LBB37_79:                              ;   in Loop: Header=BB37_43 Depth=1
	v_readlane_b32 s86, v24, 11
	v_mov_b32_e32 v12, s86
	ds_read_b32 v12, v12
	s_waitcnt lgkmcnt(0)
	v_add_u32_e32 v11, v12, v11
	s_or_b64 exec, exec, s[78:79]
	s_and_saveexec_b64 s[78:79], s[4:5]
	s_cbranch_execz .LBB37_48
.LBB37_80:                              ;   in Loop: Header=BB37_43 Depth=1
	v_readlane_b32 s86, v24, 12
	v_mov_b32_e32 v12, s86
	ds_read_b32 v12, v12
	s_waitcnt lgkmcnt(0)
	v_add_u32_e32 v11, v12, v11
	s_or_b64 exec, exec, s[78:79]
	s_and_saveexec_b64 s[78:79], s[6:7]
	s_cbranch_execz .LBB37_49
.LBB37_81:                              ;   in Loop: Header=BB37_43 Depth=1
	v_readlane_b32 s86, v24, 13
	v_mov_b32_e32 v12, s86
	ds_read_b32 v12, v12
	s_waitcnt lgkmcnt(0)
	v_add_u32_e32 v11, v12, v11
	s_or_b64 exec, exec, s[78:79]
	s_and_saveexec_b64 s[78:79], s[8:9]
	s_cbranch_execz .LBB37_50
.LBB37_82:                              ;   in Loop: Header=BB37_43 Depth=1
	v_readlane_b32 s86, v24, 14
	v_mov_b32_e32 v12, s86
	ds_read_b32 v12, v12
	s_waitcnt lgkmcnt(0)
	v_add_u32_e32 v11, v12, v11
	s_or_b64 exec, exec, s[78:79]
	s_and_saveexec_b64 s[78:79], s[10:11]
	s_cbranch_execz .LBB37_51
.LBB37_83:                              ;   in Loop: Header=BB37_43 Depth=1
	v_readlane_b32 s86, v24, 15
	v_mov_b32_e32 v12, s86
	ds_read_b32 v12, v12
	s_waitcnt lgkmcnt(0)
	v_add_u32_e32 v11, v12, v11
	s_or_b64 exec, exec, s[78:79]
	s_and_saveexec_b64 s[78:79], s[12:13]
	s_cbranch_execz .LBB37_52
.LBB37_84:                              ;   in Loop: Header=BB37_43 Depth=1
	v_readlane_b32 s86, v24, 16
	v_mov_b32_e32 v12, s86
	ds_read_b32 v12, v12
	s_waitcnt lgkmcnt(0)
	v_add_u32_e32 v11, v12, v11
	s_or_b64 exec, exec, s[78:79]
	s_and_saveexec_b64 s[78:79], s[14:15]
	s_cbranch_execz .LBB37_53
.LBB37_85:                              ;   in Loop: Header=BB37_43 Depth=1
	v_readlane_b32 s86, v24, 17
	v_mov_b32_e32 v12, s86
	ds_read_b32 v12, v12
	s_waitcnt lgkmcnt(0)
	v_add_u32_e32 v11, v12, v11
	s_or_b64 exec, exec, s[78:79]
	s_and_saveexec_b64 s[78:79], s[16:17]
	s_cbranch_execz .LBB37_54
.LBB37_86:                              ;   in Loop: Header=BB37_43 Depth=1
	v_mov_b32_e32 v12, s88
	ds_read_b32 v12, v12
	s_waitcnt lgkmcnt(0)
	v_add_u32_e32 v11, v12, v11
	s_or_b64 exec, exec, s[78:79]
	s_and_saveexec_b64 s[78:79], s[18:19]
	s_cbranch_execz .LBB37_55
.LBB37_87:                              ;   in Loop: Header=BB37_43 Depth=1
	v_mov_b32_e32 v12, s89
	ds_read_b32 v12, v12
	s_waitcnt lgkmcnt(0)
	v_add_u32_e32 v11, v12, v11
	s_or_b64 exec, exec, s[78:79]
	s_and_saveexec_b64 s[78:79], s[20:21]
	s_cbranch_execz .LBB37_56
.LBB37_88:                              ;   in Loop: Header=BB37_43 Depth=1
	v_mov_b32_e32 v12, s90
	ds_read_b32 v12, v12
	s_waitcnt lgkmcnt(0)
	v_add_u32_e32 v11, v12, v11
	s_or_b64 exec, exec, s[78:79]
	s_and_saveexec_b64 s[78:79], s[22:23]
	s_cbranch_execz .LBB37_57
.LBB37_89:                              ;   in Loop: Header=BB37_43 Depth=1
	v_mov_b32_e32 v12, s91
	ds_read_b32 v12, v12
	s_waitcnt lgkmcnt(0)
	v_add_u32_e32 v11, v12, v11
	s_or_b64 exec, exec, s[78:79]
	s_and_saveexec_b64 s[78:79], s[24:25]
	s_cbranch_execz .LBB37_58
.LBB37_90:                              ;   in Loop: Header=BB37_43 Depth=1
	v_mov_b32_e32 v12, s92
	ds_read_b32 v12, v12
	s_waitcnt lgkmcnt(0)
	v_add_u32_e32 v11, v12, v11
	s_or_b64 exec, exec, s[78:79]
	s_and_saveexec_b64 s[78:79], s[26:27]
	s_cbranch_execz .LBB37_59
.LBB37_91:                              ;   in Loop: Header=BB37_43 Depth=1
	v_mov_b32_e32 v12, s93
	ds_read_b32 v12, v12
	s_waitcnt lgkmcnt(0)
	v_add_u32_e32 v11, v12, v11
	s_or_b64 exec, exec, s[78:79]
	s_and_saveexec_b64 s[78:79], s[28:29]
	s_cbranch_execz .LBB37_60
.LBB37_92:                              ;   in Loop: Header=BB37_43 Depth=1
	v_mov_b32_e32 v12, s94
	ds_read_b32 v12, v12
	s_waitcnt lgkmcnt(0)
	v_add_u32_e32 v11, v12, v11
	s_or_b64 exec, exec, s[78:79]
	s_and_saveexec_b64 s[78:79], s[30:31]
	s_cbranch_execz .LBB37_61
.LBB37_93:                              ;   in Loop: Header=BB37_43 Depth=1
	v_mov_b32_e32 v12, s95
	ds_read_b32 v12, v12
	s_waitcnt lgkmcnt(0)
	v_add_u32_e32 v11, v12, v11
	s_or_b64 exec, exec, s[78:79]
	s_and_saveexec_b64 s[78:79], s[34:35]
	s_cbranch_execz .LBB37_62
.LBB37_94:                              ;   in Loop: Header=BB37_43 Depth=1
	v_mov_b32_e32 v12, s74
	ds_read_b32 v12, v12
	s_waitcnt lgkmcnt(0)
	v_add_u32_e32 v11, v12, v11
	s_or_b64 exec, exec, s[78:79]
	s_and_saveexec_b64 s[78:79], s[36:37]
	s_cbranch_execz .LBB37_63
.LBB37_95:                              ;   in Loop: Header=BB37_43 Depth=1
	v_mov_b32_e32 v12, s72
	ds_read_b32 v12, v12
	s_waitcnt lgkmcnt(0)
	v_add_u32_e32 v11, v12, v11
	s_or_b64 exec, exec, s[78:79]
	s_and_saveexec_b64 s[78:79], s[38:39]
	s_cbranch_execz .LBB37_64
.LBB37_96:                              ;   in Loop: Header=BB37_43 Depth=1
	v_mov_b32_e32 v12, s73
	ds_read_b32 v12, v12
	s_waitcnt lgkmcnt(0)
	v_add_u32_e32 v11, v12, v11
	s_or_b64 exec, exec, s[78:79]
	s_and_saveexec_b64 s[78:79], s[40:41]
	s_cbranch_execz .LBB37_65
.LBB37_97:                              ;   in Loop: Header=BB37_43 Depth=1
	v_mov_b32_e32 v12, s68
	ds_read_b32 v12, v12
	s_waitcnt lgkmcnt(0)
	v_add_u32_e32 v11, v12, v11
	s_or_b64 exec, exec, s[78:79]
	s_and_saveexec_b64 s[78:79], s[42:43]
	s_cbranch_execz .LBB37_66
.LBB37_98:                              ;   in Loop: Header=BB37_43 Depth=1
	v_mov_b32_e32 v12, s69
	ds_read_b32 v12, v12
	s_waitcnt lgkmcnt(0)
	v_add_u32_e32 v11, v12, v11
	s_or_b64 exec, exec, s[78:79]
	s_and_saveexec_b64 s[78:79], s[44:45]
	s_cbranch_execz .LBB37_67
.LBB37_99:                              ;   in Loop: Header=BB37_43 Depth=1
	v_mov_b32_e32 v12, s70
	ds_read_b32 v12, v12
	s_waitcnt lgkmcnt(0)
	v_add_u32_e32 v11, v12, v11
	s_or_b64 exec, exec, s[78:79]
	s_and_saveexec_b64 s[78:79], s[46:47]
	s_cbranch_execz .LBB37_68
.LBB37_100:                             ;   in Loop: Header=BB37_43 Depth=1
	v_mov_b32_e32 v12, s71
	ds_read_b32 v12, v12
	s_waitcnt lgkmcnt(0)
	v_add_u32_e32 v11, v12, v11
	s_or_b64 exec, exec, s[78:79]
	s_and_saveexec_b64 s[78:79], s[48:49]
	s_cbranch_execz .LBB37_69
.LBB37_101:                             ;   in Loop: Header=BB37_43 Depth=1
	v_mov_b32_e32 v12, s67
	ds_read_b32 v12, v12
	s_waitcnt lgkmcnt(0)
	v_add_u32_e32 v11, v12, v11
	s_or_b64 exec, exec, s[78:79]
	s_and_saveexec_b64 s[78:79], s[50:51]
	s_cbranch_execz .LBB37_70
.LBB37_102:                             ;   in Loop: Header=BB37_43 Depth=1
	v_mov_b32_e32 v12, s75
	ds_read_b32 v12, v12
	s_waitcnt lgkmcnt(0)
	v_add_u32_e32 v11, v12, v11
	s_or_b64 exec, exec, s[78:79]
	s_and_saveexec_b64 s[78:79], s[52:53]
	s_cbranch_execz .LBB37_71
.LBB37_103:                             ;   in Loop: Header=BB37_43 Depth=1
	v_mov_b32_e32 v12, s80
	ds_read_b32 v12, v12
	s_waitcnt lgkmcnt(0)
	v_add_u32_e32 v11, v12, v11
	s_or_b64 exec, exec, s[78:79]
	s_and_saveexec_b64 s[78:79], s[54:55]
	s_cbranch_execz .LBB37_72
.LBB37_104:                             ;   in Loop: Header=BB37_43 Depth=1
	v_mov_b32_e32 v12, s81
	ds_read_b32 v12, v12
	s_waitcnt lgkmcnt(0)
	v_add_u32_e32 v11, v12, v11
	s_or_b64 exec, exec, s[78:79]
	s_and_saveexec_b64 s[78:79], s[56:57]
	s_cbranch_execz .LBB37_73
.LBB37_105:                             ;   in Loop: Header=BB37_43 Depth=1
	v_mov_b32_e32 v12, s82
	ds_read_b32 v12, v12
	s_waitcnt lgkmcnt(0)
	v_add_u32_e32 v11, v12, v11
	s_or_b64 exec, exec, s[78:79]
	s_and_saveexec_b64 s[78:79], s[58:59]
	s_cbranch_execz .LBB37_74
.LBB37_106:                             ;   in Loop: Header=BB37_43 Depth=1
	v_mov_b32_e32 v12, s83
	ds_read_b32 v12, v12
	s_waitcnt lgkmcnt(0)
	v_add_u32_e32 v11, v12, v11
	s_or_b64 exec, exec, s[78:79]
	s_and_saveexec_b64 s[78:79], s[64:65]
	s_cbranch_execz .LBB37_75
.LBB37_107:                             ;   in Loop: Header=BB37_43 Depth=1
	v_add3_u32 v12, v6, -1, v11
	v_lshl_add_u32 v13, v12, 2, 0
	v_lshl_add_u32 v12, v12, 3, 0
	ds_write_b32 v13, v10
	ds_write_b64 v12, v[4:5] offset:32768
	s_or_b64 exec, exec, s[78:79]
	s_and_saveexec_b64 s[64:65], vcc
	s_cbranch_execz .LBB37_42
.LBB37_108:                             ;   in Loop: Header=BB37_43 Depth=1
	v_mov_b32_e32 v4, s84
	ds_write_b32 v4, v11
	s_branch .LBB37_42
.LBB37_109:
	s_or_b64 exec, exec, s[76:77]
	v_readlane_b32 s0, v24, 0
	v_readlane_b32 s1, v24, 1
	s_ashr_i32 s1, s0, 31
	s_lshl_b64 s[0:1], s[0:1], 2
	v_readlane_b32 s4, v24, 2
	v_readlane_b32 s5, v24, 3
	s_add_u32 s0, s4, s0
	s_addc_u32 s1, s5, s1
	s_load_dwordx2 s[0:1], s[0:1], 0x0
	v_readlane_b32 s6, v24, 4
	v_readlane_b32 s7, v24, 5
	s_waitcnt lgkmcnt(0)
	s_sub_i32 s14, s1, s0
	v_cmp_gt_i32_e32 vcc, s14, v0
	s_and_saveexec_b64 s[2:3], vcc
	v_readlane_b32 s22, v24, 6
	v_readlane_b32 s23, v24, 7
	s_cbranch_execz .LBB37_124
; %bb.110:
	s_sub_i32 s6, s0, s66
	s_add_i32 s0, s14, -2
	s_lshr_b32 s1, s0, 1
	s_add_i32 s2, s1, 1
	s_cmp_gt_u32 s14, 1
	s_cselect_b64 s[8:9], -1, 0
	s_and_b32 s15, s14, -2
	s_and_b32 s4, s2, 7
	s_cmp_gt_u32 s0, 13
	s_cselect_b64 s[0:1], -1, 0
	s_and_b32 s16, s2, -8
	s_cmp_lg_u32 s4, 0
	s_cselect_b64 s[2:3], -1, 0
	v_cndmask_b32_e64 v1, 0, 1, s[0:1]
	v_readlane_b32 s24, v24, 2
	s_cmp_lg_u32 s14, s15
	v_cmp_ne_u32_e64 s[0:1], 1, v1
	v_cndmask_b32_e64 v1, 0, 1, s[2:3]
	v_readlane_b32 s27, v24, 5
	s_mov_b32 s7, 0
	s_cselect_b64 s[10:11], -1, 0
	s_lshl_b32 s17, s4, 3
	s_mov_b64 s[12:13], 0
	v_cmp_ne_u32_e64 s[2:3], 1, v1
	v_mov_b32_e32 v1, s27
	v_mov_b32_e32 v6, s23
	v_readlane_b32 s25, v24, 3
	v_readlane_b32 s26, v24, 4
	s_branch .LBB37_112
.LBB37_111:                             ;   in Loop: Header=BB37_112 Depth=1
	v_ashrrev_i32_e32 v5, 31, v4
	v_readlane_b32 s24, v24, 2
	v_lshlrev_b64 v[8:9], 2, v[4:5]
	v_readlane_b32 s26, v24, 4
	v_add_co_u32_e32 v8, vcc, s26, v8
	v_addc_co_u32_e32 v9, vcc, v1, v9, vcc
	v_lshlrev_b64 v[4:5], 3, v[4:5]
	v_add_co_u32_e32 v4, vcc, s22, v4
	v_addc_co_u32_e32 v5, vcc, v6, v5, vcc
	v_add_u32_e32 v0, 0x400, v0
	v_cmp_le_i32_e32 vcc, s14, v0
	s_waitcnt lgkmcnt(1)
	v_add_u32_e32 v7, s66, v7
	s_or_b64 s[12:13], vcc, s[12:13]
	v_readlane_b32 s25, v24, 3
	v_readlane_b32 s27, v24, 5
	global_store_dword v[8:9], v7, off
	s_waitcnt lgkmcnt(0)
	global_store_dwordx2 v[4:5], v[2:3], off
	s_andn2_b64 exec, exec, s[12:13]
	s_cbranch_execz .LBB37_124
.LBB37_112:                             ; =>This Loop Header: Depth=1
                                        ;     Child Loop BB37_115 Depth 2
                                        ;     Child Loop BB37_120 Depth 2
	;; [unrolled: 1-line block ×3, first 2 shown]
	v_lshlrev_b32_e32 v2, 2, v0
	v_add_u32_e32 v3, 0, v2
	v_add_u32_e32 v2, v3, v2
	ds_read_b32 v7, v3
	ds_read_b64 v[2:3], v2 offset:32768
	s_and_b64 vcc, exec, s[8:9]
	s_cbranch_vccz .LBB37_117
; %bb.113:                              ;   in Loop: Header=BB37_112 Depth=1
	s_and_b64 vcc, exec, s[0:1]
	s_cbranch_vccnz .LBB37_118
; %bb.114:                              ;   in Loop: Header=BB37_112 Depth=1
	s_mov_b32 s19, 0
	v_mov_b32_e32 v4, s6
	v_mov_b32_e32 v5, 0
	s_mov_b32 s20, s16
	s_mov_b32 s18, 0
.LBB37_115:                             ;   Parent Loop BB37_112 Depth=1
                                        ; =>  This Inner Loop Header: Depth=2
	v_mov_b32_e32 v22, s19
	ds_read2_b32 v[8:9], v22 offset1:1
	ds_read2_b32 v[10:11], v22 offset0:2 offset1:3
	ds_read2_b32 v[12:13], v22 offset0:4 offset1:5
	;; [unrolled: 1-line block ×7, first 2 shown]
	s_waitcnt lgkmcnt(7)
	v_cmp_gt_i32_e32 vcc, v7, v9
	v_cndmask_b32_e64 v9, 0, 1, vcc
	v_cmp_gt_i32_e32 vcc, v7, v8
	s_waitcnt lgkmcnt(5)
	v_cmp_gt_i32_e64 s[4:5], v7, v12
	v_cndmask_b32_e64 v8, 0, 1, vcc
	v_cmp_gt_i32_e32 vcc, v7, v11
	v_cndmask_b32_e64 v11, 0, 1, s[4:5]
	v_cmp_gt_i32_e64 s[4:5], v7, v13
	v_cndmask_b32_e64 v12, 0, 1, s[4:5]
	s_waitcnt lgkmcnt(3)
	v_cmp_gt_i32_e64 s[4:5], v7, v17
	v_cndmask_b32_e64 v13, 0, 1, s[4:5]
	v_cmp_gt_i32_e64 s[4:5], v7, v16
	v_cndmask_b32_e64 v16, 0, 1, s[4:5]
	s_waitcnt lgkmcnt(1)
	v_cmp_gt_i32_e64 s[4:5], v7, v20
	v_cndmask_b32_e64 v17, 0, 1, s[4:5]
	v_cmp_gt_i32_e64 s[4:5], v7, v21
	v_cndmask_b32_e64 v20, 0, 1, s[4:5]
	v_cmp_gt_i32_e64 s[4:5], v7, v10
	v_addc_co_u32_e64 v4, s[4:5], v4, v8, s[4:5]
	v_addc_co_u32_e32 v5, vcc, v5, v9, vcc
	v_cmp_gt_i32_e32 vcc, v7, v14
	v_cmp_gt_i32_e64 s[4:5], v7, v15
	v_addc_co_u32_e64 v5, s[4:5], v5, v12, s[4:5]
	v_addc_co_u32_e32 v4, vcc, v4, v11, vcc
	v_cmp_gt_i32_e32 vcc, v7, v19
	v_cmp_gt_i32_e64 s[4:5], v7, v18
	v_addc_co_u32_e64 v4, s[4:5], v4, v16, s[4:5]
	v_addc_co_u32_e32 v5, vcc, v5, v13, vcc
	s_add_i32 s18, s18, 16
	s_add_i32 s19, s19, 64
	s_add_i32 s20, s20, -8
	s_waitcnt lgkmcnt(0)
	v_cmp_gt_i32_e32 vcc, v7, v22
	v_cmp_gt_i32_e64 s[4:5], v7, v23
	s_cmp_lg_u32 s20, 0
	v_addc_co_u32_e64 v5, s[4:5], v5, v20, s[4:5]
	v_addc_co_u32_e32 v4, vcc, v4, v17, vcc
	s_cbranch_scc1 .LBB37_115
; %bb.116:                              ;   in Loop: Header=BB37_112 Depth=1
	s_and_b64 vcc, exec, s[2:3]
	s_cbranch_vccz .LBB37_119
	s_branch .LBB37_121
.LBB37_117:                             ;   in Loop: Header=BB37_112 Depth=1
	v_mov_b32_e32 v4, s6
	s_mov_b32 s18, 0
	s_cbranch_execz .LBB37_111
	s_branch .LBB37_122
.LBB37_118:                             ;   in Loop: Header=BB37_112 Depth=1
	v_pk_mov_b32 v[4:5], s[6:7], s[6:7] op_sel:[0,1]
	s_mov_b32 s18, 0
	s_and_b64 vcc, exec, s[2:3]
	s_cbranch_vccnz .LBB37_121
.LBB37_119:                             ;   in Loop: Header=BB37_112 Depth=1
	s_lshl_b32 s4, s18, 2
	s_add_i32 s4, s4, 0
	s_mov_b32 s5, s17
.LBB37_120:                             ;   Parent Loop BB37_112 Depth=1
                                        ; =>  This Inner Loop Header: Depth=2
	v_mov_b32_e32 v8, s4
	ds_read2_b32 v[8:9], v8 offset1:1
	s_add_i32 s4, s4, 8
	s_add_i32 s5, s5, -8
	s_cmp_lg_u32 s5, 0
	s_waitcnt lgkmcnt(0)
	v_cmp_gt_i32_e32 vcc, v7, v9
	v_addc_co_u32_e32 v5, vcc, 0, v5, vcc
	v_cmp_gt_i32_e32 vcc, v7, v8
	v_addc_co_u32_e32 v4, vcc, 0, v4, vcc
	s_cbranch_scc1 .LBB37_120
.LBB37_121:                             ;   in Loop: Header=BB37_112 Depth=1
	v_add_u32_e32 v4, v4, v5
	s_mov_b32 s18, s15
	s_mov_b64 s[4:5], s[10:11]
	s_and_b64 vcc, exec, s[4:5]
	s_cbranch_vccz .LBB37_111
.LBB37_122:                             ;   in Loop: Header=BB37_112 Depth=1
	s_lshl_b32 s4, s18, 2
	s_add_i32 s4, s4, 0
.LBB37_123:                             ;   Parent Loop BB37_112 Depth=1
                                        ; =>  This Inner Loop Header: Depth=2
	v_mov_b32_e32 v5, s4
	ds_read_b32 v5, v5
	s_add_i32 s18, s18, 1
	s_add_i32 s4, s4, 4
	s_cmp_ge_i32 s18, s14
	s_waitcnt lgkmcnt(0)
	v_cmp_gt_i32_e32 vcc, v7, v5
	v_addc_co_u32_e32 v4, vcc, 0, v4, vcc
	s_cbranch_scc0 .LBB37_123
	s_branch .LBB37_111
.LBB37_124:
	s_endpgm
	.section	.rodata,"a",@progbits
	.p2align	6, 0x0
	.amdhsa_kernel _ZN9rocsparseL26csrgemm_fill_block_per_rowILj1024ELj64ELj8192ELj137ELj32EiidEEvT5_PKS1_S3_NS_24const_host_device_scalarIT6_EEPKT4_S3_PKS5_S9_S3_SB_S6_S9_S3_SB_S9_PS1_PS5_21rocsparse_index_base_SE_SE_SE_bbb
		.amdhsa_group_segment_fixed_size 0
		.amdhsa_private_segment_fixed_size 0
		.amdhsa_kernarg_size 156
		.amdhsa_user_sgpr_count 6
		.amdhsa_user_sgpr_private_segment_buffer 1
		.amdhsa_user_sgpr_dispatch_ptr 0
		.amdhsa_user_sgpr_queue_ptr 0
		.amdhsa_user_sgpr_kernarg_segment_ptr 1
		.amdhsa_user_sgpr_dispatch_id 0
		.amdhsa_user_sgpr_flat_scratch_init 0
		.amdhsa_user_sgpr_kernarg_preload_length 0
		.amdhsa_user_sgpr_kernarg_preload_offset 0
		.amdhsa_user_sgpr_private_segment_size 0
		.amdhsa_uses_dynamic_stack 0
		.amdhsa_system_sgpr_private_segment_wavefront_offset 0
		.amdhsa_system_sgpr_workgroup_id_x 1
		.amdhsa_system_sgpr_workgroup_id_y 0
		.amdhsa_system_sgpr_workgroup_id_z 0
		.amdhsa_system_sgpr_workgroup_info 0
		.amdhsa_system_vgpr_workitem_id 0
		.amdhsa_next_free_vgpr 25
		.amdhsa_next_free_sgpr 96
		.amdhsa_accum_offset 28
		.amdhsa_reserve_vcc 1
		.amdhsa_reserve_flat_scratch 0
		.amdhsa_float_round_mode_32 0
		.amdhsa_float_round_mode_16_64 0
		.amdhsa_float_denorm_mode_32 3
		.amdhsa_float_denorm_mode_16_64 3
		.amdhsa_dx10_clamp 1
		.amdhsa_ieee_mode 1
		.amdhsa_fp16_overflow 0
		.amdhsa_tg_split 0
		.amdhsa_exception_fp_ieee_invalid_op 0
		.amdhsa_exception_fp_denorm_src 0
		.amdhsa_exception_fp_ieee_div_zero 0
		.amdhsa_exception_fp_ieee_overflow 0
		.amdhsa_exception_fp_ieee_underflow 0
		.amdhsa_exception_fp_ieee_inexact 0
		.amdhsa_exception_int_div_zero 0
	.end_amdhsa_kernel
	.section	.text._ZN9rocsparseL26csrgemm_fill_block_per_rowILj1024ELj64ELj8192ELj137ELj32EiidEEvT5_PKS1_S3_NS_24const_host_device_scalarIT6_EEPKT4_S3_PKS5_S9_S3_SB_S6_S9_S3_SB_S9_PS1_PS5_21rocsparse_index_base_SE_SE_SE_bbb,"axG",@progbits,_ZN9rocsparseL26csrgemm_fill_block_per_rowILj1024ELj64ELj8192ELj137ELj32EiidEEvT5_PKS1_S3_NS_24const_host_device_scalarIT6_EEPKT4_S3_PKS5_S9_S3_SB_S6_S9_S3_SB_S9_PS1_PS5_21rocsparse_index_base_SE_SE_SE_bbb,comdat
.Lfunc_end37:
	.size	_ZN9rocsparseL26csrgemm_fill_block_per_rowILj1024ELj64ELj8192ELj137ELj32EiidEEvT5_PKS1_S3_NS_24const_host_device_scalarIT6_EEPKT4_S3_PKS5_S9_S3_SB_S6_S9_S3_SB_S9_PS1_PS5_21rocsparse_index_base_SE_SE_SE_bbb, .Lfunc_end37-_ZN9rocsparseL26csrgemm_fill_block_per_rowILj1024ELj64ELj8192ELj137ELj32EiidEEvT5_PKS1_S3_NS_24const_host_device_scalarIT6_EEPKT4_S3_PKS5_S9_S3_SB_S6_S9_S3_SB_S9_PS1_PS5_21rocsparse_index_base_SE_SE_SE_bbb
                                        ; -- End function
	.section	.AMDGPU.csdata,"",@progbits
; Kernel info:
; codeLenInByte = 5032
; NumSgprs: 100
; NumVgprs: 25
; NumAgprs: 0
; TotalNumVgprs: 25
; ScratchSize: 0
; MemoryBound: 0
; FloatMode: 240
; IeeeMode: 1
; LDSByteSize: 0 bytes/workgroup (compile time only)
; SGPRBlocks: 12
; VGPRBlocks: 3
; NumSGPRsForWavesPerEU: 100
; NumVGPRsForWavesPerEU: 25
; AccumOffset: 28
; Occupancy: 8
; WaveLimiterHint : 1
; COMPUTE_PGM_RSRC2:SCRATCH_EN: 0
; COMPUTE_PGM_RSRC2:USER_SGPR: 6
; COMPUTE_PGM_RSRC2:TRAP_HANDLER: 0
; COMPUTE_PGM_RSRC2:TGID_X_EN: 1
; COMPUTE_PGM_RSRC2:TGID_Y_EN: 0
; COMPUTE_PGM_RSRC2:TGID_Z_EN: 0
; COMPUTE_PGM_RSRC2:TIDIG_COMP_CNT: 0
; COMPUTE_PGM_RSRC3_GFX90A:ACCUM_OFFSET: 6
; COMPUTE_PGM_RSRC3_GFX90A:TG_SPLIT: 0
	.section	.text._ZN9rocsparseL26csrgemm_fill_block_per_rowILj1024ELj64ELj8192ELj137ELj64EiidEEvT5_PKS1_S3_NS_24const_host_device_scalarIT6_EEPKT4_S3_PKS5_S9_S3_SB_S6_S9_S3_SB_S9_PS1_PS5_21rocsparse_index_base_SE_SE_SE_bbb,"axG",@progbits,_ZN9rocsparseL26csrgemm_fill_block_per_rowILj1024ELj64ELj8192ELj137ELj64EiidEEvT5_PKS1_S3_NS_24const_host_device_scalarIT6_EEPKT4_S3_PKS5_S9_S3_SB_S6_S9_S3_SB_S9_PS1_PS5_21rocsparse_index_base_SE_SE_SE_bbb,comdat
	.globl	_ZN9rocsparseL26csrgemm_fill_block_per_rowILj1024ELj64ELj8192ELj137ELj64EiidEEvT5_PKS1_S3_NS_24const_host_device_scalarIT6_EEPKT4_S3_PKS5_S9_S3_SB_S6_S9_S3_SB_S9_PS1_PS5_21rocsparse_index_base_SE_SE_SE_bbb ; -- Begin function _ZN9rocsparseL26csrgemm_fill_block_per_rowILj1024ELj64ELj8192ELj137ELj64EiidEEvT5_PKS1_S3_NS_24const_host_device_scalarIT6_EEPKT4_S3_PKS5_S9_S3_SB_S6_S9_S3_SB_S9_PS1_PS5_21rocsparse_index_base_SE_SE_SE_bbb
	.p2align	8
	.type	_ZN9rocsparseL26csrgemm_fill_block_per_rowILj1024ELj64ELj8192ELj137ELj64EiidEEvT5_PKS1_S3_NS_24const_host_device_scalarIT6_EEPKT4_S3_PKS5_S9_S3_SB_S6_S9_S3_SB_S9_PS1_PS5_21rocsparse_index_base_SE_SE_SE_bbb,@function
_ZN9rocsparseL26csrgemm_fill_block_per_rowILj1024ELj64ELj8192ELj137ELj64EiidEEvT5_PKS1_S3_NS_24const_host_device_scalarIT6_EEPKT4_S3_PKS5_S9_S3_SB_S6_S9_S3_SB_S9_PS1_PS5_21rocsparse_index_base_SE_SE_SE_bbb: ; @_ZN9rocsparseL26csrgemm_fill_block_per_rowILj1024ELj64ELj8192ELj137ELj64EiidEEvT5_PKS1_S3_NS_24const_host_device_scalarIT6_EEPKT4_S3_PKS5_S9_S3_SB_S6_S9_S3_SB_S9_PS1_PS5_21rocsparse_index_base_SE_SE_SE_bbb
; %bb.0:
	s_load_dword s7, s[4:5], 0x98
	s_load_dwordx4 s[0:3], s[4:5], 0x8
	s_load_dwordx2 s[14:15], s[4:5], 0x18
	s_load_dwordx4 s[36:39], s[4:5], 0x88
	s_load_dwordx2 s[10:11], s[4:5], 0x50
	s_waitcnt lgkmcnt(0)
	s_and_b32 s8, 1, s7
	s_bitcmp1_b32 s7, 16
	s_cselect_b64 s[12:13], -1, 0
	s_cmp_eq_u32 s8, 1
	s_cselect_b64 s[8:9], -1, 0
	s_and_b64 s[16:17], s[8:9], exec
	s_cselect_b32 s17, s15, 0
	s_cselect_b32 s16, s14, 0
	s_xor_b64 s[18:19], s[8:9], -1
	s_or_b64 s[18:19], s[18:19], s[12:13]
	s_and_b64 vcc, exec, s[18:19]
	v_pk_mov_b32 v[4:5], s[16:17], s[16:17] op_sel:[0,1]
	s_cbranch_vccnz .LBB38_2
; %bb.1:
	v_pk_mov_b32 v[2:3], s[14:15], s[14:15] op_sel:[0,1]
	flat_load_dwordx2 v[4:5], v[2:3]
.LBB38_2:
	s_bitcmp1_b32 s7, 8
	s_cselect_b64 s[16:17], -1, 0
	s_and_b64 s[14:15], s[16:17], exec
	s_cselect_b32 s15, s11, 0
	s_cselect_b32 s14, s10, 0
	s_xor_b64 s[18:19], s[16:17], -1
	s_or_b64 s[12:13], s[18:19], s[12:13]
	s_and_b64 vcc, exec, s[12:13]
	v_pk_mov_b32 v[2:3], s[14:15], s[14:15] op_sel:[0,1]
	s_cbranch_vccnz .LBB38_4
; %bb.3:
	v_pk_mov_b32 v[2:3], s[10:11], s[10:11] op_sel:[0,1]
	flat_load_dwordx2 v[2:3], v[2:3]
.LBB38_4:
	s_load_dword s33, s[4:5], 0x0
	v_lshlrev_b32_e32 v6, 2, v0
	s_mov_b32 s10, 0
	v_add_u32_e32 v1, 0, v6
	s_mov_b32 s11, s10
	v_add_u32_e32 v8, v1, v6
	v_pk_mov_b32 v[6:7], s[10:11], s[10:11] op_sel:[0,1]
	s_waitcnt lgkmcnt(0)
	v_mov_b32_e32 v9, s33
	ds_write_b64 v8, v[6:7] offset:32768
	v_mov_b32_e32 v8, s33
	s_add_i32 s7, 0, 0x8000
	ds_write2st64_b32 v1, v9, v8 offset1:16
	v_lshl_add_u32 v8, v0, 3, s7
	v_mov_b32_e32 v10, s33
	ds_write2st64_b64 v8, v[6:7], v[6:7] offset0:16 offset1:32
	ds_write2st64_b32 v1, v9, v10 offset0:32 offset1:48
	ds_write2st64_b64 v8, v[6:7], v[6:7] offset0:48 offset1:64
	ds_write2st64_b32 v1, v9, v10 offset0:64 offset1:80
	;; [unrolled: 2-line block ×3, first 2 shown]
	ds_write_b64 v8, v[6:7] offset:57344
	s_waitcnt lgkmcnt(0)
	s_barrier
	s_load_dword s0, s[0:1], 0x0
	s_mov_b32 s1, s10
	v_lshrrev_b32_e32 v14, 6, v0
	s_waitcnt lgkmcnt(0)
	s_add_i32 s0, s0, s6
	s_lshl_b64 s[0:1], s[0:1], 2
	s_add_u32 s0, s2, s0
	s_addc_u32 s1, s3, s1
	s_load_dword s44, s[0:1], 0x0
	s_andn2_b64 vcc, exec, s[8:9]
	s_cbranch_vccnz .LBB38_24
; %bb.5:
	s_load_dwordx2 s[0:1], s[4:5], 0x20
	s_waitcnt lgkmcnt(0)
	s_ashr_i32 s45, s44, 31
	s_lshl_b64 s[2:3], s[44:45], 2
	v_subrev_u32_e32 v6, s36, v14
	s_add_u32 s0, s0, s2
	s_addc_u32 s1, s1, s3
	s_load_dwordx2 s[0:1], s[0:1], 0x0
	s_waitcnt lgkmcnt(0)
	s_sub_i32 s40, s1, s36
	v_add_u32_e32 v6, s0, v6
	v_cmp_gt_i32_e32 vcc, s40, v6
	s_and_saveexec_b64 s[0:1], vcc
	s_cbranch_execz .LBB38_23
; %bb.6:
	s_load_dwordx8 s[8:15], s[4:5], 0x28
	s_load_dwordx2 s[2:3], s[4:5], 0x48
	v_and_b32_e32 v7, 63, v0
	s_mov_b64 s[6:7], 0
	v_subrev_u32_e32 v15, s37, v7
	s_waitcnt lgkmcnt(0)
	v_mov_b32_e32 v16, s9
	v_mov_b32_e32 v17, s13
	s_movk_i32 s9, 0x89
	s_branch .LBB38_8
.LBB38_7:                               ;   in Loop: Header=BB38_8 Depth=1
	s_or_b64 exec, exec, s[18:19]
	v_add_u32_e32 v6, 16, v6
	v_cmp_le_i32_e32 vcc, s40, v6
	s_or_b64 s[6:7], vcc, s[6:7]
	s_andn2_b64 exec, exec, s[6:7]
	s_cbranch_execz .LBB38_23
.LBB38_8:                               ; =>This Loop Header: Depth=1
                                        ;     Child Loop BB38_11 Depth 2
                                        ;       Child Loop BB38_13 Depth 3
	v_ashrrev_i32_e32 v7, 31, v6
	v_lshlrev_b64 v[8:9], 2, v[6:7]
	v_add_co_u32_e32 v8, vcc, s8, v8
	v_addc_co_u32_e32 v9, vcc, v16, v9, vcc
	global_load_dword v8, v[8:9], off
	s_waitcnt vmcnt(0)
	v_subrev_u32_e32 v8, s36, v8
	v_ashrrev_i32_e32 v9, 31, v8
	v_lshlrev_b64 v[8:9], 2, v[8:9]
	v_add_co_u32_e32 v8, vcc, s12, v8
	v_addc_co_u32_e32 v9, vcc, v17, v9, vcc
	global_load_dwordx2 v[8:9], v[8:9], off
	s_waitcnt vmcnt(0)
	v_subrev_u32_e32 v18, s37, v9
	v_add_u32_e32 v8, v8, v15
	v_cmp_lt_i32_e32 vcc, v8, v18
	s_and_saveexec_b64 s[18:19], vcc
	s_cbranch_execz .LBB38_7
; %bb.9:                                ;   in Loop: Header=BB38_8 Depth=1
	v_lshlrev_b64 v[10:11], 3, v[6:7]
	v_mov_b32_e32 v7, s11
	v_add_co_u32_e32 v10, vcc, s10, v10
	v_addc_co_u32_e32 v11, vcc, v7, v11, vcc
	global_load_dwordx2 v[10:11], v[10:11], off
	s_mov_b64 s[20:21], 0
	s_waitcnt vmcnt(0)
	v_mul_f64 v[10:11], v[4:5], v[10:11]
	s_branch .LBB38_11
.LBB38_10:                              ;   in Loop: Header=BB38_11 Depth=2
	s_or_b64 exec, exec, s[22:23]
	v_add_u32_e32 v8, 64, v8
	v_cmp_ge_i32_e32 vcc, v8, v18
	s_or_b64 s[20:21], vcc, s[20:21]
	s_andn2_b64 exec, exec, s[20:21]
	s_cbranch_execz .LBB38_7
.LBB38_11:                              ;   Parent Loop BB38_8 Depth=1
                                        ; =>  This Loop Header: Depth=2
                                        ;       Child Loop BB38_13 Depth 3
	v_ashrrev_i32_e32 v9, 31, v8
	v_lshlrev_b64 v[12:13], 2, v[8:9]
	v_mov_b32_e32 v7, s15
	v_add_co_u32_e32 v12, vcc, s14, v12
	v_addc_co_u32_e32 v13, vcc, v7, v13, vcc
	global_load_dword v7, v[12:13], off
	v_lshlrev_b64 v[12:13], 3, v[8:9]
	v_mov_b32_e32 v9, s3
	v_add_co_u32_e32 v12, vcc, s2, v12
	v_addc_co_u32_e32 v13, vcc, v9, v13, vcc
	global_load_dwordx2 v[12:13], v[12:13], off
	s_mov_b64 s[22:23], 0
	s_waitcnt vmcnt(1)
	v_subrev_u32_e32 v7, s37, v7
	v_mul_lo_u32 v9, v7, s9
	v_and_b32_e32 v9, 0x1fff, v9
	s_waitcnt vmcnt(0)
	v_mul_f64 v[12:13], v[10:11], v[12:13]
	s_branch .LBB38_13
.LBB38_12:                              ;   in Loop: Header=BB38_13 Depth=3
	s_or_b64 exec, exec, s[24:25]
	s_xor_b64 s[24:25], s[26:27], -1
	s_and_b64 s[24:25], exec, s[24:25]
	s_or_b64 s[22:23], s[24:25], s[22:23]
	s_andn2_b64 exec, exec, s[22:23]
	s_cbranch_execz .LBB38_10
.LBB38_13:                              ;   Parent Loop BB38_8 Depth=1
                                        ;     Parent Loop BB38_11 Depth=2
                                        ; =>    This Inner Loop Header: Depth=3
	v_lshl_add_u32 v19, v9, 2, 0
	ds_read_b32 v20, v19
                                        ; implicit-def: $sgpr26_sgpr27
	s_waitcnt lgkmcnt(0)
	v_cmp_ne_u32_e32 vcc, v20, v7
	s_and_saveexec_b64 s[24:25], vcc
	s_xor_b64 s[24:25], exec, s[24:25]
	s_cbranch_execz .LBB38_21
; %bb.14:                               ;   in Loop: Header=BB38_13 Depth=3
	v_cmp_ne_u32_e32 vcc, s33, v20
                                        ; implicit-def: $sgpr26_sgpr27
	s_and_saveexec_b64 s[28:29], vcc
	s_xor_b64 s[28:29], exec, s[28:29]
; %bb.15:                               ;   in Loop: Header=BB38_13 Depth=3
	v_add_u32_e32 v9, 1, v9
	v_and_b32_e32 v9, 0x1fff, v9
	s_mov_b64 s[26:27], -1
                                        ; implicit-def: $vgpr19
; %bb.16:                               ;   in Loop: Header=BB38_13 Depth=3
	s_andn2_saveexec_b64 s[28:29], s[28:29]
	s_cbranch_execz .LBB38_20
; %bb.17:                               ;   in Loop: Header=BB38_13 Depth=3
	v_mov_b32_e32 v20, s33
	ds_cmpst_rtn_b32 v20, v19, v20, v7
	s_mov_b64 s[30:31], -1
	s_waitcnt lgkmcnt(0)
	v_cmp_eq_u32_e32 vcc, s33, v20
	s_and_saveexec_b64 s[34:35], vcc
	s_cbranch_execz .LBB38_19
; %bb.18:                               ;   in Loop: Header=BB38_13 Depth=3
	v_lshl_add_u32 v19, v9, 2, v19
	ds_add_f64 v19, v[12:13] offset:32768
	s_xor_b64 s[30:31], exec, -1
.LBB38_19:                              ;   in Loop: Header=BB38_13 Depth=3
	s_or_b64 exec, exec, s[34:35]
	s_andn2_b64 s[26:27], s[26:27], exec
	s_and_b64 s[30:31], s[30:31], exec
	s_or_b64 s[26:27], s[26:27], s[30:31]
.LBB38_20:                              ;   in Loop: Header=BB38_13 Depth=3
	s_or_b64 exec, exec, s[28:29]
	s_and_b64 s[26:27], s[26:27], exec
                                        ; implicit-def: $vgpr19
.LBB38_21:                              ;   in Loop: Header=BB38_13 Depth=3
	s_andn2_saveexec_b64 s[24:25], s[24:25]
	s_cbranch_execz .LBB38_12
; %bb.22:                               ;   in Loop: Header=BB38_13 Depth=3
	v_lshl_add_u32 v19, v9, 2, v19
	ds_add_f64 v19, v[12:13] offset:32768
	s_andn2_b64 s[26:27], s[26:27], exec
	s_branch .LBB38_12
.LBB38_23:
	s_or_b64 exec, exec, s[0:1]
.LBB38_24:
	s_load_dwordx2 s[34:35], s[4:5], 0x80
	s_load_dwordx4 s[40:43], s[4:5], 0x70
	s_andn2_b64 vcc, exec, s[16:17]
	s_cbranch_vccnz .LBB38_41
; %bb.25:
	s_load_dwordx2 s[0:1], s[4:5], 0x58
	s_waitcnt lgkmcnt(0)
	s_ashr_i32 s45, s44, 31
	s_lshl_b64 s[2:3], s[44:45], 2
	s_waitcnt vmcnt(0)
	v_subrev_u32_e32 v4, s39, v0
	s_add_u32 s0, s0, s2
	s_addc_u32 s1, s1, s3
	s_load_dwordx2 s[0:1], s[0:1], 0x0
	s_waitcnt lgkmcnt(0)
	s_sub_i32 s20, s1, s39
	v_add_u32_e32 v4, s0, v4
	v_cmp_gt_i32_e32 vcc, s20, v4
	s_and_saveexec_b64 s[6:7], vcc
	s_cbranch_execz .LBB38_40
; %bb.26:
	s_load_dwordx4 s[0:3], s[4:5], 0x60
	s_mov_b64 s[4:5], 0
	s_waitcnt lgkmcnt(0)
	v_mov_b32_e32 v8, s1
	v_mov_b32_e32 v9, s3
	s_movk_i32 s1, 0x89
	s_branch .LBB38_28
.LBB38_27:                              ;   in Loop: Header=BB38_28 Depth=1
	s_or_b64 exec, exec, s[8:9]
	v_add_u32_e32 v4, 0x400, v4
	v_cmp_le_i32_e32 vcc, s20, v4
	s_or_b64 s[4:5], vcc, s[4:5]
	s_andn2_b64 exec, exec, s[4:5]
	s_cbranch_execz .LBB38_40
.LBB38_28:                              ; =>This Loop Header: Depth=1
                                        ;     Child Loop BB38_30 Depth 2
	v_ashrrev_i32_e32 v5, 31, v4
	v_lshlrev_b64 v[6:7], 2, v[4:5]
	v_add_co_u32_e32 v6, vcc, s0, v6
	v_addc_co_u32_e32 v7, vcc, v8, v7, vcc
	global_load_dword v10, v[6:7], off
	v_lshlrev_b64 v[6:7], 3, v[4:5]
	v_add_co_u32_e32 v6, vcc, s2, v6
	v_addc_co_u32_e32 v7, vcc, v9, v7, vcc
	global_load_dwordx2 v[6:7], v[6:7], off
	s_mov_b64 s[8:9], 0
	s_waitcnt vmcnt(1)
	v_subrev_u32_e32 v5, s39, v10
	v_mul_lo_u32 v10, v5, s1
	v_and_b32_e32 v10, 0x1fff, v10
	s_waitcnt vmcnt(0)
	v_mul_f64 v[6:7], v[2:3], v[6:7]
	s_branch .LBB38_30
.LBB38_29:                              ;   in Loop: Header=BB38_30 Depth=2
	s_or_b64 exec, exec, s[10:11]
	s_xor_b64 s[10:11], s[12:13], -1
	s_and_b64 s[10:11], exec, s[10:11]
	s_or_b64 s[8:9], s[10:11], s[8:9]
	s_andn2_b64 exec, exec, s[8:9]
	s_cbranch_execz .LBB38_27
.LBB38_30:                              ;   Parent Loop BB38_28 Depth=1
                                        ; =>  This Inner Loop Header: Depth=2
	v_lshl_add_u32 v11, v10, 2, 0
	ds_read_b32 v12, v11
                                        ; implicit-def: $sgpr12_sgpr13
	s_waitcnt lgkmcnt(0)
	v_cmp_ne_u32_e32 vcc, v12, v5
	s_and_saveexec_b64 s[10:11], vcc
	s_xor_b64 s[10:11], exec, s[10:11]
	s_cbranch_execz .LBB38_38
; %bb.31:                               ;   in Loop: Header=BB38_30 Depth=2
	v_cmp_ne_u32_e32 vcc, s33, v12
                                        ; implicit-def: $sgpr12_sgpr13
	s_and_saveexec_b64 s[14:15], vcc
	s_xor_b64 s[14:15], exec, s[14:15]
; %bb.32:                               ;   in Loop: Header=BB38_30 Depth=2
	v_add_u32_e32 v10, 1, v10
	v_and_b32_e32 v10, 0x1fff, v10
	s_mov_b64 s[12:13], -1
                                        ; implicit-def: $vgpr11
; %bb.33:                               ;   in Loop: Header=BB38_30 Depth=2
	s_andn2_saveexec_b64 s[14:15], s[14:15]
	s_cbranch_execz .LBB38_37
; %bb.34:                               ;   in Loop: Header=BB38_30 Depth=2
	v_mov_b32_e32 v12, s33
	ds_cmpst_rtn_b32 v12, v11, v12, v5
	s_mov_b64 s[16:17], -1
	s_waitcnt lgkmcnt(0)
	v_cmp_eq_u32_e32 vcc, s33, v12
	s_and_saveexec_b64 s[18:19], vcc
	s_cbranch_execz .LBB38_36
; %bb.35:                               ;   in Loop: Header=BB38_30 Depth=2
	v_lshl_add_u32 v11, v10, 2, v11
	ds_add_f64 v11, v[6:7] offset:32768
	s_xor_b64 s[16:17], exec, -1
.LBB38_36:                              ;   in Loop: Header=BB38_30 Depth=2
	s_or_b64 exec, exec, s[18:19]
	s_andn2_b64 s[12:13], s[12:13], exec
	s_and_b64 s[16:17], s[16:17], exec
	s_or_b64 s[12:13], s[12:13], s[16:17]
.LBB38_37:                              ;   in Loop: Header=BB38_30 Depth=2
	s_or_b64 exec, exec, s[14:15]
	s_and_b64 s[12:13], s[12:13], exec
                                        ; implicit-def: $vgpr11
.LBB38_38:                              ;   in Loop: Header=BB38_30 Depth=2
	s_andn2_saveexec_b64 s[10:11], s[10:11]
	s_cbranch_execz .LBB38_29
; %bb.39:                               ;   in Loop: Header=BB38_30 Depth=2
	v_lshl_add_u32 v11, v10, 2, v11
	ds_add_f64 v11, v[6:7] offset:32768
	s_andn2_b64 s[12:13], s[12:13], exec
	s_branch .LBB38_29
.LBB38_40:
	s_or_b64 exec, exec, s[6:7]
.LBB38_41:
	s_waitcnt vmcnt(0)
	v_mbcnt_lo_u32_b32 v2, -1, 0
	v_mbcnt_hi_u32_b32 v2, -1, v2
	v_sub_u32_e32 v2, 63, v2
	s_add_i32 s39, 0, 0x18000
	s_movk_i32 s0, 0x3ff
	s_movk_i32 s2, 0x7f
	;; [unrolled: 1-line block ×15, first 2 shown]
	v_lshl_add_u32 v4, v0, 3, 0
	s_add_i32 s61, 0, 0x1803c
	v_mov_b32_e32 v6, 0
	v_lshrrev_b64 v[2:3], v2, -1
	v_lshl_add_u32 v7, v14, 2, s39
	v_cmp_eq_u32_e32 vcc, s0, v0
	v_cmp_lt_u32_e64 s[0:1], 63, v0
	v_cmp_lt_u32_e64 s[2:3], s2, v0
	;; [unrolled: 1-line block ×15, first 2 shown]
	v_add_u32_e32 v8, 0x8000, v4
	v_or_b32_e32 v9, 0xfffffc00, v0
	s_mov_b64 s[36:37], 0
	s_add_i32 s45, 0, 0x18004
	s_add_i32 s48, 0, 0x18008
	;; [unrolled: 1-line block ×14, first 2 shown]
	v_mov_b32_e32 v10, s61
	s_movk_i32 s62, 0x1bff
	s_waitcnt lgkmcnt(0)
	s_barrier
	s_branch .LBB38_43
.LBB38_42:                              ;   in Loop: Header=BB38_43 Depth=1
	s_or_b64 exec, exec, s[30:31]
	s_waitcnt lgkmcnt(0)
	s_barrier
	ds_read_b32 v4, v10
	v_add_u32_e32 v9, 0x400, v9
	v_cmp_lt_u32_e64 s[30:31], s62, v9
	v_add_u32_e32 v8, 0x2000, v8
	s_or_b64 s[36:37], s[30:31], s[36:37]
	s_waitcnt lgkmcnt(0)
	v_add_u32_e32 v6, v4, v6
	v_add_u32_e32 v1, 0x1000, v1
	s_andn2_b64 exec, exec, s[36:37]
	s_cbranch_execz .LBB38_77
.LBB38_43:                              ; =>This Inner Loop Header: Depth=1
	ds_read_b32 v11, v1
	ds_read_b64 v[4:5], v8
	s_waitcnt lgkmcnt(0)
	s_barrier
	v_cmp_gt_i32_e64 s[30:31], s33, v11
	v_and_b32_e32 v13, s30, v2
	s_bcnt1_i32_b64 s46, s[30:31]
	v_and_b32_e32 v12, s31, v3
	v_bcnt_u32_b32 v13, v13, 0
	v_bcnt_u32_b32 v12, v12, v13
	v_mov_b32_e32 v13, s46
	ds_write_b32 v7, v13
	s_waitcnt lgkmcnt(0)
	s_barrier
	s_and_saveexec_b64 s[46:47], s[0:1]
	s_cbranch_execnz .LBB38_60
; %bb.44:                               ;   in Loop: Header=BB38_43 Depth=1
	s_or_b64 exec, exec, s[46:47]
	s_and_saveexec_b64 s[46:47], s[2:3]
	s_cbranch_execnz .LBB38_61
.LBB38_45:                              ;   in Loop: Header=BB38_43 Depth=1
	s_or_b64 exec, exec, s[46:47]
	s_and_saveexec_b64 s[46:47], s[4:5]
	s_cbranch_execnz .LBB38_62
.LBB38_46:                              ;   in Loop: Header=BB38_43 Depth=1
	s_or_b64 exec, exec, s[46:47]
	s_and_saveexec_b64 s[46:47], s[6:7]
	s_cbranch_execnz .LBB38_63
.LBB38_47:                              ;   in Loop: Header=BB38_43 Depth=1
	s_or_b64 exec, exec, s[46:47]
	s_and_saveexec_b64 s[46:47], s[8:9]
	s_cbranch_execnz .LBB38_64
.LBB38_48:                              ;   in Loop: Header=BB38_43 Depth=1
	s_or_b64 exec, exec, s[46:47]
	s_and_saveexec_b64 s[46:47], s[10:11]
	s_cbranch_execnz .LBB38_65
.LBB38_49:                              ;   in Loop: Header=BB38_43 Depth=1
	s_or_b64 exec, exec, s[46:47]
	s_and_saveexec_b64 s[46:47], s[12:13]
	s_cbranch_execnz .LBB38_66
.LBB38_50:                              ;   in Loop: Header=BB38_43 Depth=1
	s_or_b64 exec, exec, s[46:47]
	s_and_saveexec_b64 s[46:47], s[14:15]
	s_cbranch_execnz .LBB38_67
.LBB38_51:                              ;   in Loop: Header=BB38_43 Depth=1
	s_or_b64 exec, exec, s[46:47]
	s_and_saveexec_b64 s[46:47], s[16:17]
	s_cbranch_execnz .LBB38_68
.LBB38_52:                              ;   in Loop: Header=BB38_43 Depth=1
	s_or_b64 exec, exec, s[46:47]
	s_and_saveexec_b64 s[46:47], s[18:19]
	s_cbranch_execnz .LBB38_69
.LBB38_53:                              ;   in Loop: Header=BB38_43 Depth=1
	s_or_b64 exec, exec, s[46:47]
	s_and_saveexec_b64 s[46:47], s[20:21]
	s_cbranch_execnz .LBB38_70
.LBB38_54:                              ;   in Loop: Header=BB38_43 Depth=1
	s_or_b64 exec, exec, s[46:47]
	s_and_saveexec_b64 s[46:47], s[22:23]
	s_cbranch_execnz .LBB38_71
.LBB38_55:                              ;   in Loop: Header=BB38_43 Depth=1
	s_or_b64 exec, exec, s[46:47]
	s_and_saveexec_b64 s[46:47], s[24:25]
	s_cbranch_execnz .LBB38_72
.LBB38_56:                              ;   in Loop: Header=BB38_43 Depth=1
	s_or_b64 exec, exec, s[46:47]
	s_and_saveexec_b64 s[46:47], s[26:27]
	s_cbranch_execnz .LBB38_73
.LBB38_57:                              ;   in Loop: Header=BB38_43 Depth=1
	s_or_b64 exec, exec, s[46:47]
	s_and_saveexec_b64 s[46:47], s[28:29]
	s_cbranch_execnz .LBB38_74
.LBB38_58:                              ;   in Loop: Header=BB38_43 Depth=1
	s_or_b64 exec, exec, s[46:47]
	s_and_saveexec_b64 s[46:47], s[30:31]
	s_cbranch_execnz .LBB38_75
.LBB38_59:                              ;   in Loop: Header=BB38_43 Depth=1
	s_or_b64 exec, exec, s[46:47]
	s_and_saveexec_b64 s[30:31], vcc
	s_cbranch_execz .LBB38_42
	s_branch .LBB38_76
.LBB38_60:                              ;   in Loop: Header=BB38_43 Depth=1
	v_mov_b32_e32 v13, s39
	ds_read_b32 v13, v13
	s_waitcnt lgkmcnt(0)
	v_add_u32_e32 v12, v13, v12
	s_or_b64 exec, exec, s[46:47]
	s_and_saveexec_b64 s[46:47], s[2:3]
	s_cbranch_execz .LBB38_45
.LBB38_61:                              ;   in Loop: Header=BB38_43 Depth=1
	v_mov_b32_e32 v13, s45
	ds_read_b32 v13, v13
	s_waitcnt lgkmcnt(0)
	v_add_u32_e32 v12, v13, v12
	s_or_b64 exec, exec, s[46:47]
	s_and_saveexec_b64 s[46:47], s[4:5]
	s_cbranch_execz .LBB38_46
.LBB38_62:                              ;   in Loop: Header=BB38_43 Depth=1
	v_mov_b32_e32 v13, s48
	ds_read_b32 v13, v13
	s_waitcnt lgkmcnt(0)
	v_add_u32_e32 v12, v13, v12
	s_or_b64 exec, exec, s[46:47]
	s_and_saveexec_b64 s[46:47], s[6:7]
	s_cbranch_execz .LBB38_47
.LBB38_63:                              ;   in Loop: Header=BB38_43 Depth=1
	v_mov_b32_e32 v13, s49
	ds_read_b32 v13, v13
	s_waitcnt lgkmcnt(0)
	v_add_u32_e32 v12, v13, v12
	s_or_b64 exec, exec, s[46:47]
	s_and_saveexec_b64 s[46:47], s[8:9]
	s_cbranch_execz .LBB38_48
.LBB38_64:                              ;   in Loop: Header=BB38_43 Depth=1
	v_mov_b32_e32 v13, s50
	ds_read_b32 v13, v13
	s_waitcnt lgkmcnt(0)
	v_add_u32_e32 v12, v13, v12
	s_or_b64 exec, exec, s[46:47]
	s_and_saveexec_b64 s[46:47], s[10:11]
	s_cbranch_execz .LBB38_49
.LBB38_65:                              ;   in Loop: Header=BB38_43 Depth=1
	v_mov_b32_e32 v13, s51
	ds_read_b32 v13, v13
	s_waitcnt lgkmcnt(0)
	v_add_u32_e32 v12, v13, v12
	s_or_b64 exec, exec, s[46:47]
	s_and_saveexec_b64 s[46:47], s[12:13]
	s_cbranch_execz .LBB38_50
.LBB38_66:                              ;   in Loop: Header=BB38_43 Depth=1
	v_mov_b32_e32 v13, s52
	ds_read_b32 v13, v13
	s_waitcnt lgkmcnt(0)
	v_add_u32_e32 v12, v13, v12
	s_or_b64 exec, exec, s[46:47]
	s_and_saveexec_b64 s[46:47], s[14:15]
	s_cbranch_execz .LBB38_51
.LBB38_67:                              ;   in Loop: Header=BB38_43 Depth=1
	v_mov_b32_e32 v13, s53
	ds_read_b32 v13, v13
	s_waitcnt lgkmcnt(0)
	v_add_u32_e32 v12, v13, v12
	s_or_b64 exec, exec, s[46:47]
	s_and_saveexec_b64 s[46:47], s[16:17]
	s_cbranch_execz .LBB38_52
.LBB38_68:                              ;   in Loop: Header=BB38_43 Depth=1
	v_mov_b32_e32 v13, s54
	ds_read_b32 v13, v13
	s_waitcnt lgkmcnt(0)
	v_add_u32_e32 v12, v13, v12
	s_or_b64 exec, exec, s[46:47]
	s_and_saveexec_b64 s[46:47], s[18:19]
	s_cbranch_execz .LBB38_53
.LBB38_69:                              ;   in Loop: Header=BB38_43 Depth=1
	v_mov_b32_e32 v13, s55
	ds_read_b32 v13, v13
	s_waitcnt lgkmcnt(0)
	v_add_u32_e32 v12, v13, v12
	s_or_b64 exec, exec, s[46:47]
	s_and_saveexec_b64 s[46:47], s[20:21]
	s_cbranch_execz .LBB38_54
.LBB38_70:                              ;   in Loop: Header=BB38_43 Depth=1
	v_mov_b32_e32 v13, s56
	ds_read_b32 v13, v13
	s_waitcnt lgkmcnt(0)
	v_add_u32_e32 v12, v13, v12
	s_or_b64 exec, exec, s[46:47]
	s_and_saveexec_b64 s[46:47], s[22:23]
	s_cbranch_execz .LBB38_55
.LBB38_71:                              ;   in Loop: Header=BB38_43 Depth=1
	v_mov_b32_e32 v13, s57
	ds_read_b32 v13, v13
	s_waitcnt lgkmcnt(0)
	v_add_u32_e32 v12, v13, v12
	s_or_b64 exec, exec, s[46:47]
	s_and_saveexec_b64 s[46:47], s[24:25]
	s_cbranch_execz .LBB38_56
.LBB38_72:                              ;   in Loop: Header=BB38_43 Depth=1
	v_mov_b32_e32 v13, s58
	ds_read_b32 v13, v13
	s_waitcnt lgkmcnt(0)
	v_add_u32_e32 v12, v13, v12
	s_or_b64 exec, exec, s[46:47]
	s_and_saveexec_b64 s[46:47], s[26:27]
	s_cbranch_execz .LBB38_57
.LBB38_73:                              ;   in Loop: Header=BB38_43 Depth=1
	v_mov_b32_e32 v13, s59
	ds_read_b32 v13, v13
	s_waitcnt lgkmcnt(0)
	v_add_u32_e32 v12, v13, v12
	s_or_b64 exec, exec, s[46:47]
	s_and_saveexec_b64 s[46:47], s[28:29]
	s_cbranch_execz .LBB38_58
.LBB38_74:                              ;   in Loop: Header=BB38_43 Depth=1
	v_mov_b32_e32 v13, s60
	ds_read_b32 v13, v13
	s_waitcnt lgkmcnt(0)
	v_add_u32_e32 v12, v13, v12
	s_or_b64 exec, exec, s[46:47]
	s_and_saveexec_b64 s[46:47], s[30:31]
	s_cbranch_execz .LBB38_59
.LBB38_75:                              ;   in Loop: Header=BB38_43 Depth=1
	v_add3_u32 v13, v6, -1, v12
	v_lshl_add_u32 v14, v13, 2, 0
	v_lshl_add_u32 v13, v13, 3, 0
	ds_write_b32 v14, v11
	ds_write_b64 v13, v[4:5] offset:32768
	s_or_b64 exec, exec, s[46:47]
	s_and_saveexec_b64 s[30:31], vcc
	s_cbranch_execz .LBB38_42
.LBB38_76:                              ;   in Loop: Header=BB38_43 Depth=1
	v_mov_b32_e32 v4, s61
	ds_write_b32 v4, v12
	s_branch .LBB38_42
.LBB38_77:
	s_or_b64 exec, exec, s[36:37]
	s_ashr_i32 s45, s44, 31
	s_lshl_b64 s[0:1], s[44:45], 2
	s_add_u32 s0, s40, s0
	s_addc_u32 s1, s41, s1
	s_load_dwordx2 s[0:1], s[0:1], 0x0
	s_waitcnt lgkmcnt(0)
	s_sub_i32 s14, s1, s0
	v_cmp_gt_i32_e32 vcc, s14, v0
	s_and_saveexec_b64 s[2:3], vcc
	s_cbranch_execz .LBB38_92
; %bb.78:
	s_sub_i32 s6, s0, s38
	s_add_i32 s0, s14, -2
	s_lshr_b32 s1, s0, 1
	s_add_i32 s2, s1, 1
	s_cmp_gt_u32 s14, 1
	s_cselect_b64 s[8:9], -1, 0
	s_and_b32 s15, s14, -2
	s_and_b32 s4, s2, 7
	s_cmp_gt_u32 s0, 13
	s_cselect_b64 s[0:1], -1, 0
	s_and_b32 s16, s2, -8
	s_cmp_lg_u32 s4, 0
	s_cselect_b64 s[2:3], -1, 0
	v_cndmask_b32_e64 v1, 0, 1, s[0:1]
	s_cmp_lg_u32 s14, s15
	v_cmp_ne_u32_e64 s[0:1], 1, v1
	v_cndmask_b32_e64 v1, 0, 1, s[2:3]
	s_mov_b32 s7, 0
	s_cselect_b64 s[10:11], -1, 0
	s_lshl_b32 s17, s4, 3
	s_mov_b64 s[12:13], 0
	v_cmp_ne_u32_e64 s[2:3], 1, v1
	v_mov_b32_e32 v1, s43
	v_mov_b32_e32 v6, s35
	s_branch .LBB38_80
.LBB38_79:                              ;   in Loop: Header=BB38_80 Depth=1
	v_ashrrev_i32_e32 v5, 31, v4
	v_lshlrev_b64 v[8:9], 2, v[4:5]
	v_add_co_u32_e32 v8, vcc, s42, v8
	v_addc_co_u32_e32 v9, vcc, v1, v9, vcc
	v_lshlrev_b64 v[4:5], 3, v[4:5]
	v_add_co_u32_e32 v4, vcc, s34, v4
	v_addc_co_u32_e32 v5, vcc, v6, v5, vcc
	v_add_u32_e32 v0, 0x400, v0
	v_cmp_le_i32_e32 vcc, s14, v0
	s_waitcnt lgkmcnt(1)
	v_add_u32_e32 v7, s38, v7
	s_or_b64 s[12:13], vcc, s[12:13]
	global_store_dword v[8:9], v7, off
	s_waitcnt lgkmcnt(0)
	global_store_dwordx2 v[4:5], v[2:3], off
	s_andn2_b64 exec, exec, s[12:13]
	s_cbranch_execz .LBB38_92
.LBB38_80:                              ; =>This Loop Header: Depth=1
                                        ;     Child Loop BB38_83 Depth 2
                                        ;     Child Loop BB38_88 Depth 2
	;; [unrolled: 1-line block ×3, first 2 shown]
	v_lshlrev_b32_e32 v2, 2, v0
	v_add_u32_e32 v3, 0, v2
	v_add_u32_e32 v2, v3, v2
	ds_read_b32 v7, v3
	ds_read_b64 v[2:3], v2 offset:32768
	s_and_b64 vcc, exec, s[8:9]
	s_cbranch_vccz .LBB38_85
; %bb.81:                               ;   in Loop: Header=BB38_80 Depth=1
	s_and_b64 vcc, exec, s[0:1]
	s_cbranch_vccnz .LBB38_86
; %bb.82:                               ;   in Loop: Header=BB38_80 Depth=1
	s_mov_b32 s19, 0
	v_mov_b32_e32 v4, s6
	v_mov_b32_e32 v5, 0
	s_mov_b32 s20, s16
	s_mov_b32 s18, 0
.LBB38_83:                              ;   Parent Loop BB38_80 Depth=1
                                        ; =>  This Inner Loop Header: Depth=2
	v_mov_b32_e32 v22, s19
	ds_read2_b32 v[8:9], v22 offset1:1
	ds_read2_b32 v[10:11], v22 offset0:2 offset1:3
	ds_read2_b32 v[12:13], v22 offset0:4 offset1:5
	;; [unrolled: 1-line block ×7, first 2 shown]
	s_waitcnt lgkmcnt(7)
	v_cmp_gt_i32_e32 vcc, v7, v9
	v_cndmask_b32_e64 v9, 0, 1, vcc
	v_cmp_gt_i32_e32 vcc, v7, v8
	s_waitcnt lgkmcnt(5)
	v_cmp_gt_i32_e64 s[4:5], v7, v12
	v_cndmask_b32_e64 v8, 0, 1, vcc
	v_cmp_gt_i32_e32 vcc, v7, v11
	v_cndmask_b32_e64 v11, 0, 1, s[4:5]
	v_cmp_gt_i32_e64 s[4:5], v7, v13
	v_cndmask_b32_e64 v12, 0, 1, s[4:5]
	s_waitcnt lgkmcnt(3)
	v_cmp_gt_i32_e64 s[4:5], v7, v17
	v_cndmask_b32_e64 v13, 0, 1, s[4:5]
	v_cmp_gt_i32_e64 s[4:5], v7, v16
	v_cndmask_b32_e64 v16, 0, 1, s[4:5]
	s_waitcnt lgkmcnt(1)
	v_cmp_gt_i32_e64 s[4:5], v7, v20
	v_cndmask_b32_e64 v17, 0, 1, s[4:5]
	v_cmp_gt_i32_e64 s[4:5], v7, v21
	v_cndmask_b32_e64 v20, 0, 1, s[4:5]
	v_cmp_gt_i32_e64 s[4:5], v7, v10
	v_addc_co_u32_e64 v4, s[4:5], v4, v8, s[4:5]
	v_addc_co_u32_e32 v5, vcc, v5, v9, vcc
	v_cmp_gt_i32_e32 vcc, v7, v14
	v_cmp_gt_i32_e64 s[4:5], v7, v15
	v_addc_co_u32_e64 v5, s[4:5], v5, v12, s[4:5]
	v_addc_co_u32_e32 v4, vcc, v4, v11, vcc
	v_cmp_gt_i32_e32 vcc, v7, v19
	v_cmp_gt_i32_e64 s[4:5], v7, v18
	v_addc_co_u32_e64 v4, s[4:5], v4, v16, s[4:5]
	v_addc_co_u32_e32 v5, vcc, v5, v13, vcc
	s_add_i32 s18, s18, 16
	s_add_i32 s19, s19, 64
	s_add_i32 s20, s20, -8
	s_waitcnt lgkmcnt(0)
	v_cmp_gt_i32_e32 vcc, v7, v22
	v_cmp_gt_i32_e64 s[4:5], v7, v23
	s_cmp_lg_u32 s20, 0
	v_addc_co_u32_e64 v5, s[4:5], v5, v20, s[4:5]
	v_addc_co_u32_e32 v4, vcc, v4, v17, vcc
	s_cbranch_scc1 .LBB38_83
; %bb.84:                               ;   in Loop: Header=BB38_80 Depth=1
	s_and_b64 vcc, exec, s[2:3]
	s_cbranch_vccz .LBB38_87
	s_branch .LBB38_89
.LBB38_85:                              ;   in Loop: Header=BB38_80 Depth=1
	v_mov_b32_e32 v4, s6
	s_mov_b32 s18, 0
	s_cbranch_execz .LBB38_79
	s_branch .LBB38_90
.LBB38_86:                              ;   in Loop: Header=BB38_80 Depth=1
	v_pk_mov_b32 v[4:5], s[6:7], s[6:7] op_sel:[0,1]
	s_mov_b32 s18, 0
	s_and_b64 vcc, exec, s[2:3]
	s_cbranch_vccnz .LBB38_89
.LBB38_87:                              ;   in Loop: Header=BB38_80 Depth=1
	s_lshl_b32 s4, s18, 2
	s_add_i32 s4, s4, 0
	s_mov_b32 s5, s17
.LBB38_88:                              ;   Parent Loop BB38_80 Depth=1
                                        ; =>  This Inner Loop Header: Depth=2
	v_mov_b32_e32 v8, s4
	ds_read2_b32 v[8:9], v8 offset1:1
	s_add_i32 s4, s4, 8
	s_add_i32 s5, s5, -8
	s_cmp_lg_u32 s5, 0
	s_waitcnt lgkmcnt(0)
	v_cmp_gt_i32_e32 vcc, v7, v9
	v_addc_co_u32_e32 v5, vcc, 0, v5, vcc
	v_cmp_gt_i32_e32 vcc, v7, v8
	v_addc_co_u32_e32 v4, vcc, 0, v4, vcc
	s_cbranch_scc1 .LBB38_88
.LBB38_89:                              ;   in Loop: Header=BB38_80 Depth=1
	v_add_u32_e32 v4, v4, v5
	s_mov_b32 s18, s15
	s_mov_b64 s[4:5], s[10:11]
	s_and_b64 vcc, exec, s[4:5]
	s_cbranch_vccz .LBB38_79
.LBB38_90:                              ;   in Loop: Header=BB38_80 Depth=1
	s_lshl_b32 s4, s18, 2
	s_add_i32 s4, s4, 0
.LBB38_91:                              ;   Parent Loop BB38_80 Depth=1
                                        ; =>  This Inner Loop Header: Depth=2
	v_mov_b32_e32 v5, s4
	ds_read_b32 v5, v5
	s_add_i32 s18, s18, 1
	s_add_i32 s4, s4, 4
	s_cmp_ge_i32 s18, s14
	s_waitcnt lgkmcnt(0)
	v_cmp_gt_i32_e32 vcc, v7, v5
	v_addc_co_u32_e32 v4, vcc, 0, v4, vcc
	s_cbranch_scc0 .LBB38_91
	s_branch .LBB38_79
.LBB38_92:
	s_endpgm
	.section	.rodata,"a",@progbits
	.p2align	6, 0x0
	.amdhsa_kernel _ZN9rocsparseL26csrgemm_fill_block_per_rowILj1024ELj64ELj8192ELj137ELj64EiidEEvT5_PKS1_S3_NS_24const_host_device_scalarIT6_EEPKT4_S3_PKS5_S9_S3_SB_S6_S9_S3_SB_S9_PS1_PS5_21rocsparse_index_base_SE_SE_SE_bbb
		.amdhsa_group_segment_fixed_size 0
		.amdhsa_private_segment_fixed_size 0
		.amdhsa_kernarg_size 156
		.amdhsa_user_sgpr_count 6
		.amdhsa_user_sgpr_private_segment_buffer 1
		.amdhsa_user_sgpr_dispatch_ptr 0
		.amdhsa_user_sgpr_queue_ptr 0
		.amdhsa_user_sgpr_kernarg_segment_ptr 1
		.amdhsa_user_sgpr_dispatch_id 0
		.amdhsa_user_sgpr_flat_scratch_init 0
		.amdhsa_user_sgpr_kernarg_preload_length 0
		.amdhsa_user_sgpr_kernarg_preload_offset 0
		.amdhsa_user_sgpr_private_segment_size 0
		.amdhsa_uses_dynamic_stack 0
		.amdhsa_system_sgpr_private_segment_wavefront_offset 0
		.amdhsa_system_sgpr_workgroup_id_x 1
		.amdhsa_system_sgpr_workgroup_id_y 0
		.amdhsa_system_sgpr_workgroup_id_z 0
		.amdhsa_system_sgpr_workgroup_info 0
		.amdhsa_system_vgpr_workitem_id 0
		.amdhsa_next_free_vgpr 24
		.amdhsa_next_free_sgpr 63
		.amdhsa_accum_offset 24
		.amdhsa_reserve_vcc 1
		.amdhsa_reserve_flat_scratch 0
		.amdhsa_float_round_mode_32 0
		.amdhsa_float_round_mode_16_64 0
		.amdhsa_float_denorm_mode_32 3
		.amdhsa_float_denorm_mode_16_64 3
		.amdhsa_dx10_clamp 1
		.amdhsa_ieee_mode 1
		.amdhsa_fp16_overflow 0
		.amdhsa_tg_split 0
		.amdhsa_exception_fp_ieee_invalid_op 0
		.amdhsa_exception_fp_denorm_src 0
		.amdhsa_exception_fp_ieee_div_zero 0
		.amdhsa_exception_fp_ieee_overflow 0
		.amdhsa_exception_fp_ieee_underflow 0
		.amdhsa_exception_fp_ieee_inexact 0
		.amdhsa_exception_int_div_zero 0
	.end_amdhsa_kernel
	.section	.text._ZN9rocsparseL26csrgemm_fill_block_per_rowILj1024ELj64ELj8192ELj137ELj64EiidEEvT5_PKS1_S3_NS_24const_host_device_scalarIT6_EEPKT4_S3_PKS5_S9_S3_SB_S6_S9_S3_SB_S9_PS1_PS5_21rocsparse_index_base_SE_SE_SE_bbb,"axG",@progbits,_ZN9rocsparseL26csrgemm_fill_block_per_rowILj1024ELj64ELj8192ELj137ELj64EiidEEvT5_PKS1_S3_NS_24const_host_device_scalarIT6_EEPKT4_S3_PKS5_S9_S3_SB_S6_S9_S3_SB_S9_PS1_PS5_21rocsparse_index_base_SE_SE_SE_bbb,comdat
.Lfunc_end38:
	.size	_ZN9rocsparseL26csrgemm_fill_block_per_rowILj1024ELj64ELj8192ELj137ELj64EiidEEvT5_PKS1_S3_NS_24const_host_device_scalarIT6_EEPKT4_S3_PKS5_S9_S3_SB_S6_S9_S3_SB_S9_PS1_PS5_21rocsparse_index_base_SE_SE_SE_bbb, .Lfunc_end38-_ZN9rocsparseL26csrgemm_fill_block_per_rowILj1024ELj64ELj8192ELj137ELj64EiidEEvT5_PKS1_S3_NS_24const_host_device_scalarIT6_EEPKT4_S3_PKS5_S9_S3_SB_S6_S9_S3_SB_S9_PS1_PS5_21rocsparse_index_base_SE_SE_SE_bbb
                                        ; -- End function
	.section	.AMDGPU.csdata,"",@progbits
; Kernel info:
; codeLenInByte = 3572
; NumSgprs: 67
; NumVgprs: 24
; NumAgprs: 0
; TotalNumVgprs: 24
; ScratchSize: 0
; MemoryBound: 0
; FloatMode: 240
; IeeeMode: 1
; LDSByteSize: 0 bytes/workgroup (compile time only)
; SGPRBlocks: 8
; VGPRBlocks: 2
; NumSGPRsForWavesPerEU: 67
; NumVGPRsForWavesPerEU: 24
; AccumOffset: 24
; Occupancy: 8
; WaveLimiterHint : 1
; COMPUTE_PGM_RSRC2:SCRATCH_EN: 0
; COMPUTE_PGM_RSRC2:USER_SGPR: 6
; COMPUTE_PGM_RSRC2:TRAP_HANDLER: 0
; COMPUTE_PGM_RSRC2:TGID_X_EN: 1
; COMPUTE_PGM_RSRC2:TGID_Y_EN: 0
; COMPUTE_PGM_RSRC2:TGID_Z_EN: 0
; COMPUTE_PGM_RSRC2:TIDIG_COMP_CNT: 0
; COMPUTE_PGM_RSRC3_GFX90A:ACCUM_OFFSET: 5
; COMPUTE_PGM_RSRC3_GFX90A:TG_SPLIT: 0
	.section	.text._ZN9rocsparseL26csrgemm_fill_block_per_rowILj1024ELj64ELj16384ELj137ELj32EiidEEvT5_PKS1_S3_NS_24const_host_device_scalarIT6_EEPKT4_S3_PKS5_S9_S3_SB_S6_S9_S3_SB_S9_PS1_PS5_21rocsparse_index_base_SE_SE_SE_bbb,"axG",@progbits,_ZN9rocsparseL26csrgemm_fill_block_per_rowILj1024ELj64ELj16384ELj137ELj32EiidEEvT5_PKS1_S3_NS_24const_host_device_scalarIT6_EEPKT4_S3_PKS5_S9_S3_SB_S6_S9_S3_SB_S9_PS1_PS5_21rocsparse_index_base_SE_SE_SE_bbb,comdat
	.globl	_ZN9rocsparseL26csrgemm_fill_block_per_rowILj1024ELj64ELj16384ELj137ELj32EiidEEvT5_PKS1_S3_NS_24const_host_device_scalarIT6_EEPKT4_S3_PKS5_S9_S3_SB_S6_S9_S3_SB_S9_PS1_PS5_21rocsparse_index_base_SE_SE_SE_bbb ; -- Begin function _ZN9rocsparseL26csrgemm_fill_block_per_rowILj1024ELj64ELj16384ELj137ELj32EiidEEvT5_PKS1_S3_NS_24const_host_device_scalarIT6_EEPKT4_S3_PKS5_S9_S3_SB_S6_S9_S3_SB_S9_PS1_PS5_21rocsparse_index_base_SE_SE_SE_bbb
	.p2align	8
	.type	_ZN9rocsparseL26csrgemm_fill_block_per_rowILj1024ELj64ELj16384ELj137ELj32EiidEEvT5_PKS1_S3_NS_24const_host_device_scalarIT6_EEPKT4_S3_PKS5_S9_S3_SB_S6_S9_S3_SB_S9_PS1_PS5_21rocsparse_index_base_SE_SE_SE_bbb,@function
_ZN9rocsparseL26csrgemm_fill_block_per_rowILj1024ELj64ELj16384ELj137ELj32EiidEEvT5_PKS1_S3_NS_24const_host_device_scalarIT6_EEPKT4_S3_PKS5_S9_S3_SB_S6_S9_S3_SB_S9_PS1_PS5_21rocsparse_index_base_SE_SE_SE_bbb: ; @_ZN9rocsparseL26csrgemm_fill_block_per_rowILj1024ELj64ELj16384ELj137ELj32EiidEEvT5_PKS1_S3_NS_24const_host_device_scalarIT6_EEPKT4_S3_PKS5_S9_S3_SB_S6_S9_S3_SB_S9_PS1_PS5_21rocsparse_index_base_SE_SE_SE_bbb
; %bb.0:
	s_load_dword s7, s[4:5], 0x98
	s_load_dwordx4 s[68:71], s[4:5], 0x88
	s_load_dwordx2 s[0:1], s[4:5], 0x18
	s_load_dwordx2 s[24:25], s[4:5], 0x50
	s_waitcnt lgkmcnt(0)
	s_and_b32 s2, 1, s7
	s_bitcmp1_b32 s7, 16
	s_cselect_b64 s[26:27], -1, 0
	s_cmp_eq_u32 s2, 1
	s_cselect_b64 s[22:23], -1, 0
	s_and_b64 s[2:3], s[22:23], exec
	s_cselect_b32 s3, s1, 0
	s_cselect_b32 s2, s0, 0
	s_xor_b64 s[8:9], s[22:23], -1
	s_or_b64 s[8:9], s[8:9], s[26:27]
	s_and_b64 vcc, exec, s[8:9]
	v_pk_mov_b32 v[4:5], s[2:3], s[2:3] op_sel:[0,1]
	s_cbranch_vccnz .LBB39_2
; %bb.1:
	v_pk_mov_b32 v[2:3], s[0:1], s[0:1] op_sel:[0,1]
	flat_load_dwordx2 v[4:5], v[2:3]
.LBB39_2:
	s_load_dwordx4 s[0:3], s[4:5], 0x78
                                        ; implicit-def: $vgpr24 : SGPR spill to VGPR lane
	s_load_dwordx8 s[8:15], s[4:5], 0x58
	s_bitcmp1_b32 s7, 8
	s_cselect_b64 s[20:21], -1, 0
	s_and_b64 s[28:29], s[20:21], exec
	s_waitcnt lgkmcnt(0)
	v_writelane_b32 v24, s0, 0
	v_writelane_b32 v24, s1, 1
	;; [unrolled: 1-line block ×12, first 2 shown]
	s_load_dwordx4 s[0:3], s[4:5], 0x40
	s_load_dwordx4 s[16:19], s[4:5], 0x8
	s_load_dwordx8 s[8:15], s[4:5], 0x20
	s_cselect_b32 s29, s25, 0
	s_cselect_b32 s28, s24, 0
	s_xor_b64 s[30:31], s[20:21], -1
	s_or_b64 s[26:27], s[30:31], s[26:27]
	s_and_b64 vcc, exec, s[26:27]
	v_pk_mov_b32 v[2:3], s[28:29], s[28:29] op_sel:[0,1]
	s_cbranch_vccnz .LBB39_4
; %bb.3:
	v_pk_mov_b32 v[2:3], s[24:25], s[24:25] op_sel:[0,1]
	flat_load_dwordx2 v[2:3], v[2:3]
.LBB39_4:
	s_load_dword s33, s[4:5], 0x0
	v_lshl_add_u32 v7, v0, 3, 0
	v_or_b32_e32 v1, 0xfffffc00, v0
	v_mov_b32_e32 v6, 0
	v_add_u32_e32 v14, 0x10000, v7
	v_lshl_add_u32 v15, v0, 2, 0
	s_mov_b64 s[4:5], 0
	s_waitcnt lgkmcnt(0)
	v_mov_b32_e32 v8, s33
	v_mov_b32_e32 v7, v6
	s_movk_i32 s7, 0x3bff
	v_mov_b32_e32 v9, v15
	v_mov_b32_e32 v10, v14
	;; [unrolled: 1-line block ×3, first 2 shown]
.LBB39_5:                               ; =>This Inner Loop Header: Depth=1
	v_add_u32_e32 v11, 0x400, v11
	v_cmp_lt_u32_e32 vcc, s7, v11
	ds_write_b32 v9, v8
	ds_write_b64 v10, v[6:7]
	v_add_u32_e32 v10, 0x2000, v10
	s_or_b64 s[4:5], vcc, s[4:5]
	v_add_u32_e32 v9, 0x1000, v9
	s_andn2_b64 exec, exec, s[4:5]
	s_cbranch_execnz .LBB39_5
; %bb.6:
	s_or_b64 exec, exec, s[4:5]
	s_waitcnt lgkmcnt(0)
	s_barrier
	s_load_dword s4, s[16:17], 0x0
	s_mov_b32 s5, 0
	s_waitcnt lgkmcnt(0)
	s_add_i32 s4, s4, s6
	s_lshl_b64 s[4:5], s[4:5], 2
	s_add_u32 s4, s18, s4
	s_addc_u32 s5, s19, s5
	s_load_dword s4, s[4:5], 0x0
	s_and_b64 vcc, exec, s[22:23]
	s_waitcnt lgkmcnt(0)
	v_writelane_b32 v24, s4, 12
	v_writelane_b32 v24, s5, 13
	s_cbranch_vccz .LBB39_26
; %bb.7:
	v_readlane_b32 s4, v24, 12
	v_readlane_b32 s5, v24, 13
	s_mov_b32 s6, s4
	s_ashr_i32 s7, s4, 31
	v_writelane_b32 v24, s4, 12
	v_writelane_b32 v24, s5, 13
	s_lshl_b64 s[4:5], s[6:7], 2
	s_add_u32 s4, s8, s4
	s_addc_u32 s5, s9, s5
	s_load_dwordx2 s[4:5], s[4:5], 0x0
	v_lshrrev_b32_e32 v6, 6, v0
	v_subrev_u32_e32 v6, s68, v6
	s_waitcnt lgkmcnt(0)
	s_sub_i32 s34, s5, s68
	v_add_u32_e32 v6, s4, v6
	v_cmp_gt_i32_e32 vcc, s34, v6
	s_and_saveexec_b64 s[4:5], vcc
	s_cbranch_execz .LBB39_25
; %bb.8:
	v_and_b32_e32 v7, 63, v0
	v_subrev_u32_e32 v16, s69, v7
	s_mov_b64 s[6:7], 0
	v_mov_b32_e32 v17, s11
	v_mov_b32_e32 v18, s15
	s_movk_i32 s11, 0x89
	s_branch .LBB39_10
.LBB39_9:                               ;   in Loop: Header=BB39_10 Depth=1
	s_or_b64 exec, exec, s[8:9]
	v_add_u32_e32 v6, 16, v6
	v_cmp_le_i32_e32 vcc, s34, v6
	s_or_b64 s[6:7], vcc, s[6:7]
	s_andn2_b64 exec, exec, s[6:7]
	s_cbranch_execz .LBB39_25
.LBB39_10:                              ; =>This Loop Header: Depth=1
                                        ;     Child Loop BB39_13 Depth 2
                                        ;       Child Loop BB39_15 Depth 3
	v_ashrrev_i32_e32 v7, 31, v6
	v_lshlrev_b64 v[8:9], 2, v[6:7]
	v_add_co_u32_e32 v8, vcc, s10, v8
	v_addc_co_u32_e32 v9, vcc, v17, v9, vcc
	global_load_dword v8, v[8:9], off
	s_waitcnt vmcnt(0)
	v_subrev_u32_e32 v8, s68, v8
	v_ashrrev_i32_e32 v9, 31, v8
	v_lshlrev_b64 v[8:9], 2, v[8:9]
	v_add_co_u32_e32 v8, vcc, s14, v8
	v_addc_co_u32_e32 v9, vcc, v18, v9, vcc
	global_load_dwordx2 v[8:9], v[8:9], off
	s_waitcnt vmcnt(0)
	v_subrev_u32_e32 v19, s69, v9
	v_add_u32_e32 v8, v8, v16
	v_cmp_lt_i32_e32 vcc, v8, v19
	s_and_saveexec_b64 s[8:9], vcc
	s_cbranch_execz .LBB39_9
; %bb.11:                               ;   in Loop: Header=BB39_10 Depth=1
	v_lshlrev_b64 v[10:11], 3, v[6:7]
	v_mov_b32_e32 v7, s13
	v_add_co_u32_e32 v10, vcc, s12, v10
	v_addc_co_u32_e32 v11, vcc, v7, v11, vcc
	global_load_dwordx2 v[10:11], v[10:11], off
	s_mov_b64 s[16:17], 0
	s_waitcnt vmcnt(0)
	v_mul_f64 v[10:11], v[4:5], v[10:11]
	s_branch .LBB39_13
.LBB39_12:                              ;   in Loop: Header=BB39_13 Depth=2
	s_or_b64 exec, exec, s[18:19]
	v_add_u32_e32 v8, 64, v8
	v_cmp_ge_i32_e32 vcc, v8, v19
	s_or_b64 s[16:17], vcc, s[16:17]
	s_andn2_b64 exec, exec, s[16:17]
	s_cbranch_execz .LBB39_9
.LBB39_13:                              ;   Parent Loop BB39_10 Depth=1
                                        ; =>  This Loop Header: Depth=2
                                        ;       Child Loop BB39_15 Depth 3
	v_ashrrev_i32_e32 v9, 31, v8
	v_lshlrev_b64 v[12:13], 2, v[8:9]
	v_mov_b32_e32 v7, s1
	v_add_co_u32_e32 v12, vcc, s0, v12
	v_addc_co_u32_e32 v13, vcc, v7, v13, vcc
	global_load_dword v7, v[12:13], off
	v_lshlrev_b64 v[12:13], 3, v[8:9]
	v_mov_b32_e32 v9, s3
	v_add_co_u32_e32 v12, vcc, s2, v12
	v_addc_co_u32_e32 v13, vcc, v9, v13, vcc
	global_load_dwordx2 v[12:13], v[12:13], off
	s_mov_b64 s[18:19], 0
	s_waitcnt vmcnt(1)
	v_subrev_u32_e32 v7, s69, v7
	v_mul_lo_u32 v9, v7, s11
	v_and_b32_e32 v9, 0x3fff, v9
	s_waitcnt vmcnt(0)
	v_mul_f64 v[12:13], v[10:11], v[12:13]
	s_branch .LBB39_15
.LBB39_14:                              ;   in Loop: Header=BB39_15 Depth=3
	s_or_b64 exec, exec, s[22:23]
	s_xor_b64 s[22:23], s[24:25], -1
	s_and_b64 s[22:23], exec, s[22:23]
	s_or_b64 s[18:19], s[22:23], s[18:19]
	s_andn2_b64 exec, exec, s[18:19]
	s_cbranch_execz .LBB39_12
.LBB39_15:                              ;   Parent Loop BB39_10 Depth=1
                                        ;     Parent Loop BB39_13 Depth=2
                                        ; =>    This Inner Loop Header: Depth=3
	v_lshl_add_u32 v20, v9, 2, 0
	ds_read_b32 v21, v20
                                        ; implicit-def: $sgpr24_sgpr25
	s_waitcnt lgkmcnt(0)
	v_cmp_ne_u32_e32 vcc, v21, v7
	s_and_saveexec_b64 s[22:23], vcc
	s_xor_b64 s[22:23], exec, s[22:23]
	s_cbranch_execz .LBB39_23
; %bb.16:                               ;   in Loop: Header=BB39_15 Depth=3
	v_cmp_ne_u32_e32 vcc, s33, v21
                                        ; implicit-def: $sgpr24_sgpr25
	s_and_saveexec_b64 s[26:27], vcc
	s_xor_b64 s[26:27], exec, s[26:27]
; %bb.17:                               ;   in Loop: Header=BB39_15 Depth=3
	v_add_u32_e32 v9, 1, v9
	v_and_b32_e32 v9, 0x3fff, v9
	s_mov_b64 s[24:25], -1
                                        ; implicit-def: $vgpr20
; %bb.18:                               ;   in Loop: Header=BB39_15 Depth=3
	s_andn2_saveexec_b64 s[26:27], s[26:27]
	s_cbranch_execz .LBB39_22
; %bb.19:                               ;   in Loop: Header=BB39_15 Depth=3
	v_mov_b32_e32 v21, s33
	ds_cmpst_rtn_b32 v20, v20, v21, v7
	s_mov_b64 s[28:29], -1
	s_waitcnt lgkmcnt(0)
	v_cmp_eq_u32_e32 vcc, s33, v20
	s_and_saveexec_b64 s[30:31], vcc
	s_cbranch_execz .LBB39_21
; %bb.20:                               ;   in Loop: Header=BB39_15 Depth=3
	v_lshl_add_u32 v20, v9, 3, 0
	v_add_u32_e32 v20, 0x10000, v20
	ds_add_f64 v20, v[12:13]
	s_xor_b64 s[28:29], exec, -1
.LBB39_21:                              ;   in Loop: Header=BB39_15 Depth=3
	s_or_b64 exec, exec, s[30:31]
	s_andn2_b64 s[24:25], s[24:25], exec
	s_and_b64 s[28:29], s[28:29], exec
	s_or_b64 s[24:25], s[24:25], s[28:29]
.LBB39_22:                              ;   in Loop: Header=BB39_15 Depth=3
	s_or_b64 exec, exec, s[26:27]
	s_and_b64 s[24:25], s[24:25], exec
.LBB39_23:                              ;   in Loop: Header=BB39_15 Depth=3
	s_andn2_saveexec_b64 s[22:23], s[22:23]
	s_cbranch_execz .LBB39_14
; %bb.24:                               ;   in Loop: Header=BB39_15 Depth=3
	v_lshl_add_u32 v20, v9, 3, 0
	v_add_u32_e32 v20, 0x10000, v20
	ds_add_f64 v20, v[12:13]
	s_andn2_b64 s[24:25], s[24:25], exec
	s_branch .LBB39_14
.LBB39_25:
	s_or_b64 exec, exec, s[4:5]
.LBB39_26:
	s_andn2_b64 vcc, exec, s[20:21]
	s_cbranch_vccnz .LBB39_43
; %bb.27:
	v_readlane_b32 s0, v24, 12
	v_readlane_b32 s1, v24, 13
	s_mov_b32 s2, s0
	s_ashr_i32 s3, s0, 31
	v_writelane_b32 v24, s0, 12
	v_writelane_b32 v24, s1, 13
	s_lshl_b64 s[0:1], s[2:3], 2
	v_readlane_b32 s4, v24, 4
	v_readlane_b32 s5, v24, 5
	s_add_u32 s0, s4, s0
	s_addc_u32 s1, s5, s1
	s_load_dwordx2 s[0:1], s[0:1], 0x0
	s_waitcnt vmcnt(0)
	v_subrev_u32_e32 v4, s71, v0
	v_readlane_b32 s6, v24, 6
	v_readlane_b32 s7, v24, 7
	v_readlane_b32 s8, v24, 8
	s_waitcnt lgkmcnt(0)
	s_sub_i32 s16, s1, s71
	v_add_u32_e32 v4, s0, v4
	v_cmp_gt_i32_e32 vcc, s16, v4
	v_readlane_b32 s9, v24, 9
	v_readlane_b32 s10, v24, 10
	;; [unrolled: 1-line block ×3, first 2 shown]
	s_and_saveexec_b64 s[0:1], vcc
	s_cbranch_execz .LBB39_42
; %bb.28:
	v_readlane_b32 s4, v24, 4
	v_readlane_b32 s7, v24, 7
	;; [unrolled: 1-line block ×3, first 2 shown]
	s_mov_b64 s[2:3], 0
	v_mov_b32_e32 v8, s7
	v_mov_b32_e32 v9, s9
	s_movk_i32 s17, 0x89
	v_readlane_b32 s5, v24, 5
	v_readlane_b32 s6, v24, 6
	;; [unrolled: 1-line block ×5, first 2 shown]
	s_branch .LBB39_30
.LBB39_29:                              ;   in Loop: Header=BB39_30 Depth=1
	s_or_b64 exec, exec, s[4:5]
	v_add_u32_e32 v4, 0x400, v4
	v_cmp_le_i32_e32 vcc, s16, v4
	s_or_b64 s[2:3], vcc, s[2:3]
	s_andn2_b64 exec, exec, s[2:3]
	s_cbranch_execz .LBB39_42
.LBB39_30:                              ; =>This Loop Header: Depth=1
                                        ;     Child Loop BB39_32 Depth 2
	v_ashrrev_i32_e32 v5, 31, v4
	v_readlane_b32 s4, v24, 4
	v_lshlrev_b64 v[6:7], 2, v[4:5]
	v_readlane_b32 s6, v24, 6
	v_add_co_u32_e32 v6, vcc, s6, v6
	v_addc_co_u32_e32 v7, vcc, v8, v7, vcc
	v_readlane_b32 s8, v24, 8
	global_load_dword v10, v[6:7], off
	v_lshlrev_b64 v[6:7], 3, v[4:5]
	v_add_co_u32_e32 v6, vcc, s8, v6
	v_addc_co_u32_e32 v7, vcc, v9, v7, vcc
	global_load_dwordx2 v[6:7], v[6:7], off
	v_readlane_b32 s5, v24, 5
	s_mov_b64 s[4:5], 0
	v_readlane_b32 s7, v24, 7
	v_readlane_b32 s9, v24, 9
	;; [unrolled: 1-line block ×4, first 2 shown]
	s_waitcnt vmcnt(1)
	v_subrev_u32_e32 v5, s71, v10
	v_mul_lo_u32 v10, v5, s17
	v_and_b32_e32 v10, 0x3fff, v10
	s_waitcnt vmcnt(0)
	v_mul_f64 v[6:7], v[2:3], v[6:7]
	s_branch .LBB39_32
.LBB39_31:                              ;   in Loop: Header=BB39_32 Depth=2
	s_or_b64 exec, exec, s[6:7]
	s_xor_b64 s[6:7], s[8:9], -1
	s_and_b64 s[6:7], exec, s[6:7]
	s_or_b64 s[4:5], s[6:7], s[4:5]
	s_andn2_b64 exec, exec, s[4:5]
	s_cbranch_execz .LBB39_29
.LBB39_32:                              ;   Parent Loop BB39_30 Depth=1
                                        ; =>  This Inner Loop Header: Depth=2
	v_lshl_add_u32 v11, v10, 2, 0
	ds_read_b32 v12, v11
                                        ; implicit-def: $sgpr8_sgpr9
	s_waitcnt lgkmcnt(0)
	v_cmp_ne_u32_e32 vcc, v12, v5
	s_and_saveexec_b64 s[6:7], vcc
	s_xor_b64 s[6:7], exec, s[6:7]
	s_cbranch_execz .LBB39_40
; %bb.33:                               ;   in Loop: Header=BB39_32 Depth=2
	v_cmp_ne_u32_e32 vcc, s33, v12
                                        ; implicit-def: $sgpr8_sgpr9
	s_and_saveexec_b64 s[10:11], vcc
	s_xor_b64 s[10:11], exec, s[10:11]
; %bb.34:                               ;   in Loop: Header=BB39_32 Depth=2
	v_add_u32_e32 v10, 1, v10
	v_and_b32_e32 v10, 0x3fff, v10
	s_mov_b64 s[8:9], -1
                                        ; implicit-def: $vgpr11
; %bb.35:                               ;   in Loop: Header=BB39_32 Depth=2
	s_andn2_saveexec_b64 s[10:11], s[10:11]
	s_cbranch_execz .LBB39_39
; %bb.36:                               ;   in Loop: Header=BB39_32 Depth=2
	v_mov_b32_e32 v12, s33
	ds_cmpst_rtn_b32 v11, v11, v12, v5
	s_mov_b64 s[12:13], -1
	s_waitcnt lgkmcnt(0)
	v_cmp_eq_u32_e32 vcc, s33, v11
	s_and_saveexec_b64 s[14:15], vcc
	s_cbranch_execz .LBB39_38
; %bb.37:                               ;   in Loop: Header=BB39_32 Depth=2
	v_lshl_add_u32 v11, v10, 3, 0
	v_add_u32_e32 v11, 0x10000, v11
	ds_add_f64 v11, v[6:7]
	s_xor_b64 s[12:13], exec, -1
.LBB39_38:                              ;   in Loop: Header=BB39_32 Depth=2
	s_or_b64 exec, exec, s[14:15]
	s_andn2_b64 s[8:9], s[8:9], exec
	s_and_b64 s[12:13], s[12:13], exec
	s_or_b64 s[8:9], s[8:9], s[12:13]
.LBB39_39:                              ;   in Loop: Header=BB39_32 Depth=2
	s_or_b64 exec, exec, s[10:11]
	s_and_b64 s[8:9], s[8:9], exec
.LBB39_40:                              ;   in Loop: Header=BB39_32 Depth=2
	s_andn2_saveexec_b64 s[6:7], s[6:7]
	s_cbranch_execz .LBB39_31
; %bb.41:                               ;   in Loop: Header=BB39_32 Depth=2
	v_lshl_add_u32 v11, v10, 3, 0
	v_add_u32_e32 v11, 0x10000, v11
	ds_add_f64 v11, v[6:7]
	s_andn2_b64 s[8:9], s[8:9], exec
	s_branch .LBB39_31
.LBB39_42:
	s_or_b64 exec, exec, s[0:1]
.LBB39_43:
	s_add_i32 s0, 0, 0x30000
	v_writelane_b32 v24, s0, 14
	s_add_i32 s60, 0, 0x30004
	v_writelane_b32 v24, s60, 15
	;; [unrolled: 2-line block ×5, first 2 shown]
	s_add_i32 s60, 0, 0x30014
	s_waitcnt vmcnt(0)
	v_lshrrev_b32_e32 v4, 3, v0
	v_writelane_b32 v24, s60, 19
	s_add_i32 s60, 0, 0x30018
	v_mbcnt_lo_u32_b32 v2, -1, 0
	v_and_b32_e32 v4, 0x7c, v4
	v_writelane_b32 v24, s60, 20
	s_add_i32 s60, 0, 0x3001c
	v_mbcnt_hi_u32_b32 v2, -1, v2
	v_add_u32_e32 v7, s0, v4
	s_movk_i32 s0, 0x3ff
	v_writelane_b32 v24, s60, 21
	s_add_i32 s60, 0, 0x30020
	v_sub_u32_e32 v2, 63, v2
	v_cmp_eq_u32_e32 vcc, s0, v0
	s_movk_i32 s0, 0x5f
	s_movk_i32 s2, 0x7f
	;; [unrolled: 1-line block ×29, first 2 shown]
	v_writelane_b32 v24, s60, 22
	s_add_i32 s60, 0, 0x30024
	v_mov_b32_e32 v6, 0
	v_lshrrev_b64 v[2:3], v2, -1
	v_cmp_lt_u32_e64 s[0:1], s0, v0
	v_cmp_lt_u32_e64 s[2:3], s2, v0
	;; [unrolled: 1-line block ×29, first 2 shown]
	v_writelane_b32 v24, s60, 23
	s_add_i32 s88, 0, 0x30028
	s_add_i32 s89, 0, 0x3002c
	;; [unrolled: 1-line block ×22, first 2 shown]
	s_movk_i32 s85, 0x3bff
	v_cmp_lt_u32_e64 s[60:61], 31, v0
	v_cmp_lt_u32_e64 s[62:63], 63, v0
	s_mov_b64 s[68:69], 0
	s_waitcnt lgkmcnt(0)
	s_barrier
	s_branch .LBB39_45
.LBB39_44:                              ;   in Loop: Header=BB39_45 Depth=1
	s_or_b64 exec, exec, s[64:65]
	v_mov_b32_e32 v4, s84
	s_waitcnt lgkmcnt(0)
	s_barrier
	ds_read_b32 v4, v4
	v_add_u32_e32 v1, 0x400, v1
	v_cmp_lt_u32_e64 s[64:65], s85, v1
	v_add_u32_e32 v14, 0x2000, v14
	s_or_b64 s[68:69], s[64:65], s[68:69]
	s_waitcnt lgkmcnt(0)
	v_add_u32_e32 v6, v4, v6
	v_add_u32_e32 v15, 0x1000, v15
	s_andn2_b64 exec, exec, s[68:69]
	s_cbranch_execz .LBB39_111
.LBB39_45:                              ; =>This Inner Loop Header: Depth=1
	ds_read_b32 v8, v15
	ds_read_b64 v[4:5], v14
	s_waitcnt lgkmcnt(0)
	s_barrier
	v_cmp_gt_i32_e64 s[64:65], s33, v8
	v_and_b32_e32 v10, s64, v2
	s_bcnt1_i32_b64 s78, s[64:65]
	v_and_b32_e32 v9, s65, v3
	v_bcnt_u32_b32 v10, v10, 0
	v_bcnt_u32_b32 v9, v9, v10
	v_mov_b32_e32 v10, s78
	ds_write_b32 v7, v10
	s_waitcnt lgkmcnt(0)
	s_barrier
	s_and_saveexec_b64 s[78:79], s[60:61]
	s_cbranch_execnz .LBB39_78
; %bb.46:                               ;   in Loop: Header=BB39_45 Depth=1
	s_or_b64 exec, exec, s[78:79]
	s_and_saveexec_b64 s[78:79], s[62:63]
	s_cbranch_execnz .LBB39_79
.LBB39_47:                              ;   in Loop: Header=BB39_45 Depth=1
	s_or_b64 exec, exec, s[78:79]
	s_and_saveexec_b64 s[78:79], s[0:1]
	s_cbranch_execnz .LBB39_80
.LBB39_48:                              ;   in Loop: Header=BB39_45 Depth=1
	s_or_b64 exec, exec, s[78:79]
	s_and_saveexec_b64 s[78:79], s[2:3]
	s_cbranch_execnz .LBB39_81
.LBB39_49:                              ;   in Loop: Header=BB39_45 Depth=1
	s_or_b64 exec, exec, s[78:79]
	s_and_saveexec_b64 s[78:79], s[4:5]
	s_cbranch_execnz .LBB39_82
.LBB39_50:                              ;   in Loop: Header=BB39_45 Depth=1
	s_or_b64 exec, exec, s[78:79]
	s_and_saveexec_b64 s[78:79], s[6:7]
	s_cbranch_execnz .LBB39_83
.LBB39_51:                              ;   in Loop: Header=BB39_45 Depth=1
	s_or_b64 exec, exec, s[78:79]
	s_and_saveexec_b64 s[78:79], s[8:9]
	s_cbranch_execnz .LBB39_84
.LBB39_52:                              ;   in Loop: Header=BB39_45 Depth=1
	s_or_b64 exec, exec, s[78:79]
	s_and_saveexec_b64 s[78:79], s[10:11]
	s_cbranch_execnz .LBB39_85
.LBB39_53:                              ;   in Loop: Header=BB39_45 Depth=1
	s_or_b64 exec, exec, s[78:79]
	s_and_saveexec_b64 s[78:79], s[12:13]
	s_cbranch_execnz .LBB39_86
.LBB39_54:                              ;   in Loop: Header=BB39_45 Depth=1
	s_or_b64 exec, exec, s[78:79]
	s_and_saveexec_b64 s[78:79], s[14:15]
	s_cbranch_execnz .LBB39_87
.LBB39_55:                              ;   in Loop: Header=BB39_45 Depth=1
	s_or_b64 exec, exec, s[78:79]
	s_and_saveexec_b64 s[78:79], s[16:17]
	s_cbranch_execnz .LBB39_88
.LBB39_56:                              ;   in Loop: Header=BB39_45 Depth=1
	s_or_b64 exec, exec, s[78:79]
	s_and_saveexec_b64 s[78:79], s[18:19]
	s_cbranch_execnz .LBB39_89
.LBB39_57:                              ;   in Loop: Header=BB39_45 Depth=1
	s_or_b64 exec, exec, s[78:79]
	s_and_saveexec_b64 s[78:79], s[20:21]
	s_cbranch_execnz .LBB39_90
.LBB39_58:                              ;   in Loop: Header=BB39_45 Depth=1
	s_or_b64 exec, exec, s[78:79]
	s_and_saveexec_b64 s[78:79], s[22:23]
	s_cbranch_execnz .LBB39_91
.LBB39_59:                              ;   in Loop: Header=BB39_45 Depth=1
	s_or_b64 exec, exec, s[78:79]
	s_and_saveexec_b64 s[78:79], s[24:25]
	s_cbranch_execnz .LBB39_92
.LBB39_60:                              ;   in Loop: Header=BB39_45 Depth=1
	s_or_b64 exec, exec, s[78:79]
	s_and_saveexec_b64 s[78:79], s[26:27]
	s_cbranch_execnz .LBB39_93
.LBB39_61:                              ;   in Loop: Header=BB39_45 Depth=1
	s_or_b64 exec, exec, s[78:79]
	s_and_saveexec_b64 s[78:79], s[28:29]
	s_cbranch_execnz .LBB39_94
.LBB39_62:                              ;   in Loop: Header=BB39_45 Depth=1
	s_or_b64 exec, exec, s[78:79]
	s_and_saveexec_b64 s[78:79], s[30:31]
	s_cbranch_execnz .LBB39_95
.LBB39_63:                              ;   in Loop: Header=BB39_45 Depth=1
	s_or_b64 exec, exec, s[78:79]
	s_and_saveexec_b64 s[78:79], s[34:35]
	s_cbranch_execnz .LBB39_96
.LBB39_64:                              ;   in Loop: Header=BB39_45 Depth=1
	s_or_b64 exec, exec, s[78:79]
	s_and_saveexec_b64 s[78:79], s[36:37]
	s_cbranch_execnz .LBB39_97
.LBB39_65:                              ;   in Loop: Header=BB39_45 Depth=1
	s_or_b64 exec, exec, s[78:79]
	s_and_saveexec_b64 s[78:79], s[38:39]
	s_cbranch_execnz .LBB39_98
.LBB39_66:                              ;   in Loop: Header=BB39_45 Depth=1
	s_or_b64 exec, exec, s[78:79]
	s_and_saveexec_b64 s[78:79], s[40:41]
	s_cbranch_execnz .LBB39_99
.LBB39_67:                              ;   in Loop: Header=BB39_45 Depth=1
	s_or_b64 exec, exec, s[78:79]
	s_and_saveexec_b64 s[78:79], s[42:43]
	s_cbranch_execnz .LBB39_100
.LBB39_68:                              ;   in Loop: Header=BB39_45 Depth=1
	s_or_b64 exec, exec, s[78:79]
	s_and_saveexec_b64 s[78:79], s[44:45]
	s_cbranch_execnz .LBB39_101
.LBB39_69:                              ;   in Loop: Header=BB39_45 Depth=1
	s_or_b64 exec, exec, s[78:79]
	s_and_saveexec_b64 s[78:79], s[46:47]
	s_cbranch_execnz .LBB39_102
.LBB39_70:                              ;   in Loop: Header=BB39_45 Depth=1
	s_or_b64 exec, exec, s[78:79]
	s_and_saveexec_b64 s[78:79], s[48:49]
	s_cbranch_execnz .LBB39_103
.LBB39_71:                              ;   in Loop: Header=BB39_45 Depth=1
	s_or_b64 exec, exec, s[78:79]
	s_and_saveexec_b64 s[78:79], s[50:51]
	s_cbranch_execnz .LBB39_104
.LBB39_72:                              ;   in Loop: Header=BB39_45 Depth=1
	s_or_b64 exec, exec, s[78:79]
	s_and_saveexec_b64 s[78:79], s[52:53]
	s_cbranch_execnz .LBB39_105
.LBB39_73:                              ;   in Loop: Header=BB39_45 Depth=1
	s_or_b64 exec, exec, s[78:79]
	s_and_saveexec_b64 s[78:79], s[54:55]
	s_cbranch_execnz .LBB39_106
.LBB39_74:                              ;   in Loop: Header=BB39_45 Depth=1
	s_or_b64 exec, exec, s[78:79]
	s_and_saveexec_b64 s[78:79], s[56:57]
	s_cbranch_execnz .LBB39_107
.LBB39_75:                              ;   in Loop: Header=BB39_45 Depth=1
	s_or_b64 exec, exec, s[78:79]
	s_and_saveexec_b64 s[78:79], s[58:59]
	s_cbranch_execnz .LBB39_108
.LBB39_76:                              ;   in Loop: Header=BB39_45 Depth=1
	s_or_b64 exec, exec, s[78:79]
	s_and_saveexec_b64 s[78:79], s[64:65]
	s_cbranch_execnz .LBB39_109
.LBB39_77:                              ;   in Loop: Header=BB39_45 Depth=1
	s_or_b64 exec, exec, s[78:79]
	s_and_saveexec_b64 s[64:65], vcc
	s_cbranch_execz .LBB39_44
	s_branch .LBB39_110
.LBB39_78:                              ;   in Loop: Header=BB39_45 Depth=1
	v_readlane_b32 s86, v24, 14
	v_mov_b32_e32 v10, s86
	ds_read_b32 v10, v10
	s_waitcnt lgkmcnt(0)
	v_add_u32_e32 v9, v10, v9
	s_or_b64 exec, exec, s[78:79]
	s_and_saveexec_b64 s[78:79], s[62:63]
	s_cbranch_execz .LBB39_47
.LBB39_79:                              ;   in Loop: Header=BB39_45 Depth=1
	v_readlane_b32 s86, v24, 15
	v_mov_b32_e32 v10, s86
	ds_read_b32 v10, v10
	s_waitcnt lgkmcnt(0)
	v_add_u32_e32 v9, v10, v9
	s_or_b64 exec, exec, s[78:79]
	s_and_saveexec_b64 s[78:79], s[0:1]
	s_cbranch_execz .LBB39_48
.LBB39_80:                              ;   in Loop: Header=BB39_45 Depth=1
	v_readlane_b32 s86, v24, 16
	v_mov_b32_e32 v10, s86
	ds_read_b32 v10, v10
	s_waitcnt lgkmcnt(0)
	v_add_u32_e32 v9, v10, v9
	s_or_b64 exec, exec, s[78:79]
	s_and_saveexec_b64 s[78:79], s[2:3]
	s_cbranch_execz .LBB39_49
.LBB39_81:                              ;   in Loop: Header=BB39_45 Depth=1
	v_readlane_b32 s86, v24, 17
	v_mov_b32_e32 v10, s86
	ds_read_b32 v10, v10
	s_waitcnt lgkmcnt(0)
	v_add_u32_e32 v9, v10, v9
	s_or_b64 exec, exec, s[78:79]
	s_and_saveexec_b64 s[78:79], s[4:5]
	s_cbranch_execz .LBB39_50
.LBB39_82:                              ;   in Loop: Header=BB39_45 Depth=1
	v_readlane_b32 s86, v24, 18
	v_mov_b32_e32 v10, s86
	ds_read_b32 v10, v10
	s_waitcnt lgkmcnt(0)
	v_add_u32_e32 v9, v10, v9
	s_or_b64 exec, exec, s[78:79]
	s_and_saveexec_b64 s[78:79], s[6:7]
	s_cbranch_execz .LBB39_51
.LBB39_83:                              ;   in Loop: Header=BB39_45 Depth=1
	v_readlane_b32 s86, v24, 19
	v_mov_b32_e32 v10, s86
	ds_read_b32 v10, v10
	s_waitcnt lgkmcnt(0)
	v_add_u32_e32 v9, v10, v9
	s_or_b64 exec, exec, s[78:79]
	s_and_saveexec_b64 s[78:79], s[8:9]
	s_cbranch_execz .LBB39_52
.LBB39_84:                              ;   in Loop: Header=BB39_45 Depth=1
	v_readlane_b32 s86, v24, 20
	v_mov_b32_e32 v10, s86
	ds_read_b32 v10, v10
	s_waitcnt lgkmcnt(0)
	v_add_u32_e32 v9, v10, v9
	s_or_b64 exec, exec, s[78:79]
	s_and_saveexec_b64 s[78:79], s[10:11]
	s_cbranch_execz .LBB39_53
.LBB39_85:                              ;   in Loop: Header=BB39_45 Depth=1
	v_readlane_b32 s86, v24, 21
	v_mov_b32_e32 v10, s86
	ds_read_b32 v10, v10
	s_waitcnt lgkmcnt(0)
	v_add_u32_e32 v9, v10, v9
	s_or_b64 exec, exec, s[78:79]
	s_and_saveexec_b64 s[78:79], s[12:13]
	s_cbranch_execz .LBB39_54
.LBB39_86:                              ;   in Loop: Header=BB39_45 Depth=1
	v_readlane_b32 s86, v24, 22
	v_mov_b32_e32 v10, s86
	ds_read_b32 v10, v10
	s_waitcnt lgkmcnt(0)
	v_add_u32_e32 v9, v10, v9
	s_or_b64 exec, exec, s[78:79]
	s_and_saveexec_b64 s[78:79], s[14:15]
	s_cbranch_execz .LBB39_55
.LBB39_87:                              ;   in Loop: Header=BB39_45 Depth=1
	v_readlane_b32 s86, v24, 23
	v_mov_b32_e32 v10, s86
	ds_read_b32 v10, v10
	s_waitcnt lgkmcnt(0)
	v_add_u32_e32 v9, v10, v9
	s_or_b64 exec, exec, s[78:79]
	s_and_saveexec_b64 s[78:79], s[16:17]
	s_cbranch_execz .LBB39_56
.LBB39_88:                              ;   in Loop: Header=BB39_45 Depth=1
	v_mov_b32_e32 v10, s88
	ds_read_b32 v10, v10
	s_waitcnt lgkmcnt(0)
	v_add_u32_e32 v9, v10, v9
	s_or_b64 exec, exec, s[78:79]
	s_and_saveexec_b64 s[78:79], s[18:19]
	s_cbranch_execz .LBB39_57
.LBB39_89:                              ;   in Loop: Header=BB39_45 Depth=1
	v_mov_b32_e32 v10, s89
	ds_read_b32 v10, v10
	s_waitcnt lgkmcnt(0)
	v_add_u32_e32 v9, v10, v9
	s_or_b64 exec, exec, s[78:79]
	s_and_saveexec_b64 s[78:79], s[20:21]
	s_cbranch_execz .LBB39_58
.LBB39_90:                              ;   in Loop: Header=BB39_45 Depth=1
	v_mov_b32_e32 v10, s90
	ds_read_b32 v10, v10
	s_waitcnt lgkmcnt(0)
	v_add_u32_e32 v9, v10, v9
	s_or_b64 exec, exec, s[78:79]
	s_and_saveexec_b64 s[78:79], s[22:23]
	s_cbranch_execz .LBB39_59
.LBB39_91:                              ;   in Loop: Header=BB39_45 Depth=1
	v_mov_b32_e32 v10, s91
	ds_read_b32 v10, v10
	s_waitcnt lgkmcnt(0)
	v_add_u32_e32 v9, v10, v9
	s_or_b64 exec, exec, s[78:79]
	s_and_saveexec_b64 s[78:79], s[24:25]
	s_cbranch_execz .LBB39_60
.LBB39_92:                              ;   in Loop: Header=BB39_45 Depth=1
	v_mov_b32_e32 v10, s92
	ds_read_b32 v10, v10
	s_waitcnt lgkmcnt(0)
	v_add_u32_e32 v9, v10, v9
	s_or_b64 exec, exec, s[78:79]
	s_and_saveexec_b64 s[78:79], s[26:27]
	s_cbranch_execz .LBB39_61
.LBB39_93:                              ;   in Loop: Header=BB39_45 Depth=1
	v_mov_b32_e32 v10, s93
	ds_read_b32 v10, v10
	s_waitcnt lgkmcnt(0)
	v_add_u32_e32 v9, v10, v9
	s_or_b64 exec, exec, s[78:79]
	s_and_saveexec_b64 s[78:79], s[28:29]
	s_cbranch_execz .LBB39_62
.LBB39_94:                              ;   in Loop: Header=BB39_45 Depth=1
	v_mov_b32_e32 v10, s94
	ds_read_b32 v10, v10
	s_waitcnt lgkmcnt(0)
	v_add_u32_e32 v9, v10, v9
	s_or_b64 exec, exec, s[78:79]
	s_and_saveexec_b64 s[78:79], s[30:31]
	s_cbranch_execz .LBB39_63
.LBB39_95:                              ;   in Loop: Header=BB39_45 Depth=1
	v_mov_b32_e32 v10, s95
	ds_read_b32 v10, v10
	s_waitcnt lgkmcnt(0)
	v_add_u32_e32 v9, v10, v9
	s_or_b64 exec, exec, s[78:79]
	s_and_saveexec_b64 s[78:79], s[34:35]
	s_cbranch_execz .LBB39_64
.LBB39_96:                              ;   in Loop: Header=BB39_45 Depth=1
	v_mov_b32_e32 v10, s76
	ds_read_b32 v10, v10
	s_waitcnt lgkmcnt(0)
	v_add_u32_e32 v9, v10, v9
	s_or_b64 exec, exec, s[78:79]
	s_and_saveexec_b64 s[78:79], s[36:37]
	s_cbranch_execz .LBB39_65
.LBB39_97:                              ;   in Loop: Header=BB39_45 Depth=1
	v_mov_b32_e32 v10, s66
	ds_read_b32 v10, v10
	s_waitcnt lgkmcnt(0)
	v_add_u32_e32 v9, v10, v9
	s_or_b64 exec, exec, s[78:79]
	s_and_saveexec_b64 s[78:79], s[38:39]
	s_cbranch_execz .LBB39_66
.LBB39_98:                              ;   in Loop: Header=BB39_45 Depth=1
	v_mov_b32_e32 v10, s67
	ds_read_b32 v10, v10
	s_waitcnt lgkmcnt(0)
	v_add_u32_e32 v9, v10, v9
	s_or_b64 exec, exec, s[78:79]
	s_and_saveexec_b64 s[78:79], s[40:41]
	s_cbranch_execz .LBB39_67
.LBB39_99:                              ;   in Loop: Header=BB39_45 Depth=1
	v_mov_b32_e32 v10, s72
	ds_read_b32 v10, v10
	s_waitcnt lgkmcnt(0)
	v_add_u32_e32 v9, v10, v9
	s_or_b64 exec, exec, s[78:79]
	s_and_saveexec_b64 s[78:79], s[42:43]
	s_cbranch_execz .LBB39_68
.LBB39_100:                             ;   in Loop: Header=BB39_45 Depth=1
	v_mov_b32_e32 v10, s73
	ds_read_b32 v10, v10
	s_waitcnt lgkmcnt(0)
	v_add_u32_e32 v9, v10, v9
	s_or_b64 exec, exec, s[78:79]
	s_and_saveexec_b64 s[78:79], s[44:45]
	s_cbranch_execz .LBB39_69
.LBB39_101:                             ;   in Loop: Header=BB39_45 Depth=1
	v_mov_b32_e32 v10, s74
	ds_read_b32 v10, v10
	s_waitcnt lgkmcnt(0)
	v_add_u32_e32 v9, v10, v9
	s_or_b64 exec, exec, s[78:79]
	s_and_saveexec_b64 s[78:79], s[46:47]
	s_cbranch_execz .LBB39_70
.LBB39_102:                             ;   in Loop: Header=BB39_45 Depth=1
	v_mov_b32_e32 v10, s75
	ds_read_b32 v10, v10
	s_waitcnt lgkmcnt(0)
	v_add_u32_e32 v9, v10, v9
	s_or_b64 exec, exec, s[78:79]
	s_and_saveexec_b64 s[78:79], s[48:49]
	s_cbranch_execz .LBB39_71
.LBB39_103:                             ;   in Loop: Header=BB39_45 Depth=1
	v_mov_b32_e32 v10, s71
	ds_read_b32 v10, v10
	s_waitcnt lgkmcnt(0)
	v_add_u32_e32 v9, v10, v9
	s_or_b64 exec, exec, s[78:79]
	s_and_saveexec_b64 s[78:79], s[50:51]
	s_cbranch_execz .LBB39_72
.LBB39_104:                             ;   in Loop: Header=BB39_45 Depth=1
	v_mov_b32_e32 v10, s77
	ds_read_b32 v10, v10
	s_waitcnt lgkmcnt(0)
	v_add_u32_e32 v9, v10, v9
	s_or_b64 exec, exec, s[78:79]
	s_and_saveexec_b64 s[78:79], s[52:53]
	s_cbranch_execz .LBB39_73
.LBB39_105:                             ;   in Loop: Header=BB39_45 Depth=1
	v_mov_b32_e32 v10, s80
	ds_read_b32 v10, v10
	s_waitcnt lgkmcnt(0)
	v_add_u32_e32 v9, v10, v9
	s_or_b64 exec, exec, s[78:79]
	s_and_saveexec_b64 s[78:79], s[54:55]
	s_cbranch_execz .LBB39_74
.LBB39_106:                             ;   in Loop: Header=BB39_45 Depth=1
	v_mov_b32_e32 v10, s81
	ds_read_b32 v10, v10
	s_waitcnt lgkmcnt(0)
	v_add_u32_e32 v9, v10, v9
	s_or_b64 exec, exec, s[78:79]
	s_and_saveexec_b64 s[78:79], s[56:57]
	s_cbranch_execz .LBB39_75
.LBB39_107:                             ;   in Loop: Header=BB39_45 Depth=1
	v_mov_b32_e32 v10, s82
	ds_read_b32 v10, v10
	s_waitcnt lgkmcnt(0)
	v_add_u32_e32 v9, v10, v9
	s_or_b64 exec, exec, s[78:79]
	s_and_saveexec_b64 s[78:79], s[58:59]
	s_cbranch_execz .LBB39_76
.LBB39_108:                             ;   in Loop: Header=BB39_45 Depth=1
	v_mov_b32_e32 v10, s83
	ds_read_b32 v10, v10
	s_waitcnt lgkmcnt(0)
	v_add_u32_e32 v9, v10, v9
	s_or_b64 exec, exec, s[78:79]
	s_and_saveexec_b64 s[78:79], s[64:65]
	s_cbranch_execz .LBB39_77
.LBB39_109:                             ;   in Loop: Header=BB39_45 Depth=1
	v_add3_u32 v10, v6, -1, v9
	v_lshl_add_u32 v11, v10, 2, 0
	v_lshl_add_u32 v10, v10, 3, 0
	v_add_u32_e32 v10, 0x10000, v10
	ds_write_b32 v11, v8
	ds_write_b64 v10, v[4:5]
	s_or_b64 exec, exec, s[78:79]
	s_and_saveexec_b64 s[64:65], vcc
	s_cbranch_execz .LBB39_44
.LBB39_110:                             ;   in Loop: Header=BB39_45 Depth=1
	v_mov_b32_e32 v4, s84
	ds_write_b32 v4, v9
	s_branch .LBB39_44
.LBB39_111:
	s_or_b64 exec, exec, s[68:69]
	v_readlane_b32 s0, v24, 12
	v_readlane_b32 s1, v24, 13
	;; [unrolled: 1-line block ×3, first 2 shown]
	s_ashr_i32 s1, s0, 31
	v_readlane_b32 s6, v24, 6
	v_readlane_b32 s7, v24, 7
	;; [unrolled: 1-line block ×4, first 2 shown]
	s_lshl_b64 s[0:1], s[0:1], 2
	s_mov_b64 s[6:7], s[10:11]
	s_add_u32 s0, s6, s0
	s_addc_u32 s1, s7, s1
	s_load_dwordx2 s[0:1], s[0:1], 0x0
	v_readlane_b32 s5, v24, 5
	v_readlane_b32 s8, v24, 8
	v_readlane_b32 s9, v24, 9
	s_waitcnt lgkmcnt(0)
	s_sub_i32 s14, s1, s0
	v_cmp_gt_i32_e32 vcc, s14, v0
	s_and_saveexec_b64 s[2:3], vcc
	s_cbranch_execz .LBB39_126
; %bb.112:
	s_sub_i32 s6, s0, s70
	s_add_i32 s0, s14, -2
	s_lshr_b32 s1, s0, 1
	s_add_i32 s2, s1, 1
	s_cmp_gt_u32 s14, 1
	s_cselect_b64 s[8:9], -1, 0
	s_and_b32 s15, s14, -2
	s_and_b32 s4, s2, 7
	s_cmp_gt_u32 s0, 13
	s_cselect_b64 s[0:1], -1, 0
	s_and_b32 s16, s2, -8
	s_cmp_lg_u32 s4, 0
	s_cselect_b64 s[2:3], -1, 0
	v_cndmask_b32_e64 v1, 0, 1, s[0:1]
	v_readlane_b32 s20, v24, 0
	s_cmp_lg_u32 s14, s15
	v_cmp_ne_u32_e64 s[0:1], 1, v1
	v_cndmask_b32_e64 v1, 0, 1, s[2:3]
	v_readlane_b32 s21, v24, 1
	v_readlane_b32 s23, v24, 3
	s_mov_b32 s7, 0
	s_cselect_b64 s[10:11], -1, 0
	s_lshl_b32 s17, s4, 3
	s_mov_b64 s[12:13], 0
	v_cmp_ne_u32_e64 s[2:3], 1, v1
	v_mov_b32_e32 v1, s21
	v_mov_b32_e32 v6, s23
	v_readlane_b32 s22, v24, 2
	s_branch .LBB39_114
.LBB39_113:                             ;   in Loop: Header=BB39_114 Depth=1
	v_ashrrev_i32_e32 v5, 31, v4
	v_lshlrev_b64 v[8:9], 2, v[4:5]
	v_readlane_b32 s20, v24, 0
	v_add_co_u32_e32 v8, vcc, s20, v8
	v_readlane_b32 s22, v24, 2
	v_addc_co_u32_e32 v9, vcc, v1, v9, vcc
	v_lshlrev_b64 v[4:5], 3, v[4:5]
	v_add_co_u32_e32 v4, vcc, s22, v4
	v_addc_co_u32_e32 v5, vcc, v6, v5, vcc
	v_add_u32_e32 v0, 0x400, v0
	v_cmp_le_i32_e32 vcc, s14, v0
	s_waitcnt lgkmcnt(1)
	v_add_u32_e32 v7, s70, v7
	s_or_b64 s[12:13], vcc, s[12:13]
	v_readlane_b32 s21, v24, 1
	v_readlane_b32 s23, v24, 3
	global_store_dword v[8:9], v7, off
	s_waitcnt lgkmcnt(0)
	global_store_dwordx2 v[4:5], v[2:3], off
	s_andn2_b64 exec, exec, s[12:13]
	s_cbranch_execz .LBB39_126
.LBB39_114:                             ; =>This Loop Header: Depth=1
                                        ;     Child Loop BB39_117 Depth 2
                                        ;     Child Loop BB39_122 Depth 2
	;; [unrolled: 1-line block ×3, first 2 shown]
	v_lshl_add_u32 v3, v0, 3, 0
	v_lshl_add_u32 v2, v0, 2, 0
	v_add_u32_e32 v3, 0x10000, v3
	ds_read_b32 v7, v2
	ds_read_b64 v[2:3], v3
	s_and_b64 vcc, exec, s[8:9]
	s_cbranch_vccz .LBB39_119
; %bb.115:                              ;   in Loop: Header=BB39_114 Depth=1
	s_and_b64 vcc, exec, s[0:1]
	s_cbranch_vccnz .LBB39_120
; %bb.116:                              ;   in Loop: Header=BB39_114 Depth=1
	s_mov_b32 s19, 0
	v_mov_b32_e32 v4, s6
	v_mov_b32_e32 v5, 0
	s_mov_b32 s20, s16
	s_mov_b32 s18, 0
.LBB39_117:                             ;   Parent Loop BB39_114 Depth=1
                                        ; =>  This Inner Loop Header: Depth=2
	v_mov_b32_e32 v22, s19
	ds_read2_b32 v[8:9], v22 offset1:1
	ds_read2_b32 v[10:11], v22 offset0:2 offset1:3
	ds_read2_b32 v[12:13], v22 offset0:4 offset1:5
	;; [unrolled: 1-line block ×7, first 2 shown]
	s_waitcnt lgkmcnt(7)
	v_cmp_gt_i32_e32 vcc, v7, v9
	v_cndmask_b32_e64 v9, 0, 1, vcc
	v_cmp_gt_i32_e32 vcc, v7, v8
	s_waitcnt lgkmcnt(5)
	v_cmp_gt_i32_e64 s[4:5], v7, v12
	v_cndmask_b32_e64 v8, 0, 1, vcc
	v_cmp_gt_i32_e32 vcc, v7, v11
	v_cndmask_b32_e64 v11, 0, 1, s[4:5]
	v_cmp_gt_i32_e64 s[4:5], v7, v13
	v_cndmask_b32_e64 v12, 0, 1, s[4:5]
	s_waitcnt lgkmcnt(3)
	v_cmp_gt_i32_e64 s[4:5], v7, v17
	v_cndmask_b32_e64 v13, 0, 1, s[4:5]
	v_cmp_gt_i32_e64 s[4:5], v7, v16
	v_cndmask_b32_e64 v16, 0, 1, s[4:5]
	s_waitcnt lgkmcnt(1)
	v_cmp_gt_i32_e64 s[4:5], v7, v20
	v_cndmask_b32_e64 v17, 0, 1, s[4:5]
	v_cmp_gt_i32_e64 s[4:5], v7, v21
	v_cndmask_b32_e64 v20, 0, 1, s[4:5]
	v_cmp_gt_i32_e64 s[4:5], v7, v10
	v_addc_co_u32_e64 v4, s[4:5], v4, v8, s[4:5]
	v_addc_co_u32_e32 v5, vcc, v5, v9, vcc
	v_cmp_gt_i32_e32 vcc, v7, v14
	v_cmp_gt_i32_e64 s[4:5], v7, v15
	v_addc_co_u32_e64 v5, s[4:5], v5, v12, s[4:5]
	v_addc_co_u32_e32 v4, vcc, v4, v11, vcc
	v_cmp_gt_i32_e32 vcc, v7, v19
	v_cmp_gt_i32_e64 s[4:5], v7, v18
	v_addc_co_u32_e64 v4, s[4:5], v4, v16, s[4:5]
	v_addc_co_u32_e32 v5, vcc, v5, v13, vcc
	s_add_i32 s18, s18, 16
	s_add_i32 s19, s19, 64
	s_add_i32 s20, s20, -8
	s_waitcnt lgkmcnt(0)
	v_cmp_gt_i32_e32 vcc, v7, v22
	v_cmp_gt_i32_e64 s[4:5], v7, v23
	s_cmp_lg_u32 s20, 0
	v_addc_co_u32_e64 v5, s[4:5], v5, v20, s[4:5]
	v_addc_co_u32_e32 v4, vcc, v4, v17, vcc
	s_cbranch_scc1 .LBB39_117
; %bb.118:                              ;   in Loop: Header=BB39_114 Depth=1
	s_and_b64 vcc, exec, s[2:3]
	s_cbranch_vccz .LBB39_121
	s_branch .LBB39_123
.LBB39_119:                             ;   in Loop: Header=BB39_114 Depth=1
	v_mov_b32_e32 v4, s6
	s_mov_b32 s18, 0
	s_cbranch_execz .LBB39_113
	s_branch .LBB39_124
.LBB39_120:                             ;   in Loop: Header=BB39_114 Depth=1
	v_pk_mov_b32 v[4:5], s[6:7], s[6:7] op_sel:[0,1]
	s_mov_b32 s18, 0
	s_and_b64 vcc, exec, s[2:3]
	s_cbranch_vccnz .LBB39_123
.LBB39_121:                             ;   in Loop: Header=BB39_114 Depth=1
	s_lshl_b32 s4, s18, 2
	s_add_i32 s4, s4, 0
	s_mov_b32 s5, s17
.LBB39_122:                             ;   Parent Loop BB39_114 Depth=1
                                        ; =>  This Inner Loop Header: Depth=2
	v_mov_b32_e32 v8, s4
	ds_read2_b32 v[8:9], v8 offset1:1
	s_add_i32 s4, s4, 8
	s_add_i32 s5, s5, -8
	s_cmp_lg_u32 s5, 0
	s_waitcnt lgkmcnt(0)
	v_cmp_gt_i32_e32 vcc, v7, v9
	v_addc_co_u32_e32 v5, vcc, 0, v5, vcc
	v_cmp_gt_i32_e32 vcc, v7, v8
	v_addc_co_u32_e32 v4, vcc, 0, v4, vcc
	s_cbranch_scc1 .LBB39_122
.LBB39_123:                             ;   in Loop: Header=BB39_114 Depth=1
	v_add_u32_e32 v4, v4, v5
	s_mov_b32 s18, s15
	s_mov_b64 s[4:5], s[10:11]
	s_and_b64 vcc, exec, s[4:5]
	s_cbranch_vccz .LBB39_113
.LBB39_124:                             ;   in Loop: Header=BB39_114 Depth=1
	s_lshl_b32 s4, s18, 2
	s_add_i32 s4, s4, 0
.LBB39_125:                             ;   Parent Loop BB39_114 Depth=1
                                        ; =>  This Inner Loop Header: Depth=2
	v_mov_b32_e32 v5, s4
	ds_read_b32 v5, v5
	s_add_i32 s18, s18, 1
	s_add_i32 s4, s4, 4
	s_cmp_ge_i32 s18, s14
	s_waitcnt lgkmcnt(0)
	v_cmp_gt_i32_e32 vcc, v7, v5
	v_addc_co_u32_e32 v4, vcc, 0, v4, vcc
	s_cbranch_scc0 .LBB39_125
	s_branch .LBB39_113
.LBB39_126:
	s_endpgm
	.section	.rodata,"a",@progbits
	.p2align	6, 0x0
	.amdhsa_kernel _ZN9rocsparseL26csrgemm_fill_block_per_rowILj1024ELj64ELj16384ELj137ELj32EiidEEvT5_PKS1_S3_NS_24const_host_device_scalarIT6_EEPKT4_S3_PKS5_S9_S3_SB_S6_S9_S3_SB_S9_PS1_PS5_21rocsparse_index_base_SE_SE_SE_bbb
		.amdhsa_group_segment_fixed_size 0
		.amdhsa_private_segment_fixed_size 0
		.amdhsa_kernarg_size 156
		.amdhsa_user_sgpr_count 6
		.amdhsa_user_sgpr_private_segment_buffer 1
		.amdhsa_user_sgpr_dispatch_ptr 0
		.amdhsa_user_sgpr_queue_ptr 0
		.amdhsa_user_sgpr_kernarg_segment_ptr 1
		.amdhsa_user_sgpr_dispatch_id 0
		.amdhsa_user_sgpr_flat_scratch_init 0
		.amdhsa_user_sgpr_kernarg_preload_length 0
		.amdhsa_user_sgpr_kernarg_preload_offset 0
		.amdhsa_user_sgpr_private_segment_size 0
		.amdhsa_uses_dynamic_stack 0
		.amdhsa_system_sgpr_private_segment_wavefront_offset 0
		.amdhsa_system_sgpr_workgroup_id_x 1
		.amdhsa_system_sgpr_workgroup_id_y 0
		.amdhsa_system_sgpr_workgroup_id_z 0
		.amdhsa_system_sgpr_workgroup_info 0
		.amdhsa_system_vgpr_workitem_id 0
		.amdhsa_next_free_vgpr 25
		.amdhsa_next_free_sgpr 96
		.amdhsa_accum_offset 28
		.amdhsa_reserve_vcc 1
		.amdhsa_reserve_flat_scratch 0
		.amdhsa_float_round_mode_32 0
		.amdhsa_float_round_mode_16_64 0
		.amdhsa_float_denorm_mode_32 3
		.amdhsa_float_denorm_mode_16_64 3
		.amdhsa_dx10_clamp 1
		.amdhsa_ieee_mode 1
		.amdhsa_fp16_overflow 0
		.amdhsa_tg_split 0
		.amdhsa_exception_fp_ieee_invalid_op 0
		.amdhsa_exception_fp_denorm_src 0
		.amdhsa_exception_fp_ieee_div_zero 0
		.amdhsa_exception_fp_ieee_overflow 0
		.amdhsa_exception_fp_ieee_underflow 0
		.amdhsa_exception_fp_ieee_inexact 0
		.amdhsa_exception_int_div_zero 0
	.end_amdhsa_kernel
	.section	.text._ZN9rocsparseL26csrgemm_fill_block_per_rowILj1024ELj64ELj16384ELj137ELj32EiidEEvT5_PKS1_S3_NS_24const_host_device_scalarIT6_EEPKT4_S3_PKS5_S9_S3_SB_S6_S9_S3_SB_S9_PS1_PS5_21rocsparse_index_base_SE_SE_SE_bbb,"axG",@progbits,_ZN9rocsparseL26csrgemm_fill_block_per_rowILj1024ELj64ELj16384ELj137ELj32EiidEEvT5_PKS1_S3_NS_24const_host_device_scalarIT6_EEPKT4_S3_PKS5_S9_S3_SB_S6_S9_S3_SB_S9_PS1_PS5_21rocsparse_index_base_SE_SE_SE_bbb,comdat
.Lfunc_end39:
	.size	_ZN9rocsparseL26csrgemm_fill_block_per_rowILj1024ELj64ELj16384ELj137ELj32EiidEEvT5_PKS1_S3_NS_24const_host_device_scalarIT6_EEPKT4_S3_PKS5_S9_S3_SB_S6_S9_S3_SB_S9_PS1_PS5_21rocsparse_index_base_SE_SE_SE_bbb, .Lfunc_end39-_ZN9rocsparseL26csrgemm_fill_block_per_rowILj1024ELj64ELj16384ELj137ELj32EiidEEvT5_PKS1_S3_NS_24const_host_device_scalarIT6_EEPKT4_S3_PKS5_S9_S3_SB_S6_S9_S3_SB_S9_PS1_PS5_21rocsparse_index_base_SE_SE_SE_bbb
                                        ; -- End function
	.section	.AMDGPU.csdata,"",@progbits
; Kernel info:
; codeLenInByte = 5276
; NumSgprs: 100
; NumVgprs: 25
; NumAgprs: 0
; TotalNumVgprs: 25
; ScratchSize: 0
; MemoryBound: 0
; FloatMode: 240
; IeeeMode: 1
; LDSByteSize: 0 bytes/workgroup (compile time only)
; SGPRBlocks: 12
; VGPRBlocks: 3
; NumSGPRsForWavesPerEU: 100
; NumVGPRsForWavesPerEU: 25
; AccumOffset: 28
; Occupancy: 8
; WaveLimiterHint : 1
; COMPUTE_PGM_RSRC2:SCRATCH_EN: 0
; COMPUTE_PGM_RSRC2:USER_SGPR: 6
; COMPUTE_PGM_RSRC2:TRAP_HANDLER: 0
; COMPUTE_PGM_RSRC2:TGID_X_EN: 1
; COMPUTE_PGM_RSRC2:TGID_Y_EN: 0
; COMPUTE_PGM_RSRC2:TGID_Z_EN: 0
; COMPUTE_PGM_RSRC2:TIDIG_COMP_CNT: 0
; COMPUTE_PGM_RSRC3_GFX90A:ACCUM_OFFSET: 6
; COMPUTE_PGM_RSRC3_GFX90A:TG_SPLIT: 0
	.section	.text._ZN9rocsparseL26csrgemm_fill_block_per_rowILj1024ELj64ELj16384ELj137ELj64EiidEEvT5_PKS1_S3_NS_24const_host_device_scalarIT6_EEPKT4_S3_PKS5_S9_S3_SB_S6_S9_S3_SB_S9_PS1_PS5_21rocsparse_index_base_SE_SE_SE_bbb,"axG",@progbits,_ZN9rocsparseL26csrgemm_fill_block_per_rowILj1024ELj64ELj16384ELj137ELj64EiidEEvT5_PKS1_S3_NS_24const_host_device_scalarIT6_EEPKT4_S3_PKS5_S9_S3_SB_S6_S9_S3_SB_S9_PS1_PS5_21rocsparse_index_base_SE_SE_SE_bbb,comdat
	.globl	_ZN9rocsparseL26csrgemm_fill_block_per_rowILj1024ELj64ELj16384ELj137ELj64EiidEEvT5_PKS1_S3_NS_24const_host_device_scalarIT6_EEPKT4_S3_PKS5_S9_S3_SB_S6_S9_S3_SB_S9_PS1_PS5_21rocsparse_index_base_SE_SE_SE_bbb ; -- Begin function _ZN9rocsparseL26csrgemm_fill_block_per_rowILj1024ELj64ELj16384ELj137ELj64EiidEEvT5_PKS1_S3_NS_24const_host_device_scalarIT6_EEPKT4_S3_PKS5_S9_S3_SB_S6_S9_S3_SB_S9_PS1_PS5_21rocsparse_index_base_SE_SE_SE_bbb
	.p2align	8
	.type	_ZN9rocsparseL26csrgemm_fill_block_per_rowILj1024ELj64ELj16384ELj137ELj64EiidEEvT5_PKS1_S3_NS_24const_host_device_scalarIT6_EEPKT4_S3_PKS5_S9_S3_SB_S6_S9_S3_SB_S9_PS1_PS5_21rocsparse_index_base_SE_SE_SE_bbb,@function
_ZN9rocsparseL26csrgemm_fill_block_per_rowILj1024ELj64ELj16384ELj137ELj64EiidEEvT5_PKS1_S3_NS_24const_host_device_scalarIT6_EEPKT4_S3_PKS5_S9_S3_SB_S6_S9_S3_SB_S9_PS1_PS5_21rocsparse_index_base_SE_SE_SE_bbb: ; @_ZN9rocsparseL26csrgemm_fill_block_per_rowILj1024ELj64ELj16384ELj137ELj64EiidEEvT5_PKS1_S3_NS_24const_host_device_scalarIT6_EEPKT4_S3_PKS5_S9_S3_SB_S6_S9_S3_SB_S9_PS1_PS5_21rocsparse_index_base_SE_SE_SE_bbb
; %bb.0:
	s_load_dword s7, s[4:5], 0x98
	s_load_dwordx4 s[44:47], s[4:5], 0x88
	s_load_dwordx2 s[0:1], s[4:5], 0x18
	s_load_dwordx2 s[24:25], s[4:5], 0x50
	s_waitcnt lgkmcnt(0)
	s_and_b32 s2, 1, s7
	s_bitcmp1_b32 s7, 16
	s_cselect_b64 s[26:27], -1, 0
	s_cmp_eq_u32 s2, 1
	s_cselect_b64 s[22:23], -1, 0
	s_and_b64 s[2:3], s[22:23], exec
	s_cselect_b32 s3, s1, 0
	s_cselect_b32 s2, s0, 0
	s_xor_b64 s[8:9], s[22:23], -1
	s_or_b64 s[8:9], s[8:9], s[26:27]
	s_and_b64 vcc, exec, s[8:9]
	v_pk_mov_b32 v[4:5], s[2:3], s[2:3] op_sel:[0,1]
	s_cbranch_vccnz .LBB40_2
; %bb.1:
	v_pk_mov_b32 v[2:3], s[0:1], s[0:1] op_sel:[0,1]
	flat_load_dwordx2 v[4:5], v[2:3]
.LBB40_2:
	s_load_dwordx4 s[48:51], s[4:5], 0x78
	s_load_dwordx8 s[36:43], s[4:5], 0x58
	s_load_dwordx4 s[0:3], s[4:5], 0x40
	s_load_dwordx4 s[16:19], s[4:5], 0x8
	s_load_dwordx8 s[8:15], s[4:5], 0x20
	s_bitcmp1_b32 s7, 8
	s_cselect_b64 s[20:21], -1, 0
	s_and_b64 s[28:29], s[20:21], exec
	s_cselect_b32 s29, s25, 0
	s_cselect_b32 s28, s24, 0
	s_xor_b64 s[30:31], s[20:21], -1
	s_or_b64 s[26:27], s[30:31], s[26:27]
	s_and_b64 vcc, exec, s[26:27]
	v_pk_mov_b32 v[2:3], s[28:29], s[28:29] op_sel:[0,1]
	s_cbranch_vccnz .LBB40_4
; %bb.3:
	v_pk_mov_b32 v[2:3], s[24:25], s[24:25] op_sel:[0,1]
	flat_load_dwordx2 v[2:3], v[2:3]
.LBB40_4:
	s_load_dword s33, s[4:5], 0x0
	v_lshl_add_u32 v7, v0, 3, 0
	v_or_b32_e32 v1, 0xfffffc00, v0
	v_mov_b32_e32 v6, 0
	v_add_u32_e32 v14, 0x10000, v7
	v_lshl_add_u32 v15, v0, 2, 0
	s_mov_b64 s[4:5], 0
	s_waitcnt lgkmcnt(0)
	v_mov_b32_e32 v8, s33
	v_mov_b32_e32 v7, v6
	s_movk_i32 s7, 0x3bff
	v_mov_b32_e32 v9, v15
	v_mov_b32_e32 v10, v14
	;; [unrolled: 1-line block ×3, first 2 shown]
.LBB40_5:                               ; =>This Inner Loop Header: Depth=1
	v_add_u32_e32 v11, 0x400, v11
	v_cmp_lt_u32_e32 vcc, s7, v11
	ds_write_b32 v9, v8
	ds_write_b64 v10, v[6:7]
	v_add_u32_e32 v10, 0x2000, v10
	s_or_b64 s[4:5], vcc, s[4:5]
	v_add_u32_e32 v9, 0x1000, v9
	s_andn2_b64 exec, exec, s[4:5]
	s_cbranch_execnz .LBB40_5
; %bb.6:
	s_or_b64 exec, exec, s[4:5]
	s_waitcnt lgkmcnt(0)
	s_barrier
	s_load_dword s4, s[16:17], 0x0
	s_mov_b32 s5, 0
	v_lshrrev_b32_e32 v16, 6, v0
	s_waitcnt lgkmcnt(0)
	s_add_i32 s4, s4, s6
	s_lshl_b64 s[4:5], s[4:5], 2
	s_add_u32 s4, s18, s4
	s_addc_u32 s5, s19, s5
	s_load_dword s34, s[4:5], 0x0
	s_and_b64 vcc, exec, s[22:23]
	s_cbranch_vccz .LBB40_26
; %bb.7:
	s_waitcnt lgkmcnt(0)
	s_ashr_i32 s35, s34, 31
	s_lshl_b64 s[4:5], s[34:35], 2
	s_add_u32 s4, s8, s4
	s_addc_u32 s5, s9, s5
	s_load_dwordx2 s[4:5], s[4:5], 0x0
	v_subrev_u32_e32 v6, s44, v16
	s_waitcnt lgkmcnt(0)
	s_sub_i32 s35, s5, s44
	v_add_u32_e32 v6, s4, v6
	v_cmp_gt_i32_e32 vcc, s35, v6
	s_and_saveexec_b64 s[4:5], vcc
	s_cbranch_execz .LBB40_25
; %bb.8:
	v_and_b32_e32 v7, 63, v0
	v_subrev_u32_e32 v17, s45, v7
	s_mov_b64 s[6:7], 0
	v_mov_b32_e32 v18, s11
	v_mov_b32_e32 v19, s15
	s_movk_i32 s11, 0x89
	s_branch .LBB40_10
.LBB40_9:                               ;   in Loop: Header=BB40_10 Depth=1
	s_or_b64 exec, exec, s[8:9]
	v_add_u32_e32 v6, 16, v6
	v_cmp_le_i32_e32 vcc, s35, v6
	s_or_b64 s[6:7], vcc, s[6:7]
	s_andn2_b64 exec, exec, s[6:7]
	s_cbranch_execz .LBB40_25
.LBB40_10:                              ; =>This Loop Header: Depth=1
                                        ;     Child Loop BB40_13 Depth 2
                                        ;       Child Loop BB40_15 Depth 3
	v_ashrrev_i32_e32 v7, 31, v6
	v_lshlrev_b64 v[8:9], 2, v[6:7]
	v_add_co_u32_e32 v8, vcc, s10, v8
	v_addc_co_u32_e32 v9, vcc, v18, v9, vcc
	global_load_dword v8, v[8:9], off
	s_waitcnt vmcnt(0)
	v_subrev_u32_e32 v8, s44, v8
	v_ashrrev_i32_e32 v9, 31, v8
	v_lshlrev_b64 v[8:9], 2, v[8:9]
	v_add_co_u32_e32 v8, vcc, s14, v8
	v_addc_co_u32_e32 v9, vcc, v19, v9, vcc
	global_load_dwordx2 v[8:9], v[8:9], off
	s_waitcnt vmcnt(0)
	v_subrev_u32_e32 v20, s45, v9
	v_add_u32_e32 v8, v8, v17
	v_cmp_lt_i32_e32 vcc, v8, v20
	s_and_saveexec_b64 s[8:9], vcc
	s_cbranch_execz .LBB40_9
; %bb.11:                               ;   in Loop: Header=BB40_10 Depth=1
	v_lshlrev_b64 v[10:11], 3, v[6:7]
	v_mov_b32_e32 v7, s13
	v_add_co_u32_e32 v10, vcc, s12, v10
	v_addc_co_u32_e32 v11, vcc, v7, v11, vcc
	global_load_dwordx2 v[10:11], v[10:11], off
	s_mov_b64 s[16:17], 0
	s_waitcnt vmcnt(0)
	v_mul_f64 v[10:11], v[4:5], v[10:11]
	s_branch .LBB40_13
.LBB40_12:                              ;   in Loop: Header=BB40_13 Depth=2
	s_or_b64 exec, exec, s[18:19]
	v_add_u32_e32 v8, 64, v8
	v_cmp_ge_i32_e32 vcc, v8, v20
	s_or_b64 s[16:17], vcc, s[16:17]
	s_andn2_b64 exec, exec, s[16:17]
	s_cbranch_execz .LBB40_9
.LBB40_13:                              ;   Parent Loop BB40_10 Depth=1
                                        ; =>  This Loop Header: Depth=2
                                        ;       Child Loop BB40_15 Depth 3
	v_ashrrev_i32_e32 v9, 31, v8
	v_lshlrev_b64 v[12:13], 2, v[8:9]
	v_mov_b32_e32 v7, s1
	v_add_co_u32_e32 v12, vcc, s0, v12
	v_addc_co_u32_e32 v13, vcc, v7, v13, vcc
	global_load_dword v7, v[12:13], off
	v_lshlrev_b64 v[12:13], 3, v[8:9]
	v_mov_b32_e32 v9, s3
	v_add_co_u32_e32 v12, vcc, s2, v12
	v_addc_co_u32_e32 v13, vcc, v9, v13, vcc
	global_load_dwordx2 v[12:13], v[12:13], off
	s_mov_b64 s[18:19], 0
	s_waitcnt vmcnt(1)
	v_subrev_u32_e32 v7, s45, v7
	v_mul_lo_u32 v9, v7, s11
	v_and_b32_e32 v9, 0x3fff, v9
	s_waitcnt vmcnt(0)
	v_mul_f64 v[12:13], v[10:11], v[12:13]
	s_branch .LBB40_15
.LBB40_14:                              ;   in Loop: Header=BB40_15 Depth=3
	s_or_b64 exec, exec, s[22:23]
	s_xor_b64 s[22:23], s[24:25], -1
	s_and_b64 s[22:23], exec, s[22:23]
	s_or_b64 s[18:19], s[22:23], s[18:19]
	s_andn2_b64 exec, exec, s[18:19]
	s_cbranch_execz .LBB40_12
.LBB40_15:                              ;   Parent Loop BB40_10 Depth=1
                                        ;     Parent Loop BB40_13 Depth=2
                                        ; =>    This Inner Loop Header: Depth=3
	v_lshl_add_u32 v21, v9, 2, 0
	ds_read_b32 v22, v21
                                        ; implicit-def: $sgpr24_sgpr25
	s_waitcnt lgkmcnt(0)
	v_cmp_ne_u32_e32 vcc, v22, v7
	s_and_saveexec_b64 s[22:23], vcc
	s_xor_b64 s[22:23], exec, s[22:23]
	s_cbranch_execz .LBB40_23
; %bb.16:                               ;   in Loop: Header=BB40_15 Depth=3
	v_cmp_ne_u32_e32 vcc, s33, v22
                                        ; implicit-def: $sgpr24_sgpr25
	s_and_saveexec_b64 s[26:27], vcc
	s_xor_b64 s[26:27], exec, s[26:27]
; %bb.17:                               ;   in Loop: Header=BB40_15 Depth=3
	v_add_u32_e32 v9, 1, v9
	v_and_b32_e32 v9, 0x3fff, v9
	s_mov_b64 s[24:25], -1
                                        ; implicit-def: $vgpr21
; %bb.18:                               ;   in Loop: Header=BB40_15 Depth=3
	s_andn2_saveexec_b64 s[26:27], s[26:27]
	s_cbranch_execz .LBB40_22
; %bb.19:                               ;   in Loop: Header=BB40_15 Depth=3
	v_mov_b32_e32 v22, s33
	ds_cmpst_rtn_b32 v21, v21, v22, v7
	s_mov_b64 s[28:29], -1
	s_waitcnt lgkmcnt(0)
	v_cmp_eq_u32_e32 vcc, s33, v21
	s_and_saveexec_b64 s[30:31], vcc
	s_cbranch_execz .LBB40_21
; %bb.20:                               ;   in Loop: Header=BB40_15 Depth=3
	v_lshl_add_u32 v21, v9, 3, 0
	v_add_u32_e32 v21, 0x10000, v21
	ds_add_f64 v21, v[12:13]
	s_xor_b64 s[28:29], exec, -1
.LBB40_21:                              ;   in Loop: Header=BB40_15 Depth=3
	s_or_b64 exec, exec, s[30:31]
	s_andn2_b64 s[24:25], s[24:25], exec
	s_and_b64 s[28:29], s[28:29], exec
	s_or_b64 s[24:25], s[24:25], s[28:29]
.LBB40_22:                              ;   in Loop: Header=BB40_15 Depth=3
	s_or_b64 exec, exec, s[26:27]
	s_and_b64 s[24:25], s[24:25], exec
.LBB40_23:                              ;   in Loop: Header=BB40_15 Depth=3
	s_andn2_saveexec_b64 s[22:23], s[22:23]
	s_cbranch_execz .LBB40_14
; %bb.24:                               ;   in Loop: Header=BB40_15 Depth=3
	v_lshl_add_u32 v21, v9, 3, 0
	v_add_u32_e32 v21, 0x10000, v21
	ds_add_f64 v21, v[12:13]
	s_andn2_b64 s[24:25], s[24:25], exec
	s_branch .LBB40_14
.LBB40_25:
	s_or_b64 exec, exec, s[4:5]
.LBB40_26:
	s_andn2_b64 vcc, exec, s[20:21]
	s_cbranch_vccnz .LBB40_43
; %bb.27:
	s_waitcnt lgkmcnt(0)
	s_ashr_i32 s35, s34, 31
	s_lshl_b64 s[0:1], s[34:35], 2
	s_add_u32 s0, s36, s0
	s_addc_u32 s1, s37, s1
	s_load_dwordx2 s[0:1], s[0:1], 0x0
	s_waitcnt vmcnt(0)
	v_subrev_u32_e32 v4, s47, v0
	s_waitcnt lgkmcnt(0)
	s_sub_i32 s16, s1, s47
	v_add_u32_e32 v4, s0, v4
	v_cmp_gt_i32_e32 vcc, s16, v4
	s_and_saveexec_b64 s[0:1], vcc
	s_cbranch_execz .LBB40_42
; %bb.28:
	s_mov_b64 s[2:3], 0
	v_mov_b32_e32 v8, s39
	v_mov_b32_e32 v9, s41
	s_movk_i32 s17, 0x89
	s_branch .LBB40_30
.LBB40_29:                              ;   in Loop: Header=BB40_30 Depth=1
	s_or_b64 exec, exec, s[4:5]
	v_add_u32_e32 v4, 0x400, v4
	v_cmp_le_i32_e32 vcc, s16, v4
	s_or_b64 s[2:3], vcc, s[2:3]
	s_andn2_b64 exec, exec, s[2:3]
	s_cbranch_execz .LBB40_42
.LBB40_30:                              ; =>This Loop Header: Depth=1
                                        ;     Child Loop BB40_32 Depth 2
	v_ashrrev_i32_e32 v5, 31, v4
	v_lshlrev_b64 v[6:7], 2, v[4:5]
	v_add_co_u32_e32 v6, vcc, s38, v6
	v_addc_co_u32_e32 v7, vcc, v8, v7, vcc
	global_load_dword v10, v[6:7], off
	v_lshlrev_b64 v[6:7], 3, v[4:5]
	v_add_co_u32_e32 v6, vcc, s40, v6
	v_addc_co_u32_e32 v7, vcc, v9, v7, vcc
	global_load_dwordx2 v[6:7], v[6:7], off
	s_mov_b64 s[4:5], 0
	s_waitcnt vmcnt(1)
	v_subrev_u32_e32 v5, s47, v10
	v_mul_lo_u32 v10, v5, s17
	v_and_b32_e32 v10, 0x3fff, v10
	s_waitcnt vmcnt(0)
	v_mul_f64 v[6:7], v[2:3], v[6:7]
	s_branch .LBB40_32
.LBB40_31:                              ;   in Loop: Header=BB40_32 Depth=2
	s_or_b64 exec, exec, s[6:7]
	s_xor_b64 s[6:7], s[8:9], -1
	s_and_b64 s[6:7], exec, s[6:7]
	s_or_b64 s[4:5], s[6:7], s[4:5]
	s_andn2_b64 exec, exec, s[4:5]
	s_cbranch_execz .LBB40_29
.LBB40_32:                              ;   Parent Loop BB40_30 Depth=1
                                        ; =>  This Inner Loop Header: Depth=2
	v_lshl_add_u32 v11, v10, 2, 0
	ds_read_b32 v12, v11
                                        ; implicit-def: $sgpr8_sgpr9
	s_waitcnt lgkmcnt(0)
	v_cmp_ne_u32_e32 vcc, v12, v5
	s_and_saveexec_b64 s[6:7], vcc
	s_xor_b64 s[6:7], exec, s[6:7]
	s_cbranch_execz .LBB40_40
; %bb.33:                               ;   in Loop: Header=BB40_32 Depth=2
	v_cmp_ne_u32_e32 vcc, s33, v12
                                        ; implicit-def: $sgpr8_sgpr9
	s_and_saveexec_b64 s[10:11], vcc
	s_xor_b64 s[10:11], exec, s[10:11]
; %bb.34:                               ;   in Loop: Header=BB40_32 Depth=2
	v_add_u32_e32 v10, 1, v10
	v_and_b32_e32 v10, 0x3fff, v10
	s_mov_b64 s[8:9], -1
                                        ; implicit-def: $vgpr11
; %bb.35:                               ;   in Loop: Header=BB40_32 Depth=2
	s_andn2_saveexec_b64 s[10:11], s[10:11]
	s_cbranch_execz .LBB40_39
; %bb.36:                               ;   in Loop: Header=BB40_32 Depth=2
	v_mov_b32_e32 v12, s33
	ds_cmpst_rtn_b32 v11, v11, v12, v5
	s_mov_b64 s[12:13], -1
	s_waitcnt lgkmcnt(0)
	v_cmp_eq_u32_e32 vcc, s33, v11
	s_and_saveexec_b64 s[14:15], vcc
	s_cbranch_execz .LBB40_38
; %bb.37:                               ;   in Loop: Header=BB40_32 Depth=2
	v_lshl_add_u32 v11, v10, 3, 0
	v_add_u32_e32 v11, 0x10000, v11
	ds_add_f64 v11, v[6:7]
	s_xor_b64 s[12:13], exec, -1
.LBB40_38:                              ;   in Loop: Header=BB40_32 Depth=2
	s_or_b64 exec, exec, s[14:15]
	s_andn2_b64 s[8:9], s[8:9], exec
	s_and_b64 s[12:13], s[12:13], exec
	s_or_b64 s[8:9], s[8:9], s[12:13]
.LBB40_39:                              ;   in Loop: Header=BB40_32 Depth=2
	s_or_b64 exec, exec, s[10:11]
	s_and_b64 s[8:9], s[8:9], exec
.LBB40_40:                              ;   in Loop: Header=BB40_32 Depth=2
	s_andn2_saveexec_b64 s[6:7], s[6:7]
	s_cbranch_execz .LBB40_31
; %bb.41:                               ;   in Loop: Header=BB40_32 Depth=2
	v_lshl_add_u32 v11, v10, 3, 0
	v_add_u32_e32 v11, 0x10000, v11
	ds_add_f64 v11, v[6:7]
	s_andn2_b64 s[8:9], s[8:9], exec
	s_branch .LBB40_31
.LBB40_42:
	s_or_b64 exec, exec, s[0:1]
.LBB40_43:
	s_waitcnt vmcnt(0)
	v_mbcnt_lo_u32_b32 v2, -1, 0
	v_mbcnt_hi_u32_b32 v2, -1, v2
	v_sub_u32_e32 v2, 63, v2
	s_add_i32 s35, 0, 0x30000
	s_movk_i32 s0, 0x3ff
	s_movk_i32 s2, 0x7f
	;; [unrolled: 1-line block ×15, first 2 shown]
	s_add_i32 s61, 0, 0x3003c
	v_mov_b32_e32 v6, 0
	v_lshrrev_b64 v[2:3], v2, -1
	v_lshl_add_u32 v7, v16, 2, s35
	v_cmp_eq_u32_e32 vcc, s0, v0
	v_cmp_lt_u32_e64 s[0:1], 63, v0
	v_cmp_lt_u32_e64 s[2:3], s2, v0
	;; [unrolled: 1-line block ×15, first 2 shown]
	s_mov_b64 s[36:37], 0
	s_add_i32 s40, 0, 0x30004
	s_add_i32 s41, 0, 0x30008
	;; [unrolled: 1-line block ×14, first 2 shown]
	v_mov_b32_e32 v8, s61
	s_movk_i32 s62, 0x3bff
	s_waitcnt lgkmcnt(0)
	s_barrier
	s_branch .LBB40_45
.LBB40_44:                              ;   in Loop: Header=BB40_45 Depth=1
	s_or_b64 exec, exec, s[30:31]
	s_waitcnt lgkmcnt(0)
	s_barrier
	ds_read_b32 v4, v8
	v_add_u32_e32 v1, 0x400, v1
	v_cmp_lt_u32_e64 s[30:31], s62, v1
	v_add_u32_e32 v14, 0x2000, v14
	s_or_b64 s[36:37], s[30:31], s[36:37]
	s_waitcnt lgkmcnt(0)
	v_add_u32_e32 v6, v4, v6
	v_add_u32_e32 v15, 0x1000, v15
	s_andn2_b64 exec, exec, s[36:37]
	s_cbranch_execz .LBB40_79
.LBB40_45:                              ; =>This Inner Loop Header: Depth=1
	ds_read_b32 v9, v15
	ds_read_b64 v[4:5], v14
	s_waitcnt lgkmcnt(0)
	s_barrier
	v_cmp_gt_i32_e64 s[30:31], s33, v9
	v_and_b32_e32 v11, s30, v2
	s_bcnt1_i32_b64 s38, s[30:31]
	v_and_b32_e32 v10, s31, v3
	v_bcnt_u32_b32 v11, v11, 0
	v_bcnt_u32_b32 v10, v10, v11
	v_mov_b32_e32 v11, s38
	ds_write_b32 v7, v11
	s_waitcnt lgkmcnt(0)
	s_barrier
	s_and_saveexec_b64 s[38:39], s[0:1]
	s_cbranch_execnz .LBB40_62
; %bb.46:                               ;   in Loop: Header=BB40_45 Depth=1
	s_or_b64 exec, exec, s[38:39]
	s_and_saveexec_b64 s[38:39], s[2:3]
	s_cbranch_execnz .LBB40_63
.LBB40_47:                              ;   in Loop: Header=BB40_45 Depth=1
	s_or_b64 exec, exec, s[38:39]
	s_and_saveexec_b64 s[38:39], s[4:5]
	s_cbranch_execnz .LBB40_64
.LBB40_48:                              ;   in Loop: Header=BB40_45 Depth=1
	s_or_b64 exec, exec, s[38:39]
	s_and_saveexec_b64 s[38:39], s[6:7]
	s_cbranch_execnz .LBB40_65
.LBB40_49:                              ;   in Loop: Header=BB40_45 Depth=1
	s_or_b64 exec, exec, s[38:39]
	s_and_saveexec_b64 s[38:39], s[8:9]
	s_cbranch_execnz .LBB40_66
.LBB40_50:                              ;   in Loop: Header=BB40_45 Depth=1
	s_or_b64 exec, exec, s[38:39]
	s_and_saveexec_b64 s[38:39], s[10:11]
	s_cbranch_execnz .LBB40_67
.LBB40_51:                              ;   in Loop: Header=BB40_45 Depth=1
	s_or_b64 exec, exec, s[38:39]
	s_and_saveexec_b64 s[38:39], s[12:13]
	s_cbranch_execnz .LBB40_68
.LBB40_52:                              ;   in Loop: Header=BB40_45 Depth=1
	s_or_b64 exec, exec, s[38:39]
	s_and_saveexec_b64 s[38:39], s[14:15]
	s_cbranch_execnz .LBB40_69
.LBB40_53:                              ;   in Loop: Header=BB40_45 Depth=1
	s_or_b64 exec, exec, s[38:39]
	s_and_saveexec_b64 s[38:39], s[16:17]
	s_cbranch_execnz .LBB40_70
.LBB40_54:                              ;   in Loop: Header=BB40_45 Depth=1
	s_or_b64 exec, exec, s[38:39]
	s_and_saveexec_b64 s[38:39], s[18:19]
	s_cbranch_execnz .LBB40_71
.LBB40_55:                              ;   in Loop: Header=BB40_45 Depth=1
	s_or_b64 exec, exec, s[38:39]
	s_and_saveexec_b64 s[38:39], s[20:21]
	s_cbranch_execnz .LBB40_72
.LBB40_56:                              ;   in Loop: Header=BB40_45 Depth=1
	s_or_b64 exec, exec, s[38:39]
	s_and_saveexec_b64 s[38:39], s[22:23]
	s_cbranch_execnz .LBB40_73
.LBB40_57:                              ;   in Loop: Header=BB40_45 Depth=1
	s_or_b64 exec, exec, s[38:39]
	s_and_saveexec_b64 s[38:39], s[24:25]
	s_cbranch_execnz .LBB40_74
.LBB40_58:                              ;   in Loop: Header=BB40_45 Depth=1
	s_or_b64 exec, exec, s[38:39]
	s_and_saveexec_b64 s[38:39], s[26:27]
	s_cbranch_execnz .LBB40_75
.LBB40_59:                              ;   in Loop: Header=BB40_45 Depth=1
	s_or_b64 exec, exec, s[38:39]
	s_and_saveexec_b64 s[38:39], s[28:29]
	s_cbranch_execnz .LBB40_76
.LBB40_60:                              ;   in Loop: Header=BB40_45 Depth=1
	s_or_b64 exec, exec, s[38:39]
	s_and_saveexec_b64 s[38:39], s[30:31]
	s_cbranch_execnz .LBB40_77
.LBB40_61:                              ;   in Loop: Header=BB40_45 Depth=1
	s_or_b64 exec, exec, s[38:39]
	s_and_saveexec_b64 s[30:31], vcc
	s_cbranch_execz .LBB40_44
	s_branch .LBB40_78
.LBB40_62:                              ;   in Loop: Header=BB40_45 Depth=1
	v_mov_b32_e32 v11, s35
	ds_read_b32 v11, v11
	s_waitcnt lgkmcnt(0)
	v_add_u32_e32 v10, v11, v10
	s_or_b64 exec, exec, s[38:39]
	s_and_saveexec_b64 s[38:39], s[2:3]
	s_cbranch_execz .LBB40_47
.LBB40_63:                              ;   in Loop: Header=BB40_45 Depth=1
	v_mov_b32_e32 v11, s40
	ds_read_b32 v11, v11
	s_waitcnt lgkmcnt(0)
	v_add_u32_e32 v10, v11, v10
	s_or_b64 exec, exec, s[38:39]
	s_and_saveexec_b64 s[38:39], s[4:5]
	s_cbranch_execz .LBB40_48
.LBB40_64:                              ;   in Loop: Header=BB40_45 Depth=1
	v_mov_b32_e32 v11, s41
	ds_read_b32 v11, v11
	s_waitcnt lgkmcnt(0)
	v_add_u32_e32 v10, v11, v10
	s_or_b64 exec, exec, s[38:39]
	s_and_saveexec_b64 s[38:39], s[6:7]
	s_cbranch_execz .LBB40_49
.LBB40_65:                              ;   in Loop: Header=BB40_45 Depth=1
	v_mov_b32_e32 v11, s44
	ds_read_b32 v11, v11
	s_waitcnt lgkmcnt(0)
	v_add_u32_e32 v10, v11, v10
	s_or_b64 exec, exec, s[38:39]
	s_and_saveexec_b64 s[38:39], s[8:9]
	s_cbranch_execz .LBB40_50
.LBB40_66:                              ;   in Loop: Header=BB40_45 Depth=1
	v_mov_b32_e32 v11, s45
	ds_read_b32 v11, v11
	s_waitcnt lgkmcnt(0)
	v_add_u32_e32 v10, v11, v10
	s_or_b64 exec, exec, s[38:39]
	s_and_saveexec_b64 s[38:39], s[10:11]
	s_cbranch_execz .LBB40_51
.LBB40_67:                              ;   in Loop: Header=BB40_45 Depth=1
	v_mov_b32_e32 v11, s47
	ds_read_b32 v11, v11
	s_waitcnt lgkmcnt(0)
	v_add_u32_e32 v10, v11, v10
	s_or_b64 exec, exec, s[38:39]
	s_and_saveexec_b64 s[38:39], s[12:13]
	s_cbranch_execz .LBB40_52
.LBB40_68:                              ;   in Loop: Header=BB40_45 Depth=1
	v_mov_b32_e32 v11, s52
	ds_read_b32 v11, v11
	s_waitcnt lgkmcnt(0)
	v_add_u32_e32 v10, v11, v10
	s_or_b64 exec, exec, s[38:39]
	s_and_saveexec_b64 s[38:39], s[14:15]
	s_cbranch_execz .LBB40_53
.LBB40_69:                              ;   in Loop: Header=BB40_45 Depth=1
	v_mov_b32_e32 v11, s53
	ds_read_b32 v11, v11
	s_waitcnt lgkmcnt(0)
	v_add_u32_e32 v10, v11, v10
	s_or_b64 exec, exec, s[38:39]
	s_and_saveexec_b64 s[38:39], s[16:17]
	s_cbranch_execz .LBB40_54
.LBB40_70:                              ;   in Loop: Header=BB40_45 Depth=1
	v_mov_b32_e32 v11, s54
	ds_read_b32 v11, v11
	s_waitcnt lgkmcnt(0)
	v_add_u32_e32 v10, v11, v10
	s_or_b64 exec, exec, s[38:39]
	s_and_saveexec_b64 s[38:39], s[18:19]
	s_cbranch_execz .LBB40_55
.LBB40_71:                              ;   in Loop: Header=BB40_45 Depth=1
	v_mov_b32_e32 v11, s55
	ds_read_b32 v11, v11
	s_waitcnt lgkmcnt(0)
	v_add_u32_e32 v10, v11, v10
	s_or_b64 exec, exec, s[38:39]
	s_and_saveexec_b64 s[38:39], s[20:21]
	s_cbranch_execz .LBB40_56
.LBB40_72:                              ;   in Loop: Header=BB40_45 Depth=1
	v_mov_b32_e32 v11, s56
	ds_read_b32 v11, v11
	s_waitcnt lgkmcnt(0)
	v_add_u32_e32 v10, v11, v10
	s_or_b64 exec, exec, s[38:39]
	s_and_saveexec_b64 s[38:39], s[22:23]
	s_cbranch_execz .LBB40_57
.LBB40_73:                              ;   in Loop: Header=BB40_45 Depth=1
	v_mov_b32_e32 v11, s57
	ds_read_b32 v11, v11
	s_waitcnt lgkmcnt(0)
	v_add_u32_e32 v10, v11, v10
	s_or_b64 exec, exec, s[38:39]
	s_and_saveexec_b64 s[38:39], s[24:25]
	s_cbranch_execz .LBB40_58
.LBB40_74:                              ;   in Loop: Header=BB40_45 Depth=1
	v_mov_b32_e32 v11, s58
	ds_read_b32 v11, v11
	s_waitcnt lgkmcnt(0)
	v_add_u32_e32 v10, v11, v10
	s_or_b64 exec, exec, s[38:39]
	s_and_saveexec_b64 s[38:39], s[26:27]
	s_cbranch_execz .LBB40_59
.LBB40_75:                              ;   in Loop: Header=BB40_45 Depth=1
	v_mov_b32_e32 v11, s59
	ds_read_b32 v11, v11
	s_waitcnt lgkmcnt(0)
	v_add_u32_e32 v10, v11, v10
	s_or_b64 exec, exec, s[38:39]
	s_and_saveexec_b64 s[38:39], s[28:29]
	s_cbranch_execz .LBB40_60
.LBB40_76:                              ;   in Loop: Header=BB40_45 Depth=1
	v_mov_b32_e32 v11, s60
	ds_read_b32 v11, v11
	s_waitcnt lgkmcnt(0)
	v_add_u32_e32 v10, v11, v10
	s_or_b64 exec, exec, s[38:39]
	s_and_saveexec_b64 s[38:39], s[30:31]
	s_cbranch_execz .LBB40_61
.LBB40_77:                              ;   in Loop: Header=BB40_45 Depth=1
	v_add3_u32 v11, v6, -1, v10
	v_lshl_add_u32 v12, v11, 2, 0
	v_lshl_add_u32 v11, v11, 3, 0
	v_add_u32_e32 v11, 0x10000, v11
	ds_write_b32 v12, v9
	ds_write_b64 v11, v[4:5]
	s_or_b64 exec, exec, s[38:39]
	s_and_saveexec_b64 s[30:31], vcc
	s_cbranch_execz .LBB40_44
.LBB40_78:                              ;   in Loop: Header=BB40_45 Depth=1
	v_mov_b32_e32 v4, s61
	ds_write_b32 v4, v10
	s_branch .LBB40_44
.LBB40_79:
	s_or_b64 exec, exec, s[36:37]
	s_ashr_i32 s35, s34, 31
	s_lshl_b64 s[0:1], s[34:35], 2
	s_add_u32 s0, s42, s0
	s_addc_u32 s1, s43, s1
	s_load_dwordx2 s[0:1], s[0:1], 0x0
	s_waitcnt lgkmcnt(0)
	s_sub_i32 s14, s1, s0
	v_cmp_gt_i32_e32 vcc, s14, v0
	s_and_saveexec_b64 s[2:3], vcc
	s_cbranch_execz .LBB40_94
; %bb.80:
	s_sub_i32 s6, s0, s46
	s_add_i32 s0, s14, -2
	s_lshr_b32 s1, s0, 1
	s_add_i32 s2, s1, 1
	s_cmp_gt_u32 s14, 1
	s_cselect_b64 s[8:9], -1, 0
	s_and_b32 s15, s14, -2
	s_and_b32 s4, s2, 7
	s_cmp_gt_u32 s0, 13
	s_cselect_b64 s[0:1], -1, 0
	s_and_b32 s16, s2, -8
	s_cmp_lg_u32 s4, 0
	s_cselect_b64 s[2:3], -1, 0
	v_cndmask_b32_e64 v1, 0, 1, s[0:1]
	s_cmp_lg_u32 s14, s15
	v_cmp_ne_u32_e64 s[0:1], 1, v1
	v_cndmask_b32_e64 v1, 0, 1, s[2:3]
	s_mov_b32 s7, 0
	s_cselect_b64 s[10:11], -1, 0
	s_lshl_b32 s17, s4, 3
	s_mov_b64 s[12:13], 0
	v_cmp_ne_u32_e64 s[2:3], 1, v1
	v_mov_b32_e32 v1, s49
	v_mov_b32_e32 v6, s51
	s_branch .LBB40_82
.LBB40_81:                              ;   in Loop: Header=BB40_82 Depth=1
	v_ashrrev_i32_e32 v5, 31, v4
	v_lshlrev_b64 v[8:9], 2, v[4:5]
	v_add_co_u32_e32 v8, vcc, s48, v8
	v_addc_co_u32_e32 v9, vcc, v1, v9, vcc
	v_lshlrev_b64 v[4:5], 3, v[4:5]
	v_add_co_u32_e32 v4, vcc, s50, v4
	v_addc_co_u32_e32 v5, vcc, v6, v5, vcc
	v_add_u32_e32 v0, 0x400, v0
	v_cmp_le_i32_e32 vcc, s14, v0
	s_waitcnt lgkmcnt(1)
	v_add_u32_e32 v7, s46, v7
	s_or_b64 s[12:13], vcc, s[12:13]
	global_store_dword v[8:9], v7, off
	s_waitcnt lgkmcnt(0)
	global_store_dwordx2 v[4:5], v[2:3], off
	s_andn2_b64 exec, exec, s[12:13]
	s_cbranch_execz .LBB40_94
.LBB40_82:                              ; =>This Loop Header: Depth=1
                                        ;     Child Loop BB40_85 Depth 2
                                        ;     Child Loop BB40_90 Depth 2
	;; [unrolled: 1-line block ×3, first 2 shown]
	v_lshl_add_u32 v3, v0, 3, 0
	v_lshl_add_u32 v2, v0, 2, 0
	v_add_u32_e32 v3, 0x10000, v3
	ds_read_b32 v7, v2
	ds_read_b64 v[2:3], v3
	s_and_b64 vcc, exec, s[8:9]
	s_cbranch_vccz .LBB40_87
; %bb.83:                               ;   in Loop: Header=BB40_82 Depth=1
	s_and_b64 vcc, exec, s[0:1]
	s_cbranch_vccnz .LBB40_88
; %bb.84:                               ;   in Loop: Header=BB40_82 Depth=1
	s_mov_b32 s19, 0
	v_mov_b32_e32 v4, s6
	v_mov_b32_e32 v5, 0
	s_mov_b32 s20, s16
	s_mov_b32 s18, 0
.LBB40_85:                              ;   Parent Loop BB40_82 Depth=1
                                        ; =>  This Inner Loop Header: Depth=2
	v_mov_b32_e32 v22, s19
	ds_read2_b32 v[8:9], v22 offset1:1
	ds_read2_b32 v[10:11], v22 offset0:2 offset1:3
	ds_read2_b32 v[12:13], v22 offset0:4 offset1:5
	;; [unrolled: 1-line block ×7, first 2 shown]
	s_waitcnt lgkmcnt(7)
	v_cmp_gt_i32_e32 vcc, v7, v9
	v_cndmask_b32_e64 v9, 0, 1, vcc
	v_cmp_gt_i32_e32 vcc, v7, v8
	s_waitcnt lgkmcnt(5)
	v_cmp_gt_i32_e64 s[4:5], v7, v12
	v_cndmask_b32_e64 v8, 0, 1, vcc
	v_cmp_gt_i32_e32 vcc, v7, v11
	v_cndmask_b32_e64 v11, 0, 1, s[4:5]
	v_cmp_gt_i32_e64 s[4:5], v7, v13
	v_cndmask_b32_e64 v12, 0, 1, s[4:5]
	s_waitcnt lgkmcnt(3)
	v_cmp_gt_i32_e64 s[4:5], v7, v17
	v_cndmask_b32_e64 v13, 0, 1, s[4:5]
	v_cmp_gt_i32_e64 s[4:5], v7, v16
	v_cndmask_b32_e64 v16, 0, 1, s[4:5]
	s_waitcnt lgkmcnt(1)
	v_cmp_gt_i32_e64 s[4:5], v7, v20
	v_cndmask_b32_e64 v17, 0, 1, s[4:5]
	v_cmp_gt_i32_e64 s[4:5], v7, v21
	v_cndmask_b32_e64 v20, 0, 1, s[4:5]
	v_cmp_gt_i32_e64 s[4:5], v7, v10
	v_addc_co_u32_e64 v4, s[4:5], v4, v8, s[4:5]
	v_addc_co_u32_e32 v5, vcc, v5, v9, vcc
	v_cmp_gt_i32_e32 vcc, v7, v14
	v_cmp_gt_i32_e64 s[4:5], v7, v15
	v_addc_co_u32_e64 v5, s[4:5], v5, v12, s[4:5]
	v_addc_co_u32_e32 v4, vcc, v4, v11, vcc
	v_cmp_gt_i32_e32 vcc, v7, v19
	v_cmp_gt_i32_e64 s[4:5], v7, v18
	v_addc_co_u32_e64 v4, s[4:5], v4, v16, s[4:5]
	v_addc_co_u32_e32 v5, vcc, v5, v13, vcc
	s_add_i32 s18, s18, 16
	s_add_i32 s19, s19, 64
	s_add_i32 s20, s20, -8
	s_waitcnt lgkmcnt(0)
	v_cmp_gt_i32_e32 vcc, v7, v22
	v_cmp_gt_i32_e64 s[4:5], v7, v23
	s_cmp_lg_u32 s20, 0
	v_addc_co_u32_e64 v5, s[4:5], v5, v20, s[4:5]
	v_addc_co_u32_e32 v4, vcc, v4, v17, vcc
	s_cbranch_scc1 .LBB40_85
; %bb.86:                               ;   in Loop: Header=BB40_82 Depth=1
	s_and_b64 vcc, exec, s[2:3]
	s_cbranch_vccz .LBB40_89
	s_branch .LBB40_91
.LBB40_87:                              ;   in Loop: Header=BB40_82 Depth=1
	v_mov_b32_e32 v4, s6
	s_mov_b32 s18, 0
	s_cbranch_execz .LBB40_81
	s_branch .LBB40_92
.LBB40_88:                              ;   in Loop: Header=BB40_82 Depth=1
	v_pk_mov_b32 v[4:5], s[6:7], s[6:7] op_sel:[0,1]
	s_mov_b32 s18, 0
	s_and_b64 vcc, exec, s[2:3]
	s_cbranch_vccnz .LBB40_91
.LBB40_89:                              ;   in Loop: Header=BB40_82 Depth=1
	s_lshl_b32 s4, s18, 2
	s_add_i32 s4, s4, 0
	s_mov_b32 s5, s17
.LBB40_90:                              ;   Parent Loop BB40_82 Depth=1
                                        ; =>  This Inner Loop Header: Depth=2
	v_mov_b32_e32 v8, s4
	ds_read2_b32 v[8:9], v8 offset1:1
	s_add_i32 s4, s4, 8
	s_add_i32 s5, s5, -8
	s_cmp_lg_u32 s5, 0
	s_waitcnt lgkmcnt(0)
	v_cmp_gt_i32_e32 vcc, v7, v9
	v_addc_co_u32_e32 v5, vcc, 0, v5, vcc
	v_cmp_gt_i32_e32 vcc, v7, v8
	v_addc_co_u32_e32 v4, vcc, 0, v4, vcc
	s_cbranch_scc1 .LBB40_90
.LBB40_91:                              ;   in Loop: Header=BB40_82 Depth=1
	v_add_u32_e32 v4, v4, v5
	s_mov_b32 s18, s15
	s_mov_b64 s[4:5], s[10:11]
	s_and_b64 vcc, exec, s[4:5]
	s_cbranch_vccz .LBB40_81
.LBB40_92:                              ;   in Loop: Header=BB40_82 Depth=1
	s_lshl_b32 s4, s18, 2
	s_add_i32 s4, s4, 0
.LBB40_93:                              ;   Parent Loop BB40_82 Depth=1
                                        ; =>  This Inner Loop Header: Depth=2
	v_mov_b32_e32 v5, s4
	ds_read_b32 v5, v5
	s_add_i32 s18, s18, 1
	s_add_i32 s4, s4, 4
	s_cmp_ge_i32 s18, s14
	s_waitcnt lgkmcnt(0)
	v_cmp_gt_i32_e32 vcc, v7, v5
	v_addc_co_u32_e32 v4, vcc, 0, v4, vcc
	s_cbranch_scc0 .LBB40_93
	s_branch .LBB40_81
.LBB40_94:
	s_endpgm
	.section	.rodata,"a",@progbits
	.p2align	6, 0x0
	.amdhsa_kernel _ZN9rocsparseL26csrgemm_fill_block_per_rowILj1024ELj64ELj16384ELj137ELj64EiidEEvT5_PKS1_S3_NS_24const_host_device_scalarIT6_EEPKT4_S3_PKS5_S9_S3_SB_S6_S9_S3_SB_S9_PS1_PS5_21rocsparse_index_base_SE_SE_SE_bbb
		.amdhsa_group_segment_fixed_size 0
		.amdhsa_private_segment_fixed_size 0
		.amdhsa_kernarg_size 156
		.amdhsa_user_sgpr_count 6
		.amdhsa_user_sgpr_private_segment_buffer 1
		.amdhsa_user_sgpr_dispatch_ptr 0
		.amdhsa_user_sgpr_queue_ptr 0
		.amdhsa_user_sgpr_kernarg_segment_ptr 1
		.amdhsa_user_sgpr_dispatch_id 0
		.amdhsa_user_sgpr_flat_scratch_init 0
		.amdhsa_user_sgpr_kernarg_preload_length 0
		.amdhsa_user_sgpr_kernarg_preload_offset 0
		.amdhsa_user_sgpr_private_segment_size 0
		.amdhsa_uses_dynamic_stack 0
		.amdhsa_system_sgpr_private_segment_wavefront_offset 0
		.amdhsa_system_sgpr_workgroup_id_x 1
		.amdhsa_system_sgpr_workgroup_id_y 0
		.amdhsa_system_sgpr_workgroup_id_z 0
		.amdhsa_system_sgpr_workgroup_info 0
		.amdhsa_system_vgpr_workitem_id 0
		.amdhsa_next_free_vgpr 24
		.amdhsa_next_free_sgpr 63
		.amdhsa_accum_offset 24
		.amdhsa_reserve_vcc 1
		.amdhsa_reserve_flat_scratch 0
		.amdhsa_float_round_mode_32 0
		.amdhsa_float_round_mode_16_64 0
		.amdhsa_float_denorm_mode_32 3
		.amdhsa_float_denorm_mode_16_64 3
		.amdhsa_dx10_clamp 1
		.amdhsa_ieee_mode 1
		.amdhsa_fp16_overflow 0
		.amdhsa_tg_split 0
		.amdhsa_exception_fp_ieee_invalid_op 0
		.amdhsa_exception_fp_denorm_src 0
		.amdhsa_exception_fp_ieee_div_zero 0
		.amdhsa_exception_fp_ieee_overflow 0
		.amdhsa_exception_fp_ieee_underflow 0
		.amdhsa_exception_fp_ieee_inexact 0
		.amdhsa_exception_int_div_zero 0
	.end_amdhsa_kernel
	.section	.text._ZN9rocsparseL26csrgemm_fill_block_per_rowILj1024ELj64ELj16384ELj137ELj64EiidEEvT5_PKS1_S3_NS_24const_host_device_scalarIT6_EEPKT4_S3_PKS5_S9_S3_SB_S6_S9_S3_SB_S9_PS1_PS5_21rocsparse_index_base_SE_SE_SE_bbb,"axG",@progbits,_ZN9rocsparseL26csrgemm_fill_block_per_rowILj1024ELj64ELj16384ELj137ELj64EiidEEvT5_PKS1_S3_NS_24const_host_device_scalarIT6_EEPKT4_S3_PKS5_S9_S3_SB_S6_S9_S3_SB_S9_PS1_PS5_21rocsparse_index_base_SE_SE_SE_bbb,comdat
.Lfunc_end40:
	.size	_ZN9rocsparseL26csrgemm_fill_block_per_rowILj1024ELj64ELj16384ELj137ELj64EiidEEvT5_PKS1_S3_NS_24const_host_device_scalarIT6_EEPKT4_S3_PKS5_S9_S3_SB_S6_S9_S3_SB_S9_PS1_PS5_21rocsparse_index_base_SE_SE_SE_bbb, .Lfunc_end40-_ZN9rocsparseL26csrgemm_fill_block_per_rowILj1024ELj64ELj16384ELj137ELj64EiidEEvT5_PKS1_S3_NS_24const_host_device_scalarIT6_EEPKT4_S3_PKS5_S9_S3_SB_S6_S9_S3_SB_S9_PS1_PS5_21rocsparse_index_base_SE_SE_SE_bbb
                                        ; -- End function
	.section	.AMDGPU.csdata,"",@progbits
; Kernel info:
; codeLenInByte = 3564
; NumSgprs: 67
; NumVgprs: 24
; NumAgprs: 0
; TotalNumVgprs: 24
; ScratchSize: 0
; MemoryBound: 0
; FloatMode: 240
; IeeeMode: 1
; LDSByteSize: 0 bytes/workgroup (compile time only)
; SGPRBlocks: 8
; VGPRBlocks: 2
; NumSGPRsForWavesPerEU: 67
; NumVGPRsForWavesPerEU: 24
; AccumOffset: 24
; Occupancy: 8
; WaveLimiterHint : 1
; COMPUTE_PGM_RSRC2:SCRATCH_EN: 0
; COMPUTE_PGM_RSRC2:USER_SGPR: 6
; COMPUTE_PGM_RSRC2:TRAP_HANDLER: 0
; COMPUTE_PGM_RSRC2:TGID_X_EN: 1
; COMPUTE_PGM_RSRC2:TGID_Y_EN: 0
; COMPUTE_PGM_RSRC2:TGID_Z_EN: 0
; COMPUTE_PGM_RSRC2:TIDIG_COMP_CNT: 0
; COMPUTE_PGM_RSRC3_GFX90A:ACCUM_OFFSET: 5
; COMPUTE_PGM_RSRC3_GFX90A:TG_SPLIT: 0
	.section	.text._ZN9rocsparseL26csrgemm_fill_block_per_rowILj1024ELj64ELj32768ELj137ELj32EiidEEvT5_PKS1_S3_NS_24const_host_device_scalarIT6_EEPKT4_S3_PKS5_S9_S3_SB_S6_S9_S3_SB_S9_PS1_PS5_21rocsparse_index_base_SE_SE_SE_bbb,"axG",@progbits,_ZN9rocsparseL26csrgemm_fill_block_per_rowILj1024ELj64ELj32768ELj137ELj32EiidEEvT5_PKS1_S3_NS_24const_host_device_scalarIT6_EEPKT4_S3_PKS5_S9_S3_SB_S6_S9_S3_SB_S9_PS1_PS5_21rocsparse_index_base_SE_SE_SE_bbb,comdat
	.globl	_ZN9rocsparseL26csrgemm_fill_block_per_rowILj1024ELj64ELj32768ELj137ELj32EiidEEvT5_PKS1_S3_NS_24const_host_device_scalarIT6_EEPKT4_S3_PKS5_S9_S3_SB_S6_S9_S3_SB_S9_PS1_PS5_21rocsparse_index_base_SE_SE_SE_bbb ; -- Begin function _ZN9rocsparseL26csrgemm_fill_block_per_rowILj1024ELj64ELj32768ELj137ELj32EiidEEvT5_PKS1_S3_NS_24const_host_device_scalarIT6_EEPKT4_S3_PKS5_S9_S3_SB_S6_S9_S3_SB_S9_PS1_PS5_21rocsparse_index_base_SE_SE_SE_bbb
	.p2align	8
	.type	_ZN9rocsparseL26csrgemm_fill_block_per_rowILj1024ELj64ELj32768ELj137ELj32EiidEEvT5_PKS1_S3_NS_24const_host_device_scalarIT6_EEPKT4_S3_PKS5_S9_S3_SB_S6_S9_S3_SB_S9_PS1_PS5_21rocsparse_index_base_SE_SE_SE_bbb,@function
_ZN9rocsparseL26csrgemm_fill_block_per_rowILj1024ELj64ELj32768ELj137ELj32EiidEEvT5_PKS1_S3_NS_24const_host_device_scalarIT6_EEPKT4_S3_PKS5_S9_S3_SB_S6_S9_S3_SB_S9_PS1_PS5_21rocsparse_index_base_SE_SE_SE_bbb: ; @_ZN9rocsparseL26csrgemm_fill_block_per_rowILj1024ELj64ELj32768ELj137ELj32EiidEEvT5_PKS1_S3_NS_24const_host_device_scalarIT6_EEPKT4_S3_PKS5_S9_S3_SB_S6_S9_S3_SB_S9_PS1_PS5_21rocsparse_index_base_SE_SE_SE_bbb
; %bb.0:
	s_load_dword s7, s[4:5], 0x98
	s_load_dwordx4 s[68:71], s[4:5], 0x88
	s_load_dwordx2 s[0:1], s[4:5], 0x18
	s_load_dwordx2 s[24:25], s[4:5], 0x50
	s_waitcnt lgkmcnt(0)
	s_and_b32 s2, 1, s7
	s_bitcmp1_b32 s7, 16
	s_cselect_b64 s[26:27], -1, 0
	s_cmp_eq_u32 s2, 1
	s_cselect_b64 s[22:23], -1, 0
	s_and_b64 s[2:3], s[22:23], exec
	s_cselect_b32 s3, s1, 0
	s_cselect_b32 s2, s0, 0
	s_xor_b64 s[8:9], s[22:23], -1
	s_or_b64 s[8:9], s[8:9], s[26:27]
	s_and_b64 vcc, exec, s[8:9]
	v_pk_mov_b32 v[4:5], s[2:3], s[2:3] op_sel:[0,1]
	s_cbranch_vccnz .LBB41_2
; %bb.1:
	v_pk_mov_b32 v[2:3], s[0:1], s[0:1] op_sel:[0,1]
	flat_load_dwordx2 v[4:5], v[2:3]
.LBB41_2:
	s_load_dwordx4 s[0:3], s[4:5], 0x78
                                        ; implicit-def: $vgpr24 : SGPR spill to VGPR lane
	s_load_dwordx8 s[8:15], s[4:5], 0x58
	s_bitcmp1_b32 s7, 8
	s_cselect_b64 s[20:21], -1, 0
	s_and_b64 s[28:29], s[20:21], exec
	s_waitcnt lgkmcnt(0)
	v_writelane_b32 v24, s0, 0
	v_writelane_b32 v24, s1, 1
	;; [unrolled: 1-line block ×12, first 2 shown]
	s_load_dwordx4 s[0:3], s[4:5], 0x40
	s_load_dwordx4 s[16:19], s[4:5], 0x8
	s_load_dwordx8 s[8:15], s[4:5], 0x20
	s_cselect_b32 s29, s25, 0
	s_cselect_b32 s28, s24, 0
	s_xor_b64 s[30:31], s[20:21], -1
	s_or_b64 s[26:27], s[30:31], s[26:27]
	s_and_b64 vcc, exec, s[26:27]
	v_pk_mov_b32 v[2:3], s[28:29], s[28:29] op_sel:[0,1]
	s_cbranch_vccnz .LBB41_4
; %bb.3:
	v_pk_mov_b32 v[2:3], s[24:25], s[24:25] op_sel:[0,1]
	flat_load_dwordx2 v[2:3], v[2:3]
.LBB41_4:
	s_load_dword s33, s[4:5], 0x0
	v_lshl_add_u32 v7, v0, 3, 0
	v_or_b32_e32 v1, 0xfffffc00, v0
	v_mov_b32_e32 v6, 0
	v_add_u32_e32 v14, 0x20000, v7
	v_lshl_add_u32 v15, v0, 2, 0
	s_mov_b64 s[4:5], 0
	s_waitcnt lgkmcnt(0)
	v_mov_b32_e32 v8, s33
	v_mov_b32_e32 v7, v6
	s_movk_i32 s7, 0x7bff
	v_mov_b32_e32 v9, v15
	v_mov_b32_e32 v10, v14
	;; [unrolled: 1-line block ×3, first 2 shown]
.LBB41_5:                               ; =>This Inner Loop Header: Depth=1
	v_add_u32_e32 v11, 0x400, v11
	v_cmp_lt_u32_e32 vcc, s7, v11
	ds_write_b32 v9, v8
	ds_write_b64 v10, v[6:7]
	v_add_u32_e32 v10, 0x2000, v10
	s_or_b64 s[4:5], vcc, s[4:5]
	v_add_u32_e32 v9, 0x1000, v9
	s_andn2_b64 exec, exec, s[4:5]
	s_cbranch_execnz .LBB41_5
; %bb.6:
	s_or_b64 exec, exec, s[4:5]
	s_waitcnt lgkmcnt(0)
	s_barrier
	s_load_dword s4, s[16:17], 0x0
	s_mov_b32 s5, 0
	s_waitcnt lgkmcnt(0)
	s_add_i32 s4, s4, s6
	s_lshl_b64 s[4:5], s[4:5], 2
	s_add_u32 s4, s18, s4
	s_addc_u32 s5, s19, s5
	s_load_dword s4, s[4:5], 0x0
	s_and_b64 vcc, exec, s[22:23]
	s_waitcnt lgkmcnt(0)
	v_writelane_b32 v24, s4, 12
	v_writelane_b32 v24, s5, 13
	s_cbranch_vccz .LBB41_26
; %bb.7:
	v_readlane_b32 s4, v24, 12
	v_readlane_b32 s5, v24, 13
	s_mov_b32 s6, s4
	s_ashr_i32 s7, s4, 31
	v_writelane_b32 v24, s4, 12
	v_writelane_b32 v24, s5, 13
	s_lshl_b64 s[4:5], s[6:7], 2
	s_add_u32 s4, s8, s4
	s_addc_u32 s5, s9, s5
	s_load_dwordx2 s[4:5], s[4:5], 0x0
	v_lshrrev_b32_e32 v6, 6, v0
	v_subrev_u32_e32 v6, s68, v6
	s_waitcnt lgkmcnt(0)
	s_sub_i32 s34, s5, s68
	v_add_u32_e32 v6, s4, v6
	v_cmp_gt_i32_e32 vcc, s34, v6
	s_and_saveexec_b64 s[4:5], vcc
	s_cbranch_execz .LBB41_25
; %bb.8:
	v_and_b32_e32 v7, 63, v0
	v_subrev_u32_e32 v16, s69, v7
	s_mov_b64 s[6:7], 0
	v_mov_b32_e32 v17, s11
	v_mov_b32_e32 v18, s15
	s_movk_i32 s11, 0x89
	s_branch .LBB41_10
.LBB41_9:                               ;   in Loop: Header=BB41_10 Depth=1
	s_or_b64 exec, exec, s[8:9]
	v_add_u32_e32 v6, 16, v6
	v_cmp_le_i32_e32 vcc, s34, v6
	s_or_b64 s[6:7], vcc, s[6:7]
	s_andn2_b64 exec, exec, s[6:7]
	s_cbranch_execz .LBB41_25
.LBB41_10:                              ; =>This Loop Header: Depth=1
                                        ;     Child Loop BB41_13 Depth 2
                                        ;       Child Loop BB41_15 Depth 3
	v_ashrrev_i32_e32 v7, 31, v6
	v_lshlrev_b64 v[8:9], 2, v[6:7]
	v_add_co_u32_e32 v8, vcc, s10, v8
	v_addc_co_u32_e32 v9, vcc, v17, v9, vcc
	global_load_dword v8, v[8:9], off
	s_waitcnt vmcnt(0)
	v_subrev_u32_e32 v8, s68, v8
	v_ashrrev_i32_e32 v9, 31, v8
	v_lshlrev_b64 v[8:9], 2, v[8:9]
	v_add_co_u32_e32 v8, vcc, s14, v8
	v_addc_co_u32_e32 v9, vcc, v18, v9, vcc
	global_load_dwordx2 v[8:9], v[8:9], off
	s_waitcnt vmcnt(0)
	v_subrev_u32_e32 v19, s69, v9
	v_add_u32_e32 v8, v8, v16
	v_cmp_lt_i32_e32 vcc, v8, v19
	s_and_saveexec_b64 s[8:9], vcc
	s_cbranch_execz .LBB41_9
; %bb.11:                               ;   in Loop: Header=BB41_10 Depth=1
	v_lshlrev_b64 v[10:11], 3, v[6:7]
	v_mov_b32_e32 v7, s13
	v_add_co_u32_e32 v10, vcc, s12, v10
	v_addc_co_u32_e32 v11, vcc, v7, v11, vcc
	global_load_dwordx2 v[10:11], v[10:11], off
	s_mov_b64 s[16:17], 0
	s_waitcnt vmcnt(0)
	v_mul_f64 v[10:11], v[4:5], v[10:11]
	s_branch .LBB41_13
.LBB41_12:                              ;   in Loop: Header=BB41_13 Depth=2
	s_or_b64 exec, exec, s[18:19]
	v_add_u32_e32 v8, 64, v8
	v_cmp_ge_i32_e32 vcc, v8, v19
	s_or_b64 s[16:17], vcc, s[16:17]
	s_andn2_b64 exec, exec, s[16:17]
	s_cbranch_execz .LBB41_9
.LBB41_13:                              ;   Parent Loop BB41_10 Depth=1
                                        ; =>  This Loop Header: Depth=2
                                        ;       Child Loop BB41_15 Depth 3
	v_ashrrev_i32_e32 v9, 31, v8
	v_lshlrev_b64 v[12:13], 2, v[8:9]
	v_mov_b32_e32 v7, s1
	v_add_co_u32_e32 v12, vcc, s0, v12
	v_addc_co_u32_e32 v13, vcc, v7, v13, vcc
	global_load_dword v7, v[12:13], off
	v_lshlrev_b64 v[12:13], 3, v[8:9]
	v_mov_b32_e32 v9, s3
	v_add_co_u32_e32 v12, vcc, s2, v12
	v_addc_co_u32_e32 v13, vcc, v9, v13, vcc
	global_load_dwordx2 v[12:13], v[12:13], off
	s_mov_b64 s[18:19], 0
	s_waitcnt vmcnt(1)
	v_subrev_u32_e32 v7, s69, v7
	v_mul_lo_u32 v9, v7, s11
	v_and_b32_e32 v9, 0x7fff, v9
	s_waitcnt vmcnt(0)
	v_mul_f64 v[12:13], v[10:11], v[12:13]
	s_branch .LBB41_15
.LBB41_14:                              ;   in Loop: Header=BB41_15 Depth=3
	s_or_b64 exec, exec, s[22:23]
	s_xor_b64 s[22:23], s[24:25], -1
	s_and_b64 s[22:23], exec, s[22:23]
	s_or_b64 s[18:19], s[22:23], s[18:19]
	s_andn2_b64 exec, exec, s[18:19]
	s_cbranch_execz .LBB41_12
.LBB41_15:                              ;   Parent Loop BB41_10 Depth=1
                                        ;     Parent Loop BB41_13 Depth=2
                                        ; =>    This Inner Loop Header: Depth=3
	v_lshl_add_u32 v20, v9, 2, 0
	ds_read_b32 v21, v20
                                        ; implicit-def: $sgpr24_sgpr25
	s_waitcnt lgkmcnt(0)
	v_cmp_ne_u32_e32 vcc, v21, v7
	s_and_saveexec_b64 s[22:23], vcc
	s_xor_b64 s[22:23], exec, s[22:23]
	s_cbranch_execz .LBB41_23
; %bb.16:                               ;   in Loop: Header=BB41_15 Depth=3
	v_cmp_ne_u32_e32 vcc, s33, v21
                                        ; implicit-def: $sgpr24_sgpr25
	s_and_saveexec_b64 s[26:27], vcc
	s_xor_b64 s[26:27], exec, s[26:27]
; %bb.17:                               ;   in Loop: Header=BB41_15 Depth=3
	v_add_u32_e32 v9, 1, v9
	v_and_b32_e32 v9, 0x7fff, v9
	s_mov_b64 s[24:25], -1
                                        ; implicit-def: $vgpr20
; %bb.18:                               ;   in Loop: Header=BB41_15 Depth=3
	s_andn2_saveexec_b64 s[26:27], s[26:27]
	s_cbranch_execz .LBB41_22
; %bb.19:                               ;   in Loop: Header=BB41_15 Depth=3
	v_mov_b32_e32 v21, s33
	ds_cmpst_rtn_b32 v20, v20, v21, v7
	s_mov_b64 s[28:29], -1
	s_waitcnt lgkmcnt(0)
	v_cmp_eq_u32_e32 vcc, s33, v20
	s_and_saveexec_b64 s[30:31], vcc
	s_cbranch_execz .LBB41_21
; %bb.20:                               ;   in Loop: Header=BB41_15 Depth=3
	v_lshl_add_u32 v20, v9, 3, 0
	v_add_u32_e32 v20, 0x20000, v20
	ds_add_f64 v20, v[12:13]
	s_xor_b64 s[28:29], exec, -1
.LBB41_21:                              ;   in Loop: Header=BB41_15 Depth=3
	s_or_b64 exec, exec, s[30:31]
	s_andn2_b64 s[24:25], s[24:25], exec
	s_and_b64 s[28:29], s[28:29], exec
	s_or_b64 s[24:25], s[24:25], s[28:29]
.LBB41_22:                              ;   in Loop: Header=BB41_15 Depth=3
	s_or_b64 exec, exec, s[26:27]
	s_and_b64 s[24:25], s[24:25], exec
.LBB41_23:                              ;   in Loop: Header=BB41_15 Depth=3
	s_andn2_saveexec_b64 s[22:23], s[22:23]
	s_cbranch_execz .LBB41_14
; %bb.24:                               ;   in Loop: Header=BB41_15 Depth=3
	v_lshl_add_u32 v20, v9, 3, 0
	v_add_u32_e32 v20, 0x20000, v20
	ds_add_f64 v20, v[12:13]
	s_andn2_b64 s[24:25], s[24:25], exec
	s_branch .LBB41_14
.LBB41_25:
	s_or_b64 exec, exec, s[4:5]
.LBB41_26:
	s_andn2_b64 vcc, exec, s[20:21]
	s_cbranch_vccnz .LBB41_43
; %bb.27:
	v_readlane_b32 s0, v24, 12
	v_readlane_b32 s1, v24, 13
	s_mov_b32 s2, s0
	s_ashr_i32 s3, s0, 31
	v_writelane_b32 v24, s0, 12
	v_writelane_b32 v24, s1, 13
	s_lshl_b64 s[0:1], s[2:3], 2
	v_readlane_b32 s4, v24, 4
	v_readlane_b32 s5, v24, 5
	s_add_u32 s0, s4, s0
	s_addc_u32 s1, s5, s1
	s_load_dwordx2 s[0:1], s[0:1], 0x0
	s_waitcnt vmcnt(0)
	v_subrev_u32_e32 v4, s71, v0
	v_readlane_b32 s6, v24, 6
	v_readlane_b32 s7, v24, 7
	;; [unrolled: 1-line block ×3, first 2 shown]
	s_waitcnt lgkmcnt(0)
	s_sub_i32 s16, s1, s71
	v_add_u32_e32 v4, s0, v4
	v_cmp_gt_i32_e32 vcc, s16, v4
	v_readlane_b32 s9, v24, 9
	v_readlane_b32 s10, v24, 10
	;; [unrolled: 1-line block ×3, first 2 shown]
	s_and_saveexec_b64 s[0:1], vcc
	s_cbranch_execz .LBB41_42
; %bb.28:
	v_readlane_b32 s4, v24, 4
	v_readlane_b32 s7, v24, 7
	;; [unrolled: 1-line block ×3, first 2 shown]
	s_mov_b64 s[2:3], 0
	v_mov_b32_e32 v8, s7
	v_mov_b32_e32 v9, s9
	s_movk_i32 s17, 0x89
	v_readlane_b32 s5, v24, 5
	v_readlane_b32 s6, v24, 6
	;; [unrolled: 1-line block ×5, first 2 shown]
	s_branch .LBB41_30
.LBB41_29:                              ;   in Loop: Header=BB41_30 Depth=1
	s_or_b64 exec, exec, s[4:5]
	v_add_u32_e32 v4, 0x400, v4
	v_cmp_le_i32_e32 vcc, s16, v4
	s_or_b64 s[2:3], vcc, s[2:3]
	s_andn2_b64 exec, exec, s[2:3]
	s_cbranch_execz .LBB41_42
.LBB41_30:                              ; =>This Loop Header: Depth=1
                                        ;     Child Loop BB41_32 Depth 2
	v_ashrrev_i32_e32 v5, 31, v4
	v_readlane_b32 s4, v24, 4
	v_lshlrev_b64 v[6:7], 2, v[4:5]
	v_readlane_b32 s6, v24, 6
	v_add_co_u32_e32 v6, vcc, s6, v6
	v_addc_co_u32_e32 v7, vcc, v8, v7, vcc
	v_readlane_b32 s8, v24, 8
	global_load_dword v10, v[6:7], off
	v_lshlrev_b64 v[6:7], 3, v[4:5]
	v_add_co_u32_e32 v6, vcc, s8, v6
	v_addc_co_u32_e32 v7, vcc, v9, v7, vcc
	global_load_dwordx2 v[6:7], v[6:7], off
	v_readlane_b32 s5, v24, 5
	s_mov_b64 s[4:5], 0
	v_readlane_b32 s7, v24, 7
	v_readlane_b32 s9, v24, 9
	;; [unrolled: 1-line block ×4, first 2 shown]
	s_waitcnt vmcnt(1)
	v_subrev_u32_e32 v5, s71, v10
	v_mul_lo_u32 v10, v5, s17
	v_and_b32_e32 v10, 0x7fff, v10
	s_waitcnt vmcnt(0)
	v_mul_f64 v[6:7], v[2:3], v[6:7]
	s_branch .LBB41_32
.LBB41_31:                              ;   in Loop: Header=BB41_32 Depth=2
	s_or_b64 exec, exec, s[6:7]
	s_xor_b64 s[6:7], s[8:9], -1
	s_and_b64 s[6:7], exec, s[6:7]
	s_or_b64 s[4:5], s[6:7], s[4:5]
	s_andn2_b64 exec, exec, s[4:5]
	s_cbranch_execz .LBB41_29
.LBB41_32:                              ;   Parent Loop BB41_30 Depth=1
                                        ; =>  This Inner Loop Header: Depth=2
	v_lshl_add_u32 v11, v10, 2, 0
	ds_read_b32 v12, v11
                                        ; implicit-def: $sgpr8_sgpr9
	s_waitcnt lgkmcnt(0)
	v_cmp_ne_u32_e32 vcc, v12, v5
	s_and_saveexec_b64 s[6:7], vcc
	s_xor_b64 s[6:7], exec, s[6:7]
	s_cbranch_execz .LBB41_40
; %bb.33:                               ;   in Loop: Header=BB41_32 Depth=2
	v_cmp_ne_u32_e32 vcc, s33, v12
                                        ; implicit-def: $sgpr8_sgpr9
	s_and_saveexec_b64 s[10:11], vcc
	s_xor_b64 s[10:11], exec, s[10:11]
; %bb.34:                               ;   in Loop: Header=BB41_32 Depth=2
	v_add_u32_e32 v10, 1, v10
	v_and_b32_e32 v10, 0x7fff, v10
	s_mov_b64 s[8:9], -1
                                        ; implicit-def: $vgpr11
; %bb.35:                               ;   in Loop: Header=BB41_32 Depth=2
	s_andn2_saveexec_b64 s[10:11], s[10:11]
	s_cbranch_execz .LBB41_39
; %bb.36:                               ;   in Loop: Header=BB41_32 Depth=2
	v_mov_b32_e32 v12, s33
	ds_cmpst_rtn_b32 v11, v11, v12, v5
	s_mov_b64 s[12:13], -1
	s_waitcnt lgkmcnt(0)
	v_cmp_eq_u32_e32 vcc, s33, v11
	s_and_saveexec_b64 s[14:15], vcc
	s_cbranch_execz .LBB41_38
; %bb.37:                               ;   in Loop: Header=BB41_32 Depth=2
	v_lshl_add_u32 v11, v10, 3, 0
	v_add_u32_e32 v11, 0x20000, v11
	ds_add_f64 v11, v[6:7]
	s_xor_b64 s[12:13], exec, -1
.LBB41_38:                              ;   in Loop: Header=BB41_32 Depth=2
	s_or_b64 exec, exec, s[14:15]
	s_andn2_b64 s[8:9], s[8:9], exec
	s_and_b64 s[12:13], s[12:13], exec
	s_or_b64 s[8:9], s[8:9], s[12:13]
.LBB41_39:                              ;   in Loop: Header=BB41_32 Depth=2
	s_or_b64 exec, exec, s[10:11]
	s_and_b64 s[8:9], s[8:9], exec
.LBB41_40:                              ;   in Loop: Header=BB41_32 Depth=2
	s_andn2_saveexec_b64 s[6:7], s[6:7]
	s_cbranch_execz .LBB41_31
; %bb.41:                               ;   in Loop: Header=BB41_32 Depth=2
	v_lshl_add_u32 v11, v10, 3, 0
	v_add_u32_e32 v11, 0x20000, v11
	ds_add_f64 v11, v[6:7]
	s_andn2_b64 s[8:9], s[8:9], exec
	s_branch .LBB41_31
.LBB41_42:
	s_or_b64 exec, exec, s[0:1]
.LBB41_43:
	s_add_i32 s0, 0, 0x60000
	v_writelane_b32 v24, s0, 14
	s_add_i32 s60, 0, 0x60004
	v_writelane_b32 v24, s60, 15
	;; [unrolled: 2-line block ×5, first 2 shown]
	s_add_i32 s60, 0, 0x60014
	s_waitcnt vmcnt(0)
	v_lshrrev_b32_e32 v4, 3, v0
	v_writelane_b32 v24, s60, 19
	s_add_i32 s60, 0, 0x60018
	v_mbcnt_lo_u32_b32 v2, -1, 0
	v_and_b32_e32 v4, 0x7c, v4
	v_writelane_b32 v24, s60, 20
	s_add_i32 s60, 0, 0x6001c
	v_mbcnt_hi_u32_b32 v2, -1, v2
	v_add_u32_e32 v7, s0, v4
	s_movk_i32 s0, 0x3ff
	v_writelane_b32 v24, s60, 21
	s_add_i32 s60, 0, 0x60020
	v_sub_u32_e32 v2, 63, v2
	v_cmp_eq_u32_e32 vcc, s0, v0
	s_movk_i32 s0, 0x5f
	s_movk_i32 s2, 0x7f
	;; [unrolled: 1-line block ×29, first 2 shown]
	v_writelane_b32 v24, s60, 22
	s_add_i32 s60, 0, 0x60024
	v_mov_b32_e32 v6, 0
	v_lshrrev_b64 v[2:3], v2, -1
	v_cmp_lt_u32_e64 s[0:1], s0, v0
	v_cmp_lt_u32_e64 s[2:3], s2, v0
	;; [unrolled: 1-line block ×29, first 2 shown]
	v_writelane_b32 v24, s60, 23
	s_add_i32 s88, 0, 0x60028
	s_add_i32 s89, 0, 0x6002c
	s_add_i32 s90, 0, 0x60030
	s_add_i32 s91, 0, 0x60034
	s_add_i32 s92, 0, 0x60038
	s_add_i32 s93, 0, 0x6003c
	s_add_i32 s94, 0, 0x60040
	s_add_i32 s95, 0, 0x60044
	s_add_i32 s76, 0, 0x60048
	s_add_i32 s66, 0, 0x6004c
	s_add_i32 s67, 0, 0x60050
	s_add_i32 s72, 0, 0x60054
	s_add_i32 s73, 0, 0x60058
	s_add_i32 s74, 0, 0x6005c
	s_add_i32 s75, 0, 0x60060
	s_add_i32 s71, 0, 0x60064
	s_add_i32 s77, 0, 0x60068
	s_add_i32 s80, 0, 0x6006c
	s_add_i32 s81, 0, 0x60070
	s_add_i32 s82, 0, 0x60074
	s_add_i32 s83, 0, 0x60078
	s_add_i32 s84, 0, 0x6007c
	s_movk_i32 s85, 0x7bff
	v_cmp_lt_u32_e64 s[60:61], 31, v0
	v_cmp_lt_u32_e64 s[62:63], 63, v0
	s_mov_b64 s[68:69], 0
	s_waitcnt lgkmcnt(0)
	s_barrier
	s_branch .LBB41_45
.LBB41_44:                              ;   in Loop: Header=BB41_45 Depth=1
	s_or_b64 exec, exec, s[64:65]
	v_mov_b32_e32 v4, s84
	s_waitcnt lgkmcnt(0)
	s_barrier
	ds_read_b32 v4, v4
	v_add_u32_e32 v1, 0x400, v1
	v_cmp_lt_u32_e64 s[64:65], s85, v1
	v_add_u32_e32 v14, 0x2000, v14
	s_or_b64 s[68:69], s[64:65], s[68:69]
	s_waitcnt lgkmcnt(0)
	v_add_u32_e32 v6, v4, v6
	v_add_u32_e32 v15, 0x1000, v15
	s_andn2_b64 exec, exec, s[68:69]
	s_cbranch_execz .LBB41_111
.LBB41_45:                              ; =>This Inner Loop Header: Depth=1
	ds_read_b32 v8, v15
	ds_read_b64 v[4:5], v14
	s_waitcnt lgkmcnt(0)
	s_barrier
	v_cmp_gt_i32_e64 s[64:65], s33, v8
	v_and_b32_e32 v10, s64, v2
	s_bcnt1_i32_b64 s78, s[64:65]
	v_and_b32_e32 v9, s65, v3
	v_bcnt_u32_b32 v10, v10, 0
	v_bcnt_u32_b32 v9, v9, v10
	v_mov_b32_e32 v10, s78
	ds_write_b32 v7, v10
	s_waitcnt lgkmcnt(0)
	s_barrier
	s_and_saveexec_b64 s[78:79], s[60:61]
	s_cbranch_execnz .LBB41_78
; %bb.46:                               ;   in Loop: Header=BB41_45 Depth=1
	s_or_b64 exec, exec, s[78:79]
	s_and_saveexec_b64 s[78:79], s[62:63]
	s_cbranch_execnz .LBB41_79
.LBB41_47:                              ;   in Loop: Header=BB41_45 Depth=1
	s_or_b64 exec, exec, s[78:79]
	s_and_saveexec_b64 s[78:79], s[0:1]
	s_cbranch_execnz .LBB41_80
.LBB41_48:                              ;   in Loop: Header=BB41_45 Depth=1
	s_or_b64 exec, exec, s[78:79]
	s_and_saveexec_b64 s[78:79], s[2:3]
	s_cbranch_execnz .LBB41_81
.LBB41_49:                              ;   in Loop: Header=BB41_45 Depth=1
	s_or_b64 exec, exec, s[78:79]
	s_and_saveexec_b64 s[78:79], s[4:5]
	s_cbranch_execnz .LBB41_82
.LBB41_50:                              ;   in Loop: Header=BB41_45 Depth=1
	s_or_b64 exec, exec, s[78:79]
	s_and_saveexec_b64 s[78:79], s[6:7]
	s_cbranch_execnz .LBB41_83
.LBB41_51:                              ;   in Loop: Header=BB41_45 Depth=1
	s_or_b64 exec, exec, s[78:79]
	s_and_saveexec_b64 s[78:79], s[8:9]
	s_cbranch_execnz .LBB41_84
.LBB41_52:                              ;   in Loop: Header=BB41_45 Depth=1
	s_or_b64 exec, exec, s[78:79]
	s_and_saveexec_b64 s[78:79], s[10:11]
	s_cbranch_execnz .LBB41_85
.LBB41_53:                              ;   in Loop: Header=BB41_45 Depth=1
	s_or_b64 exec, exec, s[78:79]
	s_and_saveexec_b64 s[78:79], s[12:13]
	s_cbranch_execnz .LBB41_86
.LBB41_54:                              ;   in Loop: Header=BB41_45 Depth=1
	s_or_b64 exec, exec, s[78:79]
	s_and_saveexec_b64 s[78:79], s[14:15]
	s_cbranch_execnz .LBB41_87
.LBB41_55:                              ;   in Loop: Header=BB41_45 Depth=1
	s_or_b64 exec, exec, s[78:79]
	s_and_saveexec_b64 s[78:79], s[16:17]
	s_cbranch_execnz .LBB41_88
.LBB41_56:                              ;   in Loop: Header=BB41_45 Depth=1
	s_or_b64 exec, exec, s[78:79]
	s_and_saveexec_b64 s[78:79], s[18:19]
	s_cbranch_execnz .LBB41_89
.LBB41_57:                              ;   in Loop: Header=BB41_45 Depth=1
	s_or_b64 exec, exec, s[78:79]
	s_and_saveexec_b64 s[78:79], s[20:21]
	s_cbranch_execnz .LBB41_90
.LBB41_58:                              ;   in Loop: Header=BB41_45 Depth=1
	s_or_b64 exec, exec, s[78:79]
	s_and_saveexec_b64 s[78:79], s[22:23]
	s_cbranch_execnz .LBB41_91
.LBB41_59:                              ;   in Loop: Header=BB41_45 Depth=1
	s_or_b64 exec, exec, s[78:79]
	s_and_saveexec_b64 s[78:79], s[24:25]
	s_cbranch_execnz .LBB41_92
.LBB41_60:                              ;   in Loop: Header=BB41_45 Depth=1
	s_or_b64 exec, exec, s[78:79]
	s_and_saveexec_b64 s[78:79], s[26:27]
	s_cbranch_execnz .LBB41_93
.LBB41_61:                              ;   in Loop: Header=BB41_45 Depth=1
	s_or_b64 exec, exec, s[78:79]
	s_and_saveexec_b64 s[78:79], s[28:29]
	s_cbranch_execnz .LBB41_94
.LBB41_62:                              ;   in Loop: Header=BB41_45 Depth=1
	s_or_b64 exec, exec, s[78:79]
	s_and_saveexec_b64 s[78:79], s[30:31]
	s_cbranch_execnz .LBB41_95
.LBB41_63:                              ;   in Loop: Header=BB41_45 Depth=1
	s_or_b64 exec, exec, s[78:79]
	s_and_saveexec_b64 s[78:79], s[34:35]
	s_cbranch_execnz .LBB41_96
.LBB41_64:                              ;   in Loop: Header=BB41_45 Depth=1
	s_or_b64 exec, exec, s[78:79]
	s_and_saveexec_b64 s[78:79], s[36:37]
	s_cbranch_execnz .LBB41_97
.LBB41_65:                              ;   in Loop: Header=BB41_45 Depth=1
	s_or_b64 exec, exec, s[78:79]
	s_and_saveexec_b64 s[78:79], s[38:39]
	s_cbranch_execnz .LBB41_98
.LBB41_66:                              ;   in Loop: Header=BB41_45 Depth=1
	s_or_b64 exec, exec, s[78:79]
	s_and_saveexec_b64 s[78:79], s[40:41]
	s_cbranch_execnz .LBB41_99
.LBB41_67:                              ;   in Loop: Header=BB41_45 Depth=1
	s_or_b64 exec, exec, s[78:79]
	s_and_saveexec_b64 s[78:79], s[42:43]
	s_cbranch_execnz .LBB41_100
.LBB41_68:                              ;   in Loop: Header=BB41_45 Depth=1
	s_or_b64 exec, exec, s[78:79]
	s_and_saveexec_b64 s[78:79], s[44:45]
	s_cbranch_execnz .LBB41_101
.LBB41_69:                              ;   in Loop: Header=BB41_45 Depth=1
	s_or_b64 exec, exec, s[78:79]
	s_and_saveexec_b64 s[78:79], s[46:47]
	s_cbranch_execnz .LBB41_102
.LBB41_70:                              ;   in Loop: Header=BB41_45 Depth=1
	s_or_b64 exec, exec, s[78:79]
	s_and_saveexec_b64 s[78:79], s[48:49]
	s_cbranch_execnz .LBB41_103
.LBB41_71:                              ;   in Loop: Header=BB41_45 Depth=1
	s_or_b64 exec, exec, s[78:79]
	s_and_saveexec_b64 s[78:79], s[50:51]
	s_cbranch_execnz .LBB41_104
.LBB41_72:                              ;   in Loop: Header=BB41_45 Depth=1
	s_or_b64 exec, exec, s[78:79]
	s_and_saveexec_b64 s[78:79], s[52:53]
	s_cbranch_execnz .LBB41_105
.LBB41_73:                              ;   in Loop: Header=BB41_45 Depth=1
	s_or_b64 exec, exec, s[78:79]
	s_and_saveexec_b64 s[78:79], s[54:55]
	s_cbranch_execnz .LBB41_106
.LBB41_74:                              ;   in Loop: Header=BB41_45 Depth=1
	s_or_b64 exec, exec, s[78:79]
	s_and_saveexec_b64 s[78:79], s[56:57]
	s_cbranch_execnz .LBB41_107
.LBB41_75:                              ;   in Loop: Header=BB41_45 Depth=1
	s_or_b64 exec, exec, s[78:79]
	s_and_saveexec_b64 s[78:79], s[58:59]
	s_cbranch_execnz .LBB41_108
.LBB41_76:                              ;   in Loop: Header=BB41_45 Depth=1
	s_or_b64 exec, exec, s[78:79]
	s_and_saveexec_b64 s[78:79], s[64:65]
	s_cbranch_execnz .LBB41_109
.LBB41_77:                              ;   in Loop: Header=BB41_45 Depth=1
	s_or_b64 exec, exec, s[78:79]
	s_and_saveexec_b64 s[64:65], vcc
	s_cbranch_execz .LBB41_44
	s_branch .LBB41_110
.LBB41_78:                              ;   in Loop: Header=BB41_45 Depth=1
	v_readlane_b32 s86, v24, 14
	v_mov_b32_e32 v10, s86
	ds_read_b32 v10, v10
	s_waitcnt lgkmcnt(0)
	v_add_u32_e32 v9, v10, v9
	s_or_b64 exec, exec, s[78:79]
	s_and_saveexec_b64 s[78:79], s[62:63]
	s_cbranch_execz .LBB41_47
.LBB41_79:                              ;   in Loop: Header=BB41_45 Depth=1
	v_readlane_b32 s86, v24, 15
	v_mov_b32_e32 v10, s86
	ds_read_b32 v10, v10
	s_waitcnt lgkmcnt(0)
	v_add_u32_e32 v9, v10, v9
	s_or_b64 exec, exec, s[78:79]
	s_and_saveexec_b64 s[78:79], s[0:1]
	s_cbranch_execz .LBB41_48
.LBB41_80:                              ;   in Loop: Header=BB41_45 Depth=1
	v_readlane_b32 s86, v24, 16
	v_mov_b32_e32 v10, s86
	ds_read_b32 v10, v10
	s_waitcnt lgkmcnt(0)
	v_add_u32_e32 v9, v10, v9
	s_or_b64 exec, exec, s[78:79]
	s_and_saveexec_b64 s[78:79], s[2:3]
	s_cbranch_execz .LBB41_49
.LBB41_81:                              ;   in Loop: Header=BB41_45 Depth=1
	v_readlane_b32 s86, v24, 17
	v_mov_b32_e32 v10, s86
	ds_read_b32 v10, v10
	s_waitcnt lgkmcnt(0)
	v_add_u32_e32 v9, v10, v9
	s_or_b64 exec, exec, s[78:79]
	s_and_saveexec_b64 s[78:79], s[4:5]
	s_cbranch_execz .LBB41_50
.LBB41_82:                              ;   in Loop: Header=BB41_45 Depth=1
	v_readlane_b32 s86, v24, 18
	v_mov_b32_e32 v10, s86
	ds_read_b32 v10, v10
	s_waitcnt lgkmcnt(0)
	v_add_u32_e32 v9, v10, v9
	s_or_b64 exec, exec, s[78:79]
	s_and_saveexec_b64 s[78:79], s[6:7]
	s_cbranch_execz .LBB41_51
.LBB41_83:                              ;   in Loop: Header=BB41_45 Depth=1
	v_readlane_b32 s86, v24, 19
	v_mov_b32_e32 v10, s86
	ds_read_b32 v10, v10
	s_waitcnt lgkmcnt(0)
	v_add_u32_e32 v9, v10, v9
	s_or_b64 exec, exec, s[78:79]
	s_and_saveexec_b64 s[78:79], s[8:9]
	s_cbranch_execz .LBB41_52
.LBB41_84:                              ;   in Loop: Header=BB41_45 Depth=1
	v_readlane_b32 s86, v24, 20
	v_mov_b32_e32 v10, s86
	ds_read_b32 v10, v10
	s_waitcnt lgkmcnt(0)
	v_add_u32_e32 v9, v10, v9
	s_or_b64 exec, exec, s[78:79]
	s_and_saveexec_b64 s[78:79], s[10:11]
	s_cbranch_execz .LBB41_53
.LBB41_85:                              ;   in Loop: Header=BB41_45 Depth=1
	v_readlane_b32 s86, v24, 21
	v_mov_b32_e32 v10, s86
	ds_read_b32 v10, v10
	s_waitcnt lgkmcnt(0)
	v_add_u32_e32 v9, v10, v9
	s_or_b64 exec, exec, s[78:79]
	s_and_saveexec_b64 s[78:79], s[12:13]
	s_cbranch_execz .LBB41_54
.LBB41_86:                              ;   in Loop: Header=BB41_45 Depth=1
	v_readlane_b32 s86, v24, 22
	v_mov_b32_e32 v10, s86
	ds_read_b32 v10, v10
	s_waitcnt lgkmcnt(0)
	v_add_u32_e32 v9, v10, v9
	s_or_b64 exec, exec, s[78:79]
	s_and_saveexec_b64 s[78:79], s[14:15]
	s_cbranch_execz .LBB41_55
.LBB41_87:                              ;   in Loop: Header=BB41_45 Depth=1
	v_readlane_b32 s86, v24, 23
	v_mov_b32_e32 v10, s86
	ds_read_b32 v10, v10
	s_waitcnt lgkmcnt(0)
	v_add_u32_e32 v9, v10, v9
	s_or_b64 exec, exec, s[78:79]
	s_and_saveexec_b64 s[78:79], s[16:17]
	s_cbranch_execz .LBB41_56
.LBB41_88:                              ;   in Loop: Header=BB41_45 Depth=1
	v_mov_b32_e32 v10, s88
	ds_read_b32 v10, v10
	s_waitcnt lgkmcnt(0)
	v_add_u32_e32 v9, v10, v9
	s_or_b64 exec, exec, s[78:79]
	s_and_saveexec_b64 s[78:79], s[18:19]
	s_cbranch_execz .LBB41_57
.LBB41_89:                              ;   in Loop: Header=BB41_45 Depth=1
	v_mov_b32_e32 v10, s89
	ds_read_b32 v10, v10
	s_waitcnt lgkmcnt(0)
	v_add_u32_e32 v9, v10, v9
	s_or_b64 exec, exec, s[78:79]
	s_and_saveexec_b64 s[78:79], s[20:21]
	s_cbranch_execz .LBB41_58
.LBB41_90:                              ;   in Loop: Header=BB41_45 Depth=1
	v_mov_b32_e32 v10, s90
	ds_read_b32 v10, v10
	s_waitcnt lgkmcnt(0)
	v_add_u32_e32 v9, v10, v9
	s_or_b64 exec, exec, s[78:79]
	s_and_saveexec_b64 s[78:79], s[22:23]
	s_cbranch_execz .LBB41_59
.LBB41_91:                              ;   in Loop: Header=BB41_45 Depth=1
	v_mov_b32_e32 v10, s91
	ds_read_b32 v10, v10
	s_waitcnt lgkmcnt(0)
	v_add_u32_e32 v9, v10, v9
	s_or_b64 exec, exec, s[78:79]
	s_and_saveexec_b64 s[78:79], s[24:25]
	s_cbranch_execz .LBB41_60
.LBB41_92:                              ;   in Loop: Header=BB41_45 Depth=1
	v_mov_b32_e32 v10, s92
	ds_read_b32 v10, v10
	s_waitcnt lgkmcnt(0)
	v_add_u32_e32 v9, v10, v9
	s_or_b64 exec, exec, s[78:79]
	s_and_saveexec_b64 s[78:79], s[26:27]
	s_cbranch_execz .LBB41_61
.LBB41_93:                              ;   in Loop: Header=BB41_45 Depth=1
	v_mov_b32_e32 v10, s93
	ds_read_b32 v10, v10
	s_waitcnt lgkmcnt(0)
	v_add_u32_e32 v9, v10, v9
	s_or_b64 exec, exec, s[78:79]
	s_and_saveexec_b64 s[78:79], s[28:29]
	s_cbranch_execz .LBB41_62
.LBB41_94:                              ;   in Loop: Header=BB41_45 Depth=1
	v_mov_b32_e32 v10, s94
	ds_read_b32 v10, v10
	s_waitcnt lgkmcnt(0)
	v_add_u32_e32 v9, v10, v9
	s_or_b64 exec, exec, s[78:79]
	s_and_saveexec_b64 s[78:79], s[30:31]
	s_cbranch_execz .LBB41_63
.LBB41_95:                              ;   in Loop: Header=BB41_45 Depth=1
	v_mov_b32_e32 v10, s95
	ds_read_b32 v10, v10
	s_waitcnt lgkmcnt(0)
	v_add_u32_e32 v9, v10, v9
	s_or_b64 exec, exec, s[78:79]
	s_and_saveexec_b64 s[78:79], s[34:35]
	s_cbranch_execz .LBB41_64
.LBB41_96:                              ;   in Loop: Header=BB41_45 Depth=1
	v_mov_b32_e32 v10, s76
	ds_read_b32 v10, v10
	s_waitcnt lgkmcnt(0)
	v_add_u32_e32 v9, v10, v9
	s_or_b64 exec, exec, s[78:79]
	s_and_saveexec_b64 s[78:79], s[36:37]
	s_cbranch_execz .LBB41_65
.LBB41_97:                              ;   in Loop: Header=BB41_45 Depth=1
	v_mov_b32_e32 v10, s66
	ds_read_b32 v10, v10
	s_waitcnt lgkmcnt(0)
	v_add_u32_e32 v9, v10, v9
	s_or_b64 exec, exec, s[78:79]
	s_and_saveexec_b64 s[78:79], s[38:39]
	s_cbranch_execz .LBB41_66
.LBB41_98:                              ;   in Loop: Header=BB41_45 Depth=1
	v_mov_b32_e32 v10, s67
	ds_read_b32 v10, v10
	s_waitcnt lgkmcnt(0)
	v_add_u32_e32 v9, v10, v9
	s_or_b64 exec, exec, s[78:79]
	s_and_saveexec_b64 s[78:79], s[40:41]
	s_cbranch_execz .LBB41_67
.LBB41_99:                              ;   in Loop: Header=BB41_45 Depth=1
	v_mov_b32_e32 v10, s72
	ds_read_b32 v10, v10
	s_waitcnt lgkmcnt(0)
	v_add_u32_e32 v9, v10, v9
	s_or_b64 exec, exec, s[78:79]
	s_and_saveexec_b64 s[78:79], s[42:43]
	s_cbranch_execz .LBB41_68
.LBB41_100:                             ;   in Loop: Header=BB41_45 Depth=1
	v_mov_b32_e32 v10, s73
	ds_read_b32 v10, v10
	s_waitcnt lgkmcnt(0)
	v_add_u32_e32 v9, v10, v9
	s_or_b64 exec, exec, s[78:79]
	s_and_saveexec_b64 s[78:79], s[44:45]
	s_cbranch_execz .LBB41_69
.LBB41_101:                             ;   in Loop: Header=BB41_45 Depth=1
	v_mov_b32_e32 v10, s74
	ds_read_b32 v10, v10
	s_waitcnt lgkmcnt(0)
	v_add_u32_e32 v9, v10, v9
	s_or_b64 exec, exec, s[78:79]
	s_and_saveexec_b64 s[78:79], s[46:47]
	s_cbranch_execz .LBB41_70
.LBB41_102:                             ;   in Loop: Header=BB41_45 Depth=1
	v_mov_b32_e32 v10, s75
	ds_read_b32 v10, v10
	s_waitcnt lgkmcnt(0)
	v_add_u32_e32 v9, v10, v9
	s_or_b64 exec, exec, s[78:79]
	s_and_saveexec_b64 s[78:79], s[48:49]
	s_cbranch_execz .LBB41_71
.LBB41_103:                             ;   in Loop: Header=BB41_45 Depth=1
	v_mov_b32_e32 v10, s71
	ds_read_b32 v10, v10
	s_waitcnt lgkmcnt(0)
	v_add_u32_e32 v9, v10, v9
	s_or_b64 exec, exec, s[78:79]
	s_and_saveexec_b64 s[78:79], s[50:51]
	s_cbranch_execz .LBB41_72
.LBB41_104:                             ;   in Loop: Header=BB41_45 Depth=1
	v_mov_b32_e32 v10, s77
	ds_read_b32 v10, v10
	s_waitcnt lgkmcnt(0)
	v_add_u32_e32 v9, v10, v9
	s_or_b64 exec, exec, s[78:79]
	s_and_saveexec_b64 s[78:79], s[52:53]
	s_cbranch_execz .LBB41_73
.LBB41_105:                             ;   in Loop: Header=BB41_45 Depth=1
	v_mov_b32_e32 v10, s80
	ds_read_b32 v10, v10
	s_waitcnt lgkmcnt(0)
	v_add_u32_e32 v9, v10, v9
	s_or_b64 exec, exec, s[78:79]
	s_and_saveexec_b64 s[78:79], s[54:55]
	s_cbranch_execz .LBB41_74
.LBB41_106:                             ;   in Loop: Header=BB41_45 Depth=1
	v_mov_b32_e32 v10, s81
	ds_read_b32 v10, v10
	s_waitcnt lgkmcnt(0)
	v_add_u32_e32 v9, v10, v9
	s_or_b64 exec, exec, s[78:79]
	s_and_saveexec_b64 s[78:79], s[56:57]
	s_cbranch_execz .LBB41_75
.LBB41_107:                             ;   in Loop: Header=BB41_45 Depth=1
	v_mov_b32_e32 v10, s82
	ds_read_b32 v10, v10
	s_waitcnt lgkmcnt(0)
	v_add_u32_e32 v9, v10, v9
	s_or_b64 exec, exec, s[78:79]
	s_and_saveexec_b64 s[78:79], s[58:59]
	s_cbranch_execz .LBB41_76
.LBB41_108:                             ;   in Loop: Header=BB41_45 Depth=1
	v_mov_b32_e32 v10, s83
	ds_read_b32 v10, v10
	s_waitcnt lgkmcnt(0)
	v_add_u32_e32 v9, v10, v9
	s_or_b64 exec, exec, s[78:79]
	s_and_saveexec_b64 s[78:79], s[64:65]
	s_cbranch_execz .LBB41_77
.LBB41_109:                             ;   in Loop: Header=BB41_45 Depth=1
	v_add3_u32 v10, v6, -1, v9
	v_lshl_add_u32 v11, v10, 2, 0
	v_lshl_add_u32 v10, v10, 3, 0
	v_add_u32_e32 v10, 0x20000, v10
	ds_write_b32 v11, v8
	ds_write_b64 v10, v[4:5]
	s_or_b64 exec, exec, s[78:79]
	s_and_saveexec_b64 s[64:65], vcc
	s_cbranch_execz .LBB41_44
.LBB41_110:                             ;   in Loop: Header=BB41_45 Depth=1
	v_mov_b32_e32 v4, s84
	ds_write_b32 v4, v9
	s_branch .LBB41_44
.LBB41_111:
	s_or_b64 exec, exec, s[68:69]
	v_readlane_b32 s0, v24, 12
	v_readlane_b32 s1, v24, 13
	;; [unrolled: 1-line block ×3, first 2 shown]
	s_ashr_i32 s1, s0, 31
	v_readlane_b32 s6, v24, 6
	v_readlane_b32 s7, v24, 7
	;; [unrolled: 1-line block ×4, first 2 shown]
	s_lshl_b64 s[0:1], s[0:1], 2
	s_mov_b64 s[6:7], s[10:11]
	s_add_u32 s0, s6, s0
	s_addc_u32 s1, s7, s1
	s_load_dwordx2 s[0:1], s[0:1], 0x0
	v_readlane_b32 s5, v24, 5
	v_readlane_b32 s8, v24, 8
	v_readlane_b32 s9, v24, 9
	s_waitcnt lgkmcnt(0)
	s_sub_i32 s14, s1, s0
	v_cmp_gt_i32_e32 vcc, s14, v0
	s_and_saveexec_b64 s[2:3], vcc
	s_cbranch_execz .LBB41_126
; %bb.112:
	s_sub_i32 s6, s0, s70
	s_add_i32 s0, s14, -2
	s_lshr_b32 s1, s0, 1
	s_add_i32 s2, s1, 1
	s_cmp_gt_u32 s14, 1
	s_cselect_b64 s[8:9], -1, 0
	s_and_b32 s15, s14, -2
	s_and_b32 s4, s2, 7
	s_cmp_gt_u32 s0, 13
	s_cselect_b64 s[0:1], -1, 0
	s_and_b32 s16, s2, -8
	s_cmp_lg_u32 s4, 0
	s_cselect_b64 s[2:3], -1, 0
	v_cndmask_b32_e64 v1, 0, 1, s[0:1]
	v_readlane_b32 s20, v24, 0
	s_cmp_lg_u32 s14, s15
	v_cmp_ne_u32_e64 s[0:1], 1, v1
	v_cndmask_b32_e64 v1, 0, 1, s[2:3]
	v_readlane_b32 s21, v24, 1
	v_readlane_b32 s23, v24, 3
	s_mov_b32 s7, 0
	s_cselect_b64 s[10:11], -1, 0
	s_lshl_b32 s17, s4, 3
	s_mov_b64 s[12:13], 0
	v_cmp_ne_u32_e64 s[2:3], 1, v1
	v_mov_b32_e32 v1, s21
	v_mov_b32_e32 v6, s23
	v_readlane_b32 s22, v24, 2
	s_branch .LBB41_114
.LBB41_113:                             ;   in Loop: Header=BB41_114 Depth=1
	v_ashrrev_i32_e32 v5, 31, v4
	v_lshlrev_b64 v[8:9], 2, v[4:5]
	v_readlane_b32 s20, v24, 0
	v_add_co_u32_e32 v8, vcc, s20, v8
	v_readlane_b32 s22, v24, 2
	v_addc_co_u32_e32 v9, vcc, v1, v9, vcc
	v_lshlrev_b64 v[4:5], 3, v[4:5]
	v_add_co_u32_e32 v4, vcc, s22, v4
	v_addc_co_u32_e32 v5, vcc, v6, v5, vcc
	v_add_u32_e32 v0, 0x400, v0
	v_cmp_le_i32_e32 vcc, s14, v0
	s_waitcnt lgkmcnt(1)
	v_add_u32_e32 v7, s70, v7
	s_or_b64 s[12:13], vcc, s[12:13]
	v_readlane_b32 s21, v24, 1
	v_readlane_b32 s23, v24, 3
	global_store_dword v[8:9], v7, off
	s_waitcnt lgkmcnt(0)
	global_store_dwordx2 v[4:5], v[2:3], off
	s_andn2_b64 exec, exec, s[12:13]
	s_cbranch_execz .LBB41_126
.LBB41_114:                             ; =>This Loop Header: Depth=1
                                        ;     Child Loop BB41_117 Depth 2
                                        ;     Child Loop BB41_122 Depth 2
	;; [unrolled: 1-line block ×3, first 2 shown]
	v_lshl_add_u32 v3, v0, 3, 0
	v_lshl_add_u32 v2, v0, 2, 0
	v_add_u32_e32 v3, 0x20000, v3
	ds_read_b32 v7, v2
	ds_read_b64 v[2:3], v3
	s_and_b64 vcc, exec, s[8:9]
	s_cbranch_vccz .LBB41_119
; %bb.115:                              ;   in Loop: Header=BB41_114 Depth=1
	s_and_b64 vcc, exec, s[0:1]
	s_cbranch_vccnz .LBB41_120
; %bb.116:                              ;   in Loop: Header=BB41_114 Depth=1
	s_mov_b32 s19, 0
	v_mov_b32_e32 v4, s6
	v_mov_b32_e32 v5, 0
	s_mov_b32 s20, s16
	s_mov_b32 s18, 0
.LBB41_117:                             ;   Parent Loop BB41_114 Depth=1
                                        ; =>  This Inner Loop Header: Depth=2
	v_mov_b32_e32 v22, s19
	ds_read2_b32 v[8:9], v22 offset1:1
	ds_read2_b32 v[10:11], v22 offset0:2 offset1:3
	ds_read2_b32 v[12:13], v22 offset0:4 offset1:5
	;; [unrolled: 1-line block ×7, first 2 shown]
	s_waitcnt lgkmcnt(7)
	v_cmp_gt_i32_e32 vcc, v7, v9
	v_cndmask_b32_e64 v9, 0, 1, vcc
	v_cmp_gt_i32_e32 vcc, v7, v8
	s_waitcnt lgkmcnt(5)
	v_cmp_gt_i32_e64 s[4:5], v7, v12
	v_cndmask_b32_e64 v8, 0, 1, vcc
	v_cmp_gt_i32_e32 vcc, v7, v11
	v_cndmask_b32_e64 v11, 0, 1, s[4:5]
	v_cmp_gt_i32_e64 s[4:5], v7, v13
	v_cndmask_b32_e64 v12, 0, 1, s[4:5]
	s_waitcnt lgkmcnt(3)
	v_cmp_gt_i32_e64 s[4:5], v7, v17
	v_cndmask_b32_e64 v13, 0, 1, s[4:5]
	v_cmp_gt_i32_e64 s[4:5], v7, v16
	v_cndmask_b32_e64 v16, 0, 1, s[4:5]
	s_waitcnt lgkmcnt(1)
	v_cmp_gt_i32_e64 s[4:5], v7, v20
	v_cndmask_b32_e64 v17, 0, 1, s[4:5]
	v_cmp_gt_i32_e64 s[4:5], v7, v21
	v_cndmask_b32_e64 v20, 0, 1, s[4:5]
	v_cmp_gt_i32_e64 s[4:5], v7, v10
	v_addc_co_u32_e64 v4, s[4:5], v4, v8, s[4:5]
	v_addc_co_u32_e32 v5, vcc, v5, v9, vcc
	v_cmp_gt_i32_e32 vcc, v7, v14
	v_cmp_gt_i32_e64 s[4:5], v7, v15
	v_addc_co_u32_e64 v5, s[4:5], v5, v12, s[4:5]
	v_addc_co_u32_e32 v4, vcc, v4, v11, vcc
	v_cmp_gt_i32_e32 vcc, v7, v19
	v_cmp_gt_i32_e64 s[4:5], v7, v18
	v_addc_co_u32_e64 v4, s[4:5], v4, v16, s[4:5]
	v_addc_co_u32_e32 v5, vcc, v5, v13, vcc
	s_add_i32 s18, s18, 16
	s_add_i32 s19, s19, 64
	s_add_i32 s20, s20, -8
	s_waitcnt lgkmcnt(0)
	v_cmp_gt_i32_e32 vcc, v7, v22
	v_cmp_gt_i32_e64 s[4:5], v7, v23
	s_cmp_lg_u32 s20, 0
	v_addc_co_u32_e64 v5, s[4:5], v5, v20, s[4:5]
	v_addc_co_u32_e32 v4, vcc, v4, v17, vcc
	s_cbranch_scc1 .LBB41_117
; %bb.118:                              ;   in Loop: Header=BB41_114 Depth=1
	s_and_b64 vcc, exec, s[2:3]
	s_cbranch_vccz .LBB41_121
	s_branch .LBB41_123
.LBB41_119:                             ;   in Loop: Header=BB41_114 Depth=1
	v_mov_b32_e32 v4, s6
	s_mov_b32 s18, 0
	s_cbranch_execz .LBB41_113
	s_branch .LBB41_124
.LBB41_120:                             ;   in Loop: Header=BB41_114 Depth=1
	v_pk_mov_b32 v[4:5], s[6:7], s[6:7] op_sel:[0,1]
	s_mov_b32 s18, 0
	s_and_b64 vcc, exec, s[2:3]
	s_cbranch_vccnz .LBB41_123
.LBB41_121:                             ;   in Loop: Header=BB41_114 Depth=1
	s_lshl_b32 s4, s18, 2
	s_add_i32 s4, s4, 0
	s_mov_b32 s5, s17
.LBB41_122:                             ;   Parent Loop BB41_114 Depth=1
                                        ; =>  This Inner Loop Header: Depth=2
	v_mov_b32_e32 v8, s4
	ds_read2_b32 v[8:9], v8 offset1:1
	s_add_i32 s4, s4, 8
	s_add_i32 s5, s5, -8
	s_cmp_lg_u32 s5, 0
	s_waitcnt lgkmcnt(0)
	v_cmp_gt_i32_e32 vcc, v7, v9
	v_addc_co_u32_e32 v5, vcc, 0, v5, vcc
	v_cmp_gt_i32_e32 vcc, v7, v8
	v_addc_co_u32_e32 v4, vcc, 0, v4, vcc
	s_cbranch_scc1 .LBB41_122
.LBB41_123:                             ;   in Loop: Header=BB41_114 Depth=1
	v_add_u32_e32 v4, v4, v5
	s_mov_b32 s18, s15
	s_mov_b64 s[4:5], s[10:11]
	s_and_b64 vcc, exec, s[4:5]
	s_cbranch_vccz .LBB41_113
.LBB41_124:                             ;   in Loop: Header=BB41_114 Depth=1
	s_lshl_b32 s4, s18, 2
	s_add_i32 s4, s4, 0
.LBB41_125:                             ;   Parent Loop BB41_114 Depth=1
                                        ; =>  This Inner Loop Header: Depth=2
	v_mov_b32_e32 v5, s4
	ds_read_b32 v5, v5
	s_add_i32 s18, s18, 1
	s_add_i32 s4, s4, 4
	s_cmp_ge_i32 s18, s14
	s_waitcnt lgkmcnt(0)
	v_cmp_gt_i32_e32 vcc, v7, v5
	v_addc_co_u32_e32 v4, vcc, 0, v4, vcc
	s_cbranch_scc0 .LBB41_125
	s_branch .LBB41_113
.LBB41_126:
	s_endpgm
	.section	.rodata,"a",@progbits
	.p2align	6, 0x0
	.amdhsa_kernel _ZN9rocsparseL26csrgemm_fill_block_per_rowILj1024ELj64ELj32768ELj137ELj32EiidEEvT5_PKS1_S3_NS_24const_host_device_scalarIT6_EEPKT4_S3_PKS5_S9_S3_SB_S6_S9_S3_SB_S9_PS1_PS5_21rocsparse_index_base_SE_SE_SE_bbb
		.amdhsa_group_segment_fixed_size 0
		.amdhsa_private_segment_fixed_size 0
		.amdhsa_kernarg_size 156
		.amdhsa_user_sgpr_count 6
		.amdhsa_user_sgpr_private_segment_buffer 1
		.amdhsa_user_sgpr_dispatch_ptr 0
		.amdhsa_user_sgpr_queue_ptr 0
		.amdhsa_user_sgpr_kernarg_segment_ptr 1
		.amdhsa_user_sgpr_dispatch_id 0
		.amdhsa_user_sgpr_flat_scratch_init 0
		.amdhsa_user_sgpr_kernarg_preload_length 0
		.amdhsa_user_sgpr_kernarg_preload_offset 0
		.amdhsa_user_sgpr_private_segment_size 0
		.amdhsa_uses_dynamic_stack 0
		.amdhsa_system_sgpr_private_segment_wavefront_offset 0
		.amdhsa_system_sgpr_workgroup_id_x 1
		.amdhsa_system_sgpr_workgroup_id_y 0
		.amdhsa_system_sgpr_workgroup_id_z 0
		.amdhsa_system_sgpr_workgroup_info 0
		.amdhsa_system_vgpr_workitem_id 0
		.amdhsa_next_free_vgpr 25
		.amdhsa_next_free_sgpr 96
		.amdhsa_accum_offset 28
		.amdhsa_reserve_vcc 1
		.amdhsa_reserve_flat_scratch 0
		.amdhsa_float_round_mode_32 0
		.amdhsa_float_round_mode_16_64 0
		.amdhsa_float_denorm_mode_32 3
		.amdhsa_float_denorm_mode_16_64 3
		.amdhsa_dx10_clamp 1
		.amdhsa_ieee_mode 1
		.amdhsa_fp16_overflow 0
		.amdhsa_tg_split 0
		.amdhsa_exception_fp_ieee_invalid_op 0
		.amdhsa_exception_fp_denorm_src 0
		.amdhsa_exception_fp_ieee_div_zero 0
		.amdhsa_exception_fp_ieee_overflow 0
		.amdhsa_exception_fp_ieee_underflow 0
		.amdhsa_exception_fp_ieee_inexact 0
		.amdhsa_exception_int_div_zero 0
	.end_amdhsa_kernel
	.section	.text._ZN9rocsparseL26csrgemm_fill_block_per_rowILj1024ELj64ELj32768ELj137ELj32EiidEEvT5_PKS1_S3_NS_24const_host_device_scalarIT6_EEPKT4_S3_PKS5_S9_S3_SB_S6_S9_S3_SB_S9_PS1_PS5_21rocsparse_index_base_SE_SE_SE_bbb,"axG",@progbits,_ZN9rocsparseL26csrgemm_fill_block_per_rowILj1024ELj64ELj32768ELj137ELj32EiidEEvT5_PKS1_S3_NS_24const_host_device_scalarIT6_EEPKT4_S3_PKS5_S9_S3_SB_S6_S9_S3_SB_S9_PS1_PS5_21rocsparse_index_base_SE_SE_SE_bbb,comdat
.Lfunc_end41:
	.size	_ZN9rocsparseL26csrgemm_fill_block_per_rowILj1024ELj64ELj32768ELj137ELj32EiidEEvT5_PKS1_S3_NS_24const_host_device_scalarIT6_EEPKT4_S3_PKS5_S9_S3_SB_S6_S9_S3_SB_S9_PS1_PS5_21rocsparse_index_base_SE_SE_SE_bbb, .Lfunc_end41-_ZN9rocsparseL26csrgemm_fill_block_per_rowILj1024ELj64ELj32768ELj137ELj32EiidEEvT5_PKS1_S3_NS_24const_host_device_scalarIT6_EEPKT4_S3_PKS5_S9_S3_SB_S6_S9_S3_SB_S9_PS1_PS5_21rocsparse_index_base_SE_SE_SE_bbb
                                        ; -- End function
	.section	.AMDGPU.csdata,"",@progbits
; Kernel info:
; codeLenInByte = 5276
; NumSgprs: 100
; NumVgprs: 25
; NumAgprs: 0
; TotalNumVgprs: 25
; ScratchSize: 0
; MemoryBound: 0
; FloatMode: 240
; IeeeMode: 1
; LDSByteSize: 0 bytes/workgroup (compile time only)
; SGPRBlocks: 12
; VGPRBlocks: 3
; NumSGPRsForWavesPerEU: 100
; NumVGPRsForWavesPerEU: 25
; AccumOffset: 28
; Occupancy: 8
; WaveLimiterHint : 1
; COMPUTE_PGM_RSRC2:SCRATCH_EN: 0
; COMPUTE_PGM_RSRC2:USER_SGPR: 6
; COMPUTE_PGM_RSRC2:TRAP_HANDLER: 0
; COMPUTE_PGM_RSRC2:TGID_X_EN: 1
; COMPUTE_PGM_RSRC2:TGID_Y_EN: 0
; COMPUTE_PGM_RSRC2:TGID_Z_EN: 0
; COMPUTE_PGM_RSRC2:TIDIG_COMP_CNT: 0
; COMPUTE_PGM_RSRC3_GFX90A:ACCUM_OFFSET: 6
; COMPUTE_PGM_RSRC3_GFX90A:TG_SPLIT: 0
	.section	.text._ZN9rocsparseL26csrgemm_fill_block_per_rowILj1024ELj64ELj32768ELj137ELj64EiidEEvT5_PKS1_S3_NS_24const_host_device_scalarIT6_EEPKT4_S3_PKS5_S9_S3_SB_S6_S9_S3_SB_S9_PS1_PS5_21rocsparse_index_base_SE_SE_SE_bbb,"axG",@progbits,_ZN9rocsparseL26csrgemm_fill_block_per_rowILj1024ELj64ELj32768ELj137ELj64EiidEEvT5_PKS1_S3_NS_24const_host_device_scalarIT6_EEPKT4_S3_PKS5_S9_S3_SB_S6_S9_S3_SB_S9_PS1_PS5_21rocsparse_index_base_SE_SE_SE_bbb,comdat
	.globl	_ZN9rocsparseL26csrgemm_fill_block_per_rowILj1024ELj64ELj32768ELj137ELj64EiidEEvT5_PKS1_S3_NS_24const_host_device_scalarIT6_EEPKT4_S3_PKS5_S9_S3_SB_S6_S9_S3_SB_S9_PS1_PS5_21rocsparse_index_base_SE_SE_SE_bbb ; -- Begin function _ZN9rocsparseL26csrgemm_fill_block_per_rowILj1024ELj64ELj32768ELj137ELj64EiidEEvT5_PKS1_S3_NS_24const_host_device_scalarIT6_EEPKT4_S3_PKS5_S9_S3_SB_S6_S9_S3_SB_S9_PS1_PS5_21rocsparse_index_base_SE_SE_SE_bbb
	.p2align	8
	.type	_ZN9rocsparseL26csrgemm_fill_block_per_rowILj1024ELj64ELj32768ELj137ELj64EiidEEvT5_PKS1_S3_NS_24const_host_device_scalarIT6_EEPKT4_S3_PKS5_S9_S3_SB_S6_S9_S3_SB_S9_PS1_PS5_21rocsparse_index_base_SE_SE_SE_bbb,@function
_ZN9rocsparseL26csrgemm_fill_block_per_rowILj1024ELj64ELj32768ELj137ELj64EiidEEvT5_PKS1_S3_NS_24const_host_device_scalarIT6_EEPKT4_S3_PKS5_S9_S3_SB_S6_S9_S3_SB_S9_PS1_PS5_21rocsparse_index_base_SE_SE_SE_bbb: ; @_ZN9rocsparseL26csrgemm_fill_block_per_rowILj1024ELj64ELj32768ELj137ELj64EiidEEvT5_PKS1_S3_NS_24const_host_device_scalarIT6_EEPKT4_S3_PKS5_S9_S3_SB_S6_S9_S3_SB_S9_PS1_PS5_21rocsparse_index_base_SE_SE_SE_bbb
; %bb.0:
	s_load_dword s7, s[4:5], 0x98
	s_load_dwordx4 s[44:47], s[4:5], 0x88
	s_load_dwordx2 s[0:1], s[4:5], 0x18
	s_load_dwordx2 s[24:25], s[4:5], 0x50
	s_waitcnt lgkmcnt(0)
	s_and_b32 s2, 1, s7
	s_bitcmp1_b32 s7, 16
	s_cselect_b64 s[26:27], -1, 0
	s_cmp_eq_u32 s2, 1
	s_cselect_b64 s[22:23], -1, 0
	s_and_b64 s[2:3], s[22:23], exec
	s_cselect_b32 s3, s1, 0
	s_cselect_b32 s2, s0, 0
	s_xor_b64 s[8:9], s[22:23], -1
	s_or_b64 s[8:9], s[8:9], s[26:27]
	s_and_b64 vcc, exec, s[8:9]
	v_pk_mov_b32 v[4:5], s[2:3], s[2:3] op_sel:[0,1]
	s_cbranch_vccnz .LBB42_2
; %bb.1:
	v_pk_mov_b32 v[2:3], s[0:1], s[0:1] op_sel:[0,1]
	flat_load_dwordx2 v[4:5], v[2:3]
.LBB42_2:
	s_load_dwordx4 s[48:51], s[4:5], 0x78
	s_load_dwordx8 s[36:43], s[4:5], 0x58
	s_load_dwordx4 s[0:3], s[4:5], 0x40
	s_load_dwordx4 s[16:19], s[4:5], 0x8
	s_load_dwordx8 s[8:15], s[4:5], 0x20
	s_bitcmp1_b32 s7, 8
	s_cselect_b64 s[20:21], -1, 0
	s_and_b64 s[28:29], s[20:21], exec
	s_cselect_b32 s29, s25, 0
	s_cselect_b32 s28, s24, 0
	s_xor_b64 s[30:31], s[20:21], -1
	s_or_b64 s[26:27], s[30:31], s[26:27]
	s_and_b64 vcc, exec, s[26:27]
	v_pk_mov_b32 v[2:3], s[28:29], s[28:29] op_sel:[0,1]
	s_cbranch_vccnz .LBB42_4
; %bb.3:
	v_pk_mov_b32 v[2:3], s[24:25], s[24:25] op_sel:[0,1]
	flat_load_dwordx2 v[2:3], v[2:3]
.LBB42_4:
	s_load_dword s33, s[4:5], 0x0
	v_lshl_add_u32 v7, v0, 3, 0
	v_or_b32_e32 v1, 0xfffffc00, v0
	v_mov_b32_e32 v6, 0
	v_add_u32_e32 v14, 0x20000, v7
	v_lshl_add_u32 v15, v0, 2, 0
	s_mov_b64 s[4:5], 0
	s_waitcnt lgkmcnt(0)
	v_mov_b32_e32 v8, s33
	v_mov_b32_e32 v7, v6
	s_movk_i32 s7, 0x7bff
	v_mov_b32_e32 v9, v15
	v_mov_b32_e32 v10, v14
	;; [unrolled: 1-line block ×3, first 2 shown]
.LBB42_5:                               ; =>This Inner Loop Header: Depth=1
	v_add_u32_e32 v11, 0x400, v11
	v_cmp_lt_u32_e32 vcc, s7, v11
	ds_write_b32 v9, v8
	ds_write_b64 v10, v[6:7]
	v_add_u32_e32 v10, 0x2000, v10
	s_or_b64 s[4:5], vcc, s[4:5]
	v_add_u32_e32 v9, 0x1000, v9
	s_andn2_b64 exec, exec, s[4:5]
	s_cbranch_execnz .LBB42_5
; %bb.6:
	s_or_b64 exec, exec, s[4:5]
	s_waitcnt lgkmcnt(0)
	s_barrier
	s_load_dword s4, s[16:17], 0x0
	s_mov_b32 s5, 0
	v_lshrrev_b32_e32 v16, 6, v0
	s_waitcnt lgkmcnt(0)
	s_add_i32 s4, s4, s6
	s_lshl_b64 s[4:5], s[4:5], 2
	s_add_u32 s4, s18, s4
	s_addc_u32 s5, s19, s5
	s_load_dword s34, s[4:5], 0x0
	s_and_b64 vcc, exec, s[22:23]
	s_cbranch_vccz .LBB42_26
; %bb.7:
	s_waitcnt lgkmcnt(0)
	s_ashr_i32 s35, s34, 31
	s_lshl_b64 s[4:5], s[34:35], 2
	s_add_u32 s4, s8, s4
	s_addc_u32 s5, s9, s5
	s_load_dwordx2 s[4:5], s[4:5], 0x0
	v_subrev_u32_e32 v6, s44, v16
	s_waitcnt lgkmcnt(0)
	s_sub_i32 s35, s5, s44
	v_add_u32_e32 v6, s4, v6
	v_cmp_gt_i32_e32 vcc, s35, v6
	s_and_saveexec_b64 s[4:5], vcc
	s_cbranch_execz .LBB42_25
; %bb.8:
	v_and_b32_e32 v7, 63, v0
	v_subrev_u32_e32 v17, s45, v7
	s_mov_b64 s[6:7], 0
	v_mov_b32_e32 v18, s11
	v_mov_b32_e32 v19, s15
	s_movk_i32 s11, 0x89
	s_branch .LBB42_10
.LBB42_9:                               ;   in Loop: Header=BB42_10 Depth=1
	s_or_b64 exec, exec, s[8:9]
	v_add_u32_e32 v6, 16, v6
	v_cmp_le_i32_e32 vcc, s35, v6
	s_or_b64 s[6:7], vcc, s[6:7]
	s_andn2_b64 exec, exec, s[6:7]
	s_cbranch_execz .LBB42_25
.LBB42_10:                              ; =>This Loop Header: Depth=1
                                        ;     Child Loop BB42_13 Depth 2
                                        ;       Child Loop BB42_15 Depth 3
	v_ashrrev_i32_e32 v7, 31, v6
	v_lshlrev_b64 v[8:9], 2, v[6:7]
	v_add_co_u32_e32 v8, vcc, s10, v8
	v_addc_co_u32_e32 v9, vcc, v18, v9, vcc
	global_load_dword v8, v[8:9], off
	s_waitcnt vmcnt(0)
	v_subrev_u32_e32 v8, s44, v8
	v_ashrrev_i32_e32 v9, 31, v8
	v_lshlrev_b64 v[8:9], 2, v[8:9]
	v_add_co_u32_e32 v8, vcc, s14, v8
	v_addc_co_u32_e32 v9, vcc, v19, v9, vcc
	global_load_dwordx2 v[8:9], v[8:9], off
	s_waitcnt vmcnt(0)
	v_subrev_u32_e32 v20, s45, v9
	v_add_u32_e32 v8, v8, v17
	v_cmp_lt_i32_e32 vcc, v8, v20
	s_and_saveexec_b64 s[8:9], vcc
	s_cbranch_execz .LBB42_9
; %bb.11:                               ;   in Loop: Header=BB42_10 Depth=1
	v_lshlrev_b64 v[10:11], 3, v[6:7]
	v_mov_b32_e32 v7, s13
	v_add_co_u32_e32 v10, vcc, s12, v10
	v_addc_co_u32_e32 v11, vcc, v7, v11, vcc
	global_load_dwordx2 v[10:11], v[10:11], off
	s_mov_b64 s[16:17], 0
	s_waitcnt vmcnt(0)
	v_mul_f64 v[10:11], v[4:5], v[10:11]
	s_branch .LBB42_13
.LBB42_12:                              ;   in Loop: Header=BB42_13 Depth=2
	s_or_b64 exec, exec, s[18:19]
	v_add_u32_e32 v8, 64, v8
	v_cmp_ge_i32_e32 vcc, v8, v20
	s_or_b64 s[16:17], vcc, s[16:17]
	s_andn2_b64 exec, exec, s[16:17]
	s_cbranch_execz .LBB42_9
.LBB42_13:                              ;   Parent Loop BB42_10 Depth=1
                                        ; =>  This Loop Header: Depth=2
                                        ;       Child Loop BB42_15 Depth 3
	v_ashrrev_i32_e32 v9, 31, v8
	v_lshlrev_b64 v[12:13], 2, v[8:9]
	v_mov_b32_e32 v7, s1
	v_add_co_u32_e32 v12, vcc, s0, v12
	v_addc_co_u32_e32 v13, vcc, v7, v13, vcc
	global_load_dword v7, v[12:13], off
	v_lshlrev_b64 v[12:13], 3, v[8:9]
	v_mov_b32_e32 v9, s3
	v_add_co_u32_e32 v12, vcc, s2, v12
	v_addc_co_u32_e32 v13, vcc, v9, v13, vcc
	global_load_dwordx2 v[12:13], v[12:13], off
	s_mov_b64 s[18:19], 0
	s_waitcnt vmcnt(1)
	v_subrev_u32_e32 v7, s45, v7
	v_mul_lo_u32 v9, v7, s11
	v_and_b32_e32 v9, 0x7fff, v9
	s_waitcnt vmcnt(0)
	v_mul_f64 v[12:13], v[10:11], v[12:13]
	s_branch .LBB42_15
.LBB42_14:                              ;   in Loop: Header=BB42_15 Depth=3
	s_or_b64 exec, exec, s[22:23]
	s_xor_b64 s[22:23], s[24:25], -1
	s_and_b64 s[22:23], exec, s[22:23]
	s_or_b64 s[18:19], s[22:23], s[18:19]
	s_andn2_b64 exec, exec, s[18:19]
	s_cbranch_execz .LBB42_12
.LBB42_15:                              ;   Parent Loop BB42_10 Depth=1
                                        ;     Parent Loop BB42_13 Depth=2
                                        ; =>    This Inner Loop Header: Depth=3
	v_lshl_add_u32 v21, v9, 2, 0
	ds_read_b32 v22, v21
                                        ; implicit-def: $sgpr24_sgpr25
	s_waitcnt lgkmcnt(0)
	v_cmp_ne_u32_e32 vcc, v22, v7
	s_and_saveexec_b64 s[22:23], vcc
	s_xor_b64 s[22:23], exec, s[22:23]
	s_cbranch_execz .LBB42_23
; %bb.16:                               ;   in Loop: Header=BB42_15 Depth=3
	v_cmp_ne_u32_e32 vcc, s33, v22
                                        ; implicit-def: $sgpr24_sgpr25
	s_and_saveexec_b64 s[26:27], vcc
	s_xor_b64 s[26:27], exec, s[26:27]
; %bb.17:                               ;   in Loop: Header=BB42_15 Depth=3
	v_add_u32_e32 v9, 1, v9
	v_and_b32_e32 v9, 0x7fff, v9
	s_mov_b64 s[24:25], -1
                                        ; implicit-def: $vgpr21
; %bb.18:                               ;   in Loop: Header=BB42_15 Depth=3
	s_andn2_saveexec_b64 s[26:27], s[26:27]
	s_cbranch_execz .LBB42_22
; %bb.19:                               ;   in Loop: Header=BB42_15 Depth=3
	v_mov_b32_e32 v22, s33
	ds_cmpst_rtn_b32 v21, v21, v22, v7
	s_mov_b64 s[28:29], -1
	s_waitcnt lgkmcnt(0)
	v_cmp_eq_u32_e32 vcc, s33, v21
	s_and_saveexec_b64 s[30:31], vcc
	s_cbranch_execz .LBB42_21
; %bb.20:                               ;   in Loop: Header=BB42_15 Depth=3
	v_lshl_add_u32 v21, v9, 3, 0
	v_add_u32_e32 v21, 0x20000, v21
	ds_add_f64 v21, v[12:13]
	s_xor_b64 s[28:29], exec, -1
.LBB42_21:                              ;   in Loop: Header=BB42_15 Depth=3
	s_or_b64 exec, exec, s[30:31]
	s_andn2_b64 s[24:25], s[24:25], exec
	s_and_b64 s[28:29], s[28:29], exec
	s_or_b64 s[24:25], s[24:25], s[28:29]
.LBB42_22:                              ;   in Loop: Header=BB42_15 Depth=3
	s_or_b64 exec, exec, s[26:27]
	s_and_b64 s[24:25], s[24:25], exec
.LBB42_23:                              ;   in Loop: Header=BB42_15 Depth=3
	s_andn2_saveexec_b64 s[22:23], s[22:23]
	s_cbranch_execz .LBB42_14
; %bb.24:                               ;   in Loop: Header=BB42_15 Depth=3
	v_lshl_add_u32 v21, v9, 3, 0
	v_add_u32_e32 v21, 0x20000, v21
	ds_add_f64 v21, v[12:13]
	s_andn2_b64 s[24:25], s[24:25], exec
	s_branch .LBB42_14
.LBB42_25:
	s_or_b64 exec, exec, s[4:5]
.LBB42_26:
	s_andn2_b64 vcc, exec, s[20:21]
	s_cbranch_vccnz .LBB42_43
; %bb.27:
	s_waitcnt lgkmcnt(0)
	s_ashr_i32 s35, s34, 31
	s_lshl_b64 s[0:1], s[34:35], 2
	s_add_u32 s0, s36, s0
	s_addc_u32 s1, s37, s1
	s_load_dwordx2 s[0:1], s[0:1], 0x0
	s_waitcnt vmcnt(0)
	v_subrev_u32_e32 v4, s47, v0
	s_waitcnt lgkmcnt(0)
	s_sub_i32 s16, s1, s47
	v_add_u32_e32 v4, s0, v4
	v_cmp_gt_i32_e32 vcc, s16, v4
	s_and_saveexec_b64 s[0:1], vcc
	s_cbranch_execz .LBB42_42
; %bb.28:
	s_mov_b64 s[2:3], 0
	v_mov_b32_e32 v8, s39
	v_mov_b32_e32 v9, s41
	s_movk_i32 s17, 0x89
	s_branch .LBB42_30
.LBB42_29:                              ;   in Loop: Header=BB42_30 Depth=1
	s_or_b64 exec, exec, s[4:5]
	v_add_u32_e32 v4, 0x400, v4
	v_cmp_le_i32_e32 vcc, s16, v4
	s_or_b64 s[2:3], vcc, s[2:3]
	s_andn2_b64 exec, exec, s[2:3]
	s_cbranch_execz .LBB42_42
.LBB42_30:                              ; =>This Loop Header: Depth=1
                                        ;     Child Loop BB42_32 Depth 2
	v_ashrrev_i32_e32 v5, 31, v4
	v_lshlrev_b64 v[6:7], 2, v[4:5]
	v_add_co_u32_e32 v6, vcc, s38, v6
	v_addc_co_u32_e32 v7, vcc, v8, v7, vcc
	global_load_dword v10, v[6:7], off
	v_lshlrev_b64 v[6:7], 3, v[4:5]
	v_add_co_u32_e32 v6, vcc, s40, v6
	v_addc_co_u32_e32 v7, vcc, v9, v7, vcc
	global_load_dwordx2 v[6:7], v[6:7], off
	s_mov_b64 s[4:5], 0
	s_waitcnt vmcnt(1)
	v_subrev_u32_e32 v5, s47, v10
	v_mul_lo_u32 v10, v5, s17
	v_and_b32_e32 v10, 0x7fff, v10
	s_waitcnt vmcnt(0)
	v_mul_f64 v[6:7], v[2:3], v[6:7]
	s_branch .LBB42_32
.LBB42_31:                              ;   in Loop: Header=BB42_32 Depth=2
	s_or_b64 exec, exec, s[6:7]
	s_xor_b64 s[6:7], s[8:9], -1
	s_and_b64 s[6:7], exec, s[6:7]
	s_or_b64 s[4:5], s[6:7], s[4:5]
	s_andn2_b64 exec, exec, s[4:5]
	s_cbranch_execz .LBB42_29
.LBB42_32:                              ;   Parent Loop BB42_30 Depth=1
                                        ; =>  This Inner Loop Header: Depth=2
	v_lshl_add_u32 v11, v10, 2, 0
	ds_read_b32 v12, v11
                                        ; implicit-def: $sgpr8_sgpr9
	s_waitcnt lgkmcnt(0)
	v_cmp_ne_u32_e32 vcc, v12, v5
	s_and_saveexec_b64 s[6:7], vcc
	s_xor_b64 s[6:7], exec, s[6:7]
	s_cbranch_execz .LBB42_40
; %bb.33:                               ;   in Loop: Header=BB42_32 Depth=2
	v_cmp_ne_u32_e32 vcc, s33, v12
                                        ; implicit-def: $sgpr8_sgpr9
	s_and_saveexec_b64 s[10:11], vcc
	s_xor_b64 s[10:11], exec, s[10:11]
; %bb.34:                               ;   in Loop: Header=BB42_32 Depth=2
	v_add_u32_e32 v10, 1, v10
	v_and_b32_e32 v10, 0x7fff, v10
	s_mov_b64 s[8:9], -1
                                        ; implicit-def: $vgpr11
; %bb.35:                               ;   in Loop: Header=BB42_32 Depth=2
	s_andn2_saveexec_b64 s[10:11], s[10:11]
	s_cbranch_execz .LBB42_39
; %bb.36:                               ;   in Loop: Header=BB42_32 Depth=2
	v_mov_b32_e32 v12, s33
	ds_cmpst_rtn_b32 v11, v11, v12, v5
	s_mov_b64 s[12:13], -1
	s_waitcnt lgkmcnt(0)
	v_cmp_eq_u32_e32 vcc, s33, v11
	s_and_saveexec_b64 s[14:15], vcc
	s_cbranch_execz .LBB42_38
; %bb.37:                               ;   in Loop: Header=BB42_32 Depth=2
	v_lshl_add_u32 v11, v10, 3, 0
	v_add_u32_e32 v11, 0x20000, v11
	ds_add_f64 v11, v[6:7]
	s_xor_b64 s[12:13], exec, -1
.LBB42_38:                              ;   in Loop: Header=BB42_32 Depth=2
	s_or_b64 exec, exec, s[14:15]
	s_andn2_b64 s[8:9], s[8:9], exec
	s_and_b64 s[12:13], s[12:13], exec
	s_or_b64 s[8:9], s[8:9], s[12:13]
.LBB42_39:                              ;   in Loop: Header=BB42_32 Depth=2
	s_or_b64 exec, exec, s[10:11]
	s_and_b64 s[8:9], s[8:9], exec
.LBB42_40:                              ;   in Loop: Header=BB42_32 Depth=2
	s_andn2_saveexec_b64 s[6:7], s[6:7]
	s_cbranch_execz .LBB42_31
; %bb.41:                               ;   in Loop: Header=BB42_32 Depth=2
	v_lshl_add_u32 v11, v10, 3, 0
	v_add_u32_e32 v11, 0x20000, v11
	ds_add_f64 v11, v[6:7]
	s_andn2_b64 s[8:9], s[8:9], exec
	s_branch .LBB42_31
.LBB42_42:
	s_or_b64 exec, exec, s[0:1]
.LBB42_43:
	s_waitcnt vmcnt(0)
	v_mbcnt_lo_u32_b32 v2, -1, 0
	v_mbcnt_hi_u32_b32 v2, -1, v2
	v_sub_u32_e32 v2, 63, v2
	s_add_i32 s35, 0, 0x60000
	s_movk_i32 s0, 0x3ff
	s_movk_i32 s2, 0x7f
	;; [unrolled: 1-line block ×15, first 2 shown]
	s_add_i32 s61, 0, 0x6003c
	v_mov_b32_e32 v6, 0
	v_lshrrev_b64 v[2:3], v2, -1
	v_lshl_add_u32 v7, v16, 2, s35
	v_cmp_eq_u32_e32 vcc, s0, v0
	v_cmp_lt_u32_e64 s[0:1], 63, v0
	v_cmp_lt_u32_e64 s[2:3], s2, v0
	;; [unrolled: 1-line block ×15, first 2 shown]
	s_mov_b64 s[36:37], 0
	s_add_i32 s40, 0, 0x60004
	s_add_i32 s41, 0, 0x60008
	;; [unrolled: 1-line block ×14, first 2 shown]
	v_mov_b32_e32 v8, s61
	s_movk_i32 s62, 0x7bff
	s_waitcnt lgkmcnt(0)
	s_barrier
	s_branch .LBB42_45
.LBB42_44:                              ;   in Loop: Header=BB42_45 Depth=1
	s_or_b64 exec, exec, s[30:31]
	s_waitcnt lgkmcnt(0)
	s_barrier
	ds_read_b32 v4, v8
	v_add_u32_e32 v1, 0x400, v1
	v_cmp_lt_u32_e64 s[30:31], s62, v1
	v_add_u32_e32 v14, 0x2000, v14
	s_or_b64 s[36:37], s[30:31], s[36:37]
	s_waitcnt lgkmcnt(0)
	v_add_u32_e32 v6, v4, v6
	v_add_u32_e32 v15, 0x1000, v15
	s_andn2_b64 exec, exec, s[36:37]
	s_cbranch_execz .LBB42_79
.LBB42_45:                              ; =>This Inner Loop Header: Depth=1
	ds_read_b32 v9, v15
	ds_read_b64 v[4:5], v14
	s_waitcnt lgkmcnt(0)
	s_barrier
	v_cmp_gt_i32_e64 s[30:31], s33, v9
	v_and_b32_e32 v11, s30, v2
	s_bcnt1_i32_b64 s38, s[30:31]
	v_and_b32_e32 v10, s31, v3
	v_bcnt_u32_b32 v11, v11, 0
	v_bcnt_u32_b32 v10, v10, v11
	v_mov_b32_e32 v11, s38
	ds_write_b32 v7, v11
	s_waitcnt lgkmcnt(0)
	s_barrier
	s_and_saveexec_b64 s[38:39], s[0:1]
	s_cbranch_execnz .LBB42_62
; %bb.46:                               ;   in Loop: Header=BB42_45 Depth=1
	s_or_b64 exec, exec, s[38:39]
	s_and_saveexec_b64 s[38:39], s[2:3]
	s_cbranch_execnz .LBB42_63
.LBB42_47:                              ;   in Loop: Header=BB42_45 Depth=1
	s_or_b64 exec, exec, s[38:39]
	s_and_saveexec_b64 s[38:39], s[4:5]
	s_cbranch_execnz .LBB42_64
.LBB42_48:                              ;   in Loop: Header=BB42_45 Depth=1
	s_or_b64 exec, exec, s[38:39]
	s_and_saveexec_b64 s[38:39], s[6:7]
	s_cbranch_execnz .LBB42_65
.LBB42_49:                              ;   in Loop: Header=BB42_45 Depth=1
	s_or_b64 exec, exec, s[38:39]
	s_and_saveexec_b64 s[38:39], s[8:9]
	s_cbranch_execnz .LBB42_66
.LBB42_50:                              ;   in Loop: Header=BB42_45 Depth=1
	s_or_b64 exec, exec, s[38:39]
	s_and_saveexec_b64 s[38:39], s[10:11]
	s_cbranch_execnz .LBB42_67
.LBB42_51:                              ;   in Loop: Header=BB42_45 Depth=1
	s_or_b64 exec, exec, s[38:39]
	s_and_saveexec_b64 s[38:39], s[12:13]
	s_cbranch_execnz .LBB42_68
.LBB42_52:                              ;   in Loop: Header=BB42_45 Depth=1
	s_or_b64 exec, exec, s[38:39]
	s_and_saveexec_b64 s[38:39], s[14:15]
	s_cbranch_execnz .LBB42_69
.LBB42_53:                              ;   in Loop: Header=BB42_45 Depth=1
	s_or_b64 exec, exec, s[38:39]
	s_and_saveexec_b64 s[38:39], s[16:17]
	s_cbranch_execnz .LBB42_70
.LBB42_54:                              ;   in Loop: Header=BB42_45 Depth=1
	s_or_b64 exec, exec, s[38:39]
	s_and_saveexec_b64 s[38:39], s[18:19]
	s_cbranch_execnz .LBB42_71
.LBB42_55:                              ;   in Loop: Header=BB42_45 Depth=1
	s_or_b64 exec, exec, s[38:39]
	s_and_saveexec_b64 s[38:39], s[20:21]
	s_cbranch_execnz .LBB42_72
.LBB42_56:                              ;   in Loop: Header=BB42_45 Depth=1
	s_or_b64 exec, exec, s[38:39]
	s_and_saveexec_b64 s[38:39], s[22:23]
	s_cbranch_execnz .LBB42_73
.LBB42_57:                              ;   in Loop: Header=BB42_45 Depth=1
	s_or_b64 exec, exec, s[38:39]
	s_and_saveexec_b64 s[38:39], s[24:25]
	s_cbranch_execnz .LBB42_74
.LBB42_58:                              ;   in Loop: Header=BB42_45 Depth=1
	s_or_b64 exec, exec, s[38:39]
	s_and_saveexec_b64 s[38:39], s[26:27]
	s_cbranch_execnz .LBB42_75
.LBB42_59:                              ;   in Loop: Header=BB42_45 Depth=1
	s_or_b64 exec, exec, s[38:39]
	s_and_saveexec_b64 s[38:39], s[28:29]
	s_cbranch_execnz .LBB42_76
.LBB42_60:                              ;   in Loop: Header=BB42_45 Depth=1
	s_or_b64 exec, exec, s[38:39]
	s_and_saveexec_b64 s[38:39], s[30:31]
	s_cbranch_execnz .LBB42_77
.LBB42_61:                              ;   in Loop: Header=BB42_45 Depth=1
	s_or_b64 exec, exec, s[38:39]
	s_and_saveexec_b64 s[30:31], vcc
	s_cbranch_execz .LBB42_44
	s_branch .LBB42_78
.LBB42_62:                              ;   in Loop: Header=BB42_45 Depth=1
	v_mov_b32_e32 v11, s35
	ds_read_b32 v11, v11
	s_waitcnt lgkmcnt(0)
	v_add_u32_e32 v10, v11, v10
	s_or_b64 exec, exec, s[38:39]
	s_and_saveexec_b64 s[38:39], s[2:3]
	s_cbranch_execz .LBB42_47
.LBB42_63:                              ;   in Loop: Header=BB42_45 Depth=1
	v_mov_b32_e32 v11, s40
	ds_read_b32 v11, v11
	s_waitcnt lgkmcnt(0)
	v_add_u32_e32 v10, v11, v10
	s_or_b64 exec, exec, s[38:39]
	s_and_saveexec_b64 s[38:39], s[4:5]
	s_cbranch_execz .LBB42_48
.LBB42_64:                              ;   in Loop: Header=BB42_45 Depth=1
	v_mov_b32_e32 v11, s41
	ds_read_b32 v11, v11
	s_waitcnt lgkmcnt(0)
	v_add_u32_e32 v10, v11, v10
	s_or_b64 exec, exec, s[38:39]
	s_and_saveexec_b64 s[38:39], s[6:7]
	s_cbranch_execz .LBB42_49
.LBB42_65:                              ;   in Loop: Header=BB42_45 Depth=1
	v_mov_b32_e32 v11, s44
	ds_read_b32 v11, v11
	s_waitcnt lgkmcnt(0)
	v_add_u32_e32 v10, v11, v10
	s_or_b64 exec, exec, s[38:39]
	s_and_saveexec_b64 s[38:39], s[8:9]
	s_cbranch_execz .LBB42_50
.LBB42_66:                              ;   in Loop: Header=BB42_45 Depth=1
	v_mov_b32_e32 v11, s45
	ds_read_b32 v11, v11
	s_waitcnt lgkmcnt(0)
	v_add_u32_e32 v10, v11, v10
	s_or_b64 exec, exec, s[38:39]
	s_and_saveexec_b64 s[38:39], s[10:11]
	s_cbranch_execz .LBB42_51
.LBB42_67:                              ;   in Loop: Header=BB42_45 Depth=1
	v_mov_b32_e32 v11, s47
	ds_read_b32 v11, v11
	s_waitcnt lgkmcnt(0)
	v_add_u32_e32 v10, v11, v10
	s_or_b64 exec, exec, s[38:39]
	s_and_saveexec_b64 s[38:39], s[12:13]
	s_cbranch_execz .LBB42_52
.LBB42_68:                              ;   in Loop: Header=BB42_45 Depth=1
	v_mov_b32_e32 v11, s52
	ds_read_b32 v11, v11
	s_waitcnt lgkmcnt(0)
	v_add_u32_e32 v10, v11, v10
	s_or_b64 exec, exec, s[38:39]
	s_and_saveexec_b64 s[38:39], s[14:15]
	s_cbranch_execz .LBB42_53
.LBB42_69:                              ;   in Loop: Header=BB42_45 Depth=1
	v_mov_b32_e32 v11, s53
	ds_read_b32 v11, v11
	s_waitcnt lgkmcnt(0)
	v_add_u32_e32 v10, v11, v10
	s_or_b64 exec, exec, s[38:39]
	s_and_saveexec_b64 s[38:39], s[16:17]
	s_cbranch_execz .LBB42_54
.LBB42_70:                              ;   in Loop: Header=BB42_45 Depth=1
	v_mov_b32_e32 v11, s54
	ds_read_b32 v11, v11
	s_waitcnt lgkmcnt(0)
	v_add_u32_e32 v10, v11, v10
	s_or_b64 exec, exec, s[38:39]
	s_and_saveexec_b64 s[38:39], s[18:19]
	s_cbranch_execz .LBB42_55
.LBB42_71:                              ;   in Loop: Header=BB42_45 Depth=1
	v_mov_b32_e32 v11, s55
	ds_read_b32 v11, v11
	s_waitcnt lgkmcnt(0)
	v_add_u32_e32 v10, v11, v10
	s_or_b64 exec, exec, s[38:39]
	s_and_saveexec_b64 s[38:39], s[20:21]
	s_cbranch_execz .LBB42_56
.LBB42_72:                              ;   in Loop: Header=BB42_45 Depth=1
	v_mov_b32_e32 v11, s56
	ds_read_b32 v11, v11
	s_waitcnt lgkmcnt(0)
	v_add_u32_e32 v10, v11, v10
	s_or_b64 exec, exec, s[38:39]
	s_and_saveexec_b64 s[38:39], s[22:23]
	s_cbranch_execz .LBB42_57
.LBB42_73:                              ;   in Loop: Header=BB42_45 Depth=1
	v_mov_b32_e32 v11, s57
	ds_read_b32 v11, v11
	s_waitcnt lgkmcnt(0)
	v_add_u32_e32 v10, v11, v10
	s_or_b64 exec, exec, s[38:39]
	s_and_saveexec_b64 s[38:39], s[24:25]
	s_cbranch_execz .LBB42_58
.LBB42_74:                              ;   in Loop: Header=BB42_45 Depth=1
	v_mov_b32_e32 v11, s58
	ds_read_b32 v11, v11
	s_waitcnt lgkmcnt(0)
	v_add_u32_e32 v10, v11, v10
	s_or_b64 exec, exec, s[38:39]
	s_and_saveexec_b64 s[38:39], s[26:27]
	s_cbranch_execz .LBB42_59
.LBB42_75:                              ;   in Loop: Header=BB42_45 Depth=1
	v_mov_b32_e32 v11, s59
	ds_read_b32 v11, v11
	s_waitcnt lgkmcnt(0)
	v_add_u32_e32 v10, v11, v10
	s_or_b64 exec, exec, s[38:39]
	s_and_saveexec_b64 s[38:39], s[28:29]
	s_cbranch_execz .LBB42_60
.LBB42_76:                              ;   in Loop: Header=BB42_45 Depth=1
	v_mov_b32_e32 v11, s60
	ds_read_b32 v11, v11
	s_waitcnt lgkmcnt(0)
	v_add_u32_e32 v10, v11, v10
	s_or_b64 exec, exec, s[38:39]
	s_and_saveexec_b64 s[38:39], s[30:31]
	s_cbranch_execz .LBB42_61
.LBB42_77:                              ;   in Loop: Header=BB42_45 Depth=1
	v_add3_u32 v11, v6, -1, v10
	v_lshl_add_u32 v12, v11, 2, 0
	v_lshl_add_u32 v11, v11, 3, 0
	v_add_u32_e32 v11, 0x20000, v11
	ds_write_b32 v12, v9
	ds_write_b64 v11, v[4:5]
	s_or_b64 exec, exec, s[38:39]
	s_and_saveexec_b64 s[30:31], vcc
	s_cbranch_execz .LBB42_44
.LBB42_78:                              ;   in Loop: Header=BB42_45 Depth=1
	v_mov_b32_e32 v4, s61
	ds_write_b32 v4, v10
	s_branch .LBB42_44
.LBB42_79:
	s_or_b64 exec, exec, s[36:37]
	s_ashr_i32 s35, s34, 31
	s_lshl_b64 s[0:1], s[34:35], 2
	s_add_u32 s0, s42, s0
	s_addc_u32 s1, s43, s1
	s_load_dwordx2 s[0:1], s[0:1], 0x0
	s_waitcnt lgkmcnt(0)
	s_sub_i32 s14, s1, s0
	v_cmp_gt_i32_e32 vcc, s14, v0
	s_and_saveexec_b64 s[2:3], vcc
	s_cbranch_execz .LBB42_94
; %bb.80:
	s_sub_i32 s6, s0, s46
	s_add_i32 s0, s14, -2
	s_lshr_b32 s1, s0, 1
	s_add_i32 s2, s1, 1
	s_cmp_gt_u32 s14, 1
	s_cselect_b64 s[8:9], -1, 0
	s_and_b32 s15, s14, -2
	s_and_b32 s4, s2, 7
	s_cmp_gt_u32 s0, 13
	s_cselect_b64 s[0:1], -1, 0
	s_and_b32 s16, s2, -8
	s_cmp_lg_u32 s4, 0
	s_cselect_b64 s[2:3], -1, 0
	v_cndmask_b32_e64 v1, 0, 1, s[0:1]
	s_cmp_lg_u32 s14, s15
	v_cmp_ne_u32_e64 s[0:1], 1, v1
	v_cndmask_b32_e64 v1, 0, 1, s[2:3]
	s_mov_b32 s7, 0
	s_cselect_b64 s[10:11], -1, 0
	s_lshl_b32 s17, s4, 3
	s_mov_b64 s[12:13], 0
	v_cmp_ne_u32_e64 s[2:3], 1, v1
	v_mov_b32_e32 v1, s49
	v_mov_b32_e32 v6, s51
	s_branch .LBB42_82
.LBB42_81:                              ;   in Loop: Header=BB42_82 Depth=1
	v_ashrrev_i32_e32 v5, 31, v4
	v_lshlrev_b64 v[8:9], 2, v[4:5]
	v_add_co_u32_e32 v8, vcc, s48, v8
	v_addc_co_u32_e32 v9, vcc, v1, v9, vcc
	v_lshlrev_b64 v[4:5], 3, v[4:5]
	v_add_co_u32_e32 v4, vcc, s50, v4
	v_addc_co_u32_e32 v5, vcc, v6, v5, vcc
	v_add_u32_e32 v0, 0x400, v0
	v_cmp_le_i32_e32 vcc, s14, v0
	s_waitcnt lgkmcnt(1)
	v_add_u32_e32 v7, s46, v7
	s_or_b64 s[12:13], vcc, s[12:13]
	global_store_dword v[8:9], v7, off
	s_waitcnt lgkmcnt(0)
	global_store_dwordx2 v[4:5], v[2:3], off
	s_andn2_b64 exec, exec, s[12:13]
	s_cbranch_execz .LBB42_94
.LBB42_82:                              ; =>This Loop Header: Depth=1
                                        ;     Child Loop BB42_85 Depth 2
                                        ;     Child Loop BB42_90 Depth 2
                                        ;     Child Loop BB42_93 Depth 2
	v_lshl_add_u32 v3, v0, 3, 0
	v_lshl_add_u32 v2, v0, 2, 0
	v_add_u32_e32 v3, 0x20000, v3
	ds_read_b32 v7, v2
	ds_read_b64 v[2:3], v3
	s_and_b64 vcc, exec, s[8:9]
	s_cbranch_vccz .LBB42_87
; %bb.83:                               ;   in Loop: Header=BB42_82 Depth=1
	s_and_b64 vcc, exec, s[0:1]
	s_cbranch_vccnz .LBB42_88
; %bb.84:                               ;   in Loop: Header=BB42_82 Depth=1
	s_mov_b32 s19, 0
	v_mov_b32_e32 v4, s6
	v_mov_b32_e32 v5, 0
	s_mov_b32 s20, s16
	s_mov_b32 s18, 0
.LBB42_85:                              ;   Parent Loop BB42_82 Depth=1
                                        ; =>  This Inner Loop Header: Depth=2
	v_mov_b32_e32 v22, s19
	ds_read2_b32 v[8:9], v22 offset1:1
	ds_read2_b32 v[10:11], v22 offset0:2 offset1:3
	ds_read2_b32 v[12:13], v22 offset0:4 offset1:5
	;; [unrolled: 1-line block ×7, first 2 shown]
	s_waitcnt lgkmcnt(7)
	v_cmp_gt_i32_e32 vcc, v7, v9
	v_cndmask_b32_e64 v9, 0, 1, vcc
	v_cmp_gt_i32_e32 vcc, v7, v8
	s_waitcnt lgkmcnt(5)
	v_cmp_gt_i32_e64 s[4:5], v7, v12
	v_cndmask_b32_e64 v8, 0, 1, vcc
	v_cmp_gt_i32_e32 vcc, v7, v11
	v_cndmask_b32_e64 v11, 0, 1, s[4:5]
	v_cmp_gt_i32_e64 s[4:5], v7, v13
	v_cndmask_b32_e64 v12, 0, 1, s[4:5]
	s_waitcnt lgkmcnt(3)
	v_cmp_gt_i32_e64 s[4:5], v7, v17
	v_cndmask_b32_e64 v13, 0, 1, s[4:5]
	v_cmp_gt_i32_e64 s[4:5], v7, v16
	v_cndmask_b32_e64 v16, 0, 1, s[4:5]
	s_waitcnt lgkmcnt(1)
	v_cmp_gt_i32_e64 s[4:5], v7, v20
	v_cndmask_b32_e64 v17, 0, 1, s[4:5]
	v_cmp_gt_i32_e64 s[4:5], v7, v21
	v_cndmask_b32_e64 v20, 0, 1, s[4:5]
	v_cmp_gt_i32_e64 s[4:5], v7, v10
	v_addc_co_u32_e64 v4, s[4:5], v4, v8, s[4:5]
	v_addc_co_u32_e32 v5, vcc, v5, v9, vcc
	v_cmp_gt_i32_e32 vcc, v7, v14
	v_cmp_gt_i32_e64 s[4:5], v7, v15
	v_addc_co_u32_e64 v5, s[4:5], v5, v12, s[4:5]
	v_addc_co_u32_e32 v4, vcc, v4, v11, vcc
	v_cmp_gt_i32_e32 vcc, v7, v19
	v_cmp_gt_i32_e64 s[4:5], v7, v18
	v_addc_co_u32_e64 v4, s[4:5], v4, v16, s[4:5]
	v_addc_co_u32_e32 v5, vcc, v5, v13, vcc
	s_add_i32 s18, s18, 16
	s_add_i32 s19, s19, 64
	s_add_i32 s20, s20, -8
	s_waitcnt lgkmcnt(0)
	v_cmp_gt_i32_e32 vcc, v7, v22
	v_cmp_gt_i32_e64 s[4:5], v7, v23
	s_cmp_lg_u32 s20, 0
	v_addc_co_u32_e64 v5, s[4:5], v5, v20, s[4:5]
	v_addc_co_u32_e32 v4, vcc, v4, v17, vcc
	s_cbranch_scc1 .LBB42_85
; %bb.86:                               ;   in Loop: Header=BB42_82 Depth=1
	s_and_b64 vcc, exec, s[2:3]
	s_cbranch_vccz .LBB42_89
	s_branch .LBB42_91
.LBB42_87:                              ;   in Loop: Header=BB42_82 Depth=1
	v_mov_b32_e32 v4, s6
	s_mov_b32 s18, 0
	s_cbranch_execz .LBB42_81
	s_branch .LBB42_92
.LBB42_88:                              ;   in Loop: Header=BB42_82 Depth=1
	v_pk_mov_b32 v[4:5], s[6:7], s[6:7] op_sel:[0,1]
	s_mov_b32 s18, 0
	s_and_b64 vcc, exec, s[2:3]
	s_cbranch_vccnz .LBB42_91
.LBB42_89:                              ;   in Loop: Header=BB42_82 Depth=1
	s_lshl_b32 s4, s18, 2
	s_add_i32 s4, s4, 0
	s_mov_b32 s5, s17
.LBB42_90:                              ;   Parent Loop BB42_82 Depth=1
                                        ; =>  This Inner Loop Header: Depth=2
	v_mov_b32_e32 v8, s4
	ds_read2_b32 v[8:9], v8 offset1:1
	s_add_i32 s4, s4, 8
	s_add_i32 s5, s5, -8
	s_cmp_lg_u32 s5, 0
	s_waitcnt lgkmcnt(0)
	v_cmp_gt_i32_e32 vcc, v7, v9
	v_addc_co_u32_e32 v5, vcc, 0, v5, vcc
	v_cmp_gt_i32_e32 vcc, v7, v8
	v_addc_co_u32_e32 v4, vcc, 0, v4, vcc
	s_cbranch_scc1 .LBB42_90
.LBB42_91:                              ;   in Loop: Header=BB42_82 Depth=1
	v_add_u32_e32 v4, v4, v5
	s_mov_b32 s18, s15
	s_mov_b64 s[4:5], s[10:11]
	s_and_b64 vcc, exec, s[4:5]
	s_cbranch_vccz .LBB42_81
.LBB42_92:                              ;   in Loop: Header=BB42_82 Depth=1
	s_lshl_b32 s4, s18, 2
	s_add_i32 s4, s4, 0
.LBB42_93:                              ;   Parent Loop BB42_82 Depth=1
                                        ; =>  This Inner Loop Header: Depth=2
	v_mov_b32_e32 v5, s4
	ds_read_b32 v5, v5
	s_add_i32 s18, s18, 1
	s_add_i32 s4, s4, 4
	s_cmp_ge_i32 s18, s14
	s_waitcnt lgkmcnt(0)
	v_cmp_gt_i32_e32 vcc, v7, v5
	v_addc_co_u32_e32 v4, vcc, 0, v4, vcc
	s_cbranch_scc0 .LBB42_93
	s_branch .LBB42_81
.LBB42_94:
	s_endpgm
	.section	.rodata,"a",@progbits
	.p2align	6, 0x0
	.amdhsa_kernel _ZN9rocsparseL26csrgemm_fill_block_per_rowILj1024ELj64ELj32768ELj137ELj64EiidEEvT5_PKS1_S3_NS_24const_host_device_scalarIT6_EEPKT4_S3_PKS5_S9_S3_SB_S6_S9_S3_SB_S9_PS1_PS5_21rocsparse_index_base_SE_SE_SE_bbb
		.amdhsa_group_segment_fixed_size 0
		.amdhsa_private_segment_fixed_size 0
		.amdhsa_kernarg_size 156
		.amdhsa_user_sgpr_count 6
		.amdhsa_user_sgpr_private_segment_buffer 1
		.amdhsa_user_sgpr_dispatch_ptr 0
		.amdhsa_user_sgpr_queue_ptr 0
		.amdhsa_user_sgpr_kernarg_segment_ptr 1
		.amdhsa_user_sgpr_dispatch_id 0
		.amdhsa_user_sgpr_flat_scratch_init 0
		.amdhsa_user_sgpr_kernarg_preload_length 0
		.amdhsa_user_sgpr_kernarg_preload_offset 0
		.amdhsa_user_sgpr_private_segment_size 0
		.amdhsa_uses_dynamic_stack 0
		.amdhsa_system_sgpr_private_segment_wavefront_offset 0
		.amdhsa_system_sgpr_workgroup_id_x 1
		.amdhsa_system_sgpr_workgroup_id_y 0
		.amdhsa_system_sgpr_workgroup_id_z 0
		.amdhsa_system_sgpr_workgroup_info 0
		.amdhsa_system_vgpr_workitem_id 0
		.amdhsa_next_free_vgpr 24
		.amdhsa_next_free_sgpr 63
		.amdhsa_accum_offset 24
		.amdhsa_reserve_vcc 1
		.amdhsa_reserve_flat_scratch 0
		.amdhsa_float_round_mode_32 0
		.amdhsa_float_round_mode_16_64 0
		.amdhsa_float_denorm_mode_32 3
		.amdhsa_float_denorm_mode_16_64 3
		.amdhsa_dx10_clamp 1
		.amdhsa_ieee_mode 1
		.amdhsa_fp16_overflow 0
		.amdhsa_tg_split 0
		.amdhsa_exception_fp_ieee_invalid_op 0
		.amdhsa_exception_fp_denorm_src 0
		.amdhsa_exception_fp_ieee_div_zero 0
		.amdhsa_exception_fp_ieee_overflow 0
		.amdhsa_exception_fp_ieee_underflow 0
		.amdhsa_exception_fp_ieee_inexact 0
		.amdhsa_exception_int_div_zero 0
	.end_amdhsa_kernel
	.section	.text._ZN9rocsparseL26csrgemm_fill_block_per_rowILj1024ELj64ELj32768ELj137ELj64EiidEEvT5_PKS1_S3_NS_24const_host_device_scalarIT6_EEPKT4_S3_PKS5_S9_S3_SB_S6_S9_S3_SB_S9_PS1_PS5_21rocsparse_index_base_SE_SE_SE_bbb,"axG",@progbits,_ZN9rocsparseL26csrgemm_fill_block_per_rowILj1024ELj64ELj32768ELj137ELj64EiidEEvT5_PKS1_S3_NS_24const_host_device_scalarIT6_EEPKT4_S3_PKS5_S9_S3_SB_S6_S9_S3_SB_S9_PS1_PS5_21rocsparse_index_base_SE_SE_SE_bbb,comdat
.Lfunc_end42:
	.size	_ZN9rocsparseL26csrgemm_fill_block_per_rowILj1024ELj64ELj32768ELj137ELj64EiidEEvT5_PKS1_S3_NS_24const_host_device_scalarIT6_EEPKT4_S3_PKS5_S9_S3_SB_S6_S9_S3_SB_S9_PS1_PS5_21rocsparse_index_base_SE_SE_SE_bbb, .Lfunc_end42-_ZN9rocsparseL26csrgemm_fill_block_per_rowILj1024ELj64ELj32768ELj137ELj64EiidEEvT5_PKS1_S3_NS_24const_host_device_scalarIT6_EEPKT4_S3_PKS5_S9_S3_SB_S6_S9_S3_SB_S9_PS1_PS5_21rocsparse_index_base_SE_SE_SE_bbb
                                        ; -- End function
	.section	.AMDGPU.csdata,"",@progbits
; Kernel info:
; codeLenInByte = 3564
; NumSgprs: 67
; NumVgprs: 24
; NumAgprs: 0
; TotalNumVgprs: 24
; ScratchSize: 0
; MemoryBound: 0
; FloatMode: 240
; IeeeMode: 1
; LDSByteSize: 0 bytes/workgroup (compile time only)
; SGPRBlocks: 8
; VGPRBlocks: 2
; NumSGPRsForWavesPerEU: 67
; NumVGPRsForWavesPerEU: 24
; AccumOffset: 24
; Occupancy: 8
; WaveLimiterHint : 1
; COMPUTE_PGM_RSRC2:SCRATCH_EN: 0
; COMPUTE_PGM_RSRC2:USER_SGPR: 6
; COMPUTE_PGM_RSRC2:TRAP_HANDLER: 0
; COMPUTE_PGM_RSRC2:TGID_X_EN: 1
; COMPUTE_PGM_RSRC2:TGID_Y_EN: 0
; COMPUTE_PGM_RSRC2:TGID_Z_EN: 0
; COMPUTE_PGM_RSRC2:TIDIG_COMP_CNT: 0
; COMPUTE_PGM_RSRC3_GFX90A:ACCUM_OFFSET: 5
; COMPUTE_PGM_RSRC3_GFX90A:TG_SPLIT: 0
	.section	.text._ZN9rocsparseL36csrgemm_fill_block_per_row_multipassILj512ELj16ELj2048ELj32EiidEEvT4_PKS1_S3_NS_24const_host_device_scalarIT5_EEPKT3_S3_PKS5_S9_S3_SB_S6_S9_S3_SB_S9_PS1_PS5_PS7_21rocsparse_index_base_SF_SF_SF_bbb,"axG",@progbits,_ZN9rocsparseL36csrgemm_fill_block_per_row_multipassILj512ELj16ELj2048ELj32EiidEEvT4_PKS1_S3_NS_24const_host_device_scalarIT5_EEPKT3_S3_PKS5_S9_S3_SB_S6_S9_S3_SB_S9_PS1_PS5_PS7_21rocsparse_index_base_SF_SF_SF_bbb,comdat
	.globl	_ZN9rocsparseL36csrgemm_fill_block_per_row_multipassILj512ELj16ELj2048ELj32EiidEEvT4_PKS1_S3_NS_24const_host_device_scalarIT5_EEPKT3_S3_PKS5_S9_S3_SB_S6_S9_S3_SB_S9_PS1_PS5_PS7_21rocsparse_index_base_SF_SF_SF_bbb ; -- Begin function _ZN9rocsparseL36csrgemm_fill_block_per_row_multipassILj512ELj16ELj2048ELj32EiidEEvT4_PKS1_S3_NS_24const_host_device_scalarIT5_EEPKT3_S3_PKS5_S9_S3_SB_S6_S9_S3_SB_S9_PS1_PS5_PS7_21rocsparse_index_base_SF_SF_SF_bbb
	.p2align	8
	.type	_ZN9rocsparseL36csrgemm_fill_block_per_row_multipassILj512ELj16ELj2048ELj32EiidEEvT4_PKS1_S3_NS_24const_host_device_scalarIT5_EEPKT3_S3_PKS5_S9_S3_SB_S6_S9_S3_SB_S9_PS1_PS5_PS7_21rocsparse_index_base_SF_SF_SF_bbb,@function
_ZN9rocsparseL36csrgemm_fill_block_per_row_multipassILj512ELj16ELj2048ELj32EiidEEvT4_PKS1_S3_NS_24const_host_device_scalarIT5_EEPKT3_S3_PKS5_S9_S3_SB_S6_S9_S3_SB_S9_PS1_PS5_PS7_21rocsparse_index_base_SF_SF_SF_bbb: ; @_ZN9rocsparseL36csrgemm_fill_block_per_row_multipassILj512ELj16ELj2048ELj32EiidEEvT4_PKS1_S3_NS_24const_host_device_scalarIT5_EEPKT3_S3_PKS5_S9_S3_SB_S6_S9_S3_SB_S9_PS1_PS5_PS7_21rocsparse_index_base_SF_SF_SF_bbb
; %bb.0:
	s_load_dword s7, s[4:5], 0xa0
	s_load_dwordx4 s[0:3], s[4:5], 0x8
	s_load_dwordx2 s[10:11], s[4:5], 0x18
	s_load_dwordx4 s[56:59], s[4:5], 0x90
	s_load_dwordx2 s[12:13], s[4:5], 0x50
	s_waitcnt lgkmcnt(0)
	s_and_b32 s8, 1, s7
	s_bitcmp1_b32 s7, 16
	s_cselect_b64 s[14:15], -1, 0
	s_cmp_eq_u32 s8, 1
	s_cselect_b64 s[8:9], -1, 0
	s_and_b64 s[16:17], s[8:9], exec
	s_cselect_b32 s17, s11, 0
	s_cselect_b32 s16, s10, 0
	s_xor_b64 s[18:19], s[8:9], -1
	s_or_b64 s[18:19], s[18:19], s[14:15]
	s_and_b64 vcc, exec, s[18:19]
	v_pk_mov_b32 v[2:3], s[16:17], s[16:17] op_sel:[0,1]
	s_cbranch_vccnz .LBB43_2
; %bb.1:
	v_pk_mov_b32 v[2:3], s[10:11], s[10:11] op_sel:[0,1]
	flat_load_dwordx2 v[2:3], v[2:3]
.LBB43_2:
	s_bitcmp1_b32 s7, 8
	s_load_dwordx2 s[10:11], s[4:5], 0x20
	s_cselect_b64 s[64:65], -1, 0
	s_and_b64 s[16:17], s[64:65], exec
	s_cselect_b32 s17, s13, 0
	s_cselect_b32 s16, s12, 0
	s_xor_b64 s[18:19], s[64:65], -1
	s_or_b64 s[14:15], s[18:19], s[14:15]
	s_and_b64 vcc, exec, s[14:15]
	v_pk_mov_b32 v[4:5], s[16:17], s[16:17] op_sel:[0,1]
	s_cbranch_vccnz .LBB43_4
; %bb.3:
	v_pk_mov_b32 v[4:5], s[12:13], s[12:13] op_sel:[0,1]
	flat_load_dwordx2 v[4:5], v[4:5]
.LBB43_4:
	s_load_dword s0, s[0:1], 0x0
	s_mov_b32 s67, 0
	v_cndmask_b32_e64 v1, 0, 1, s[8:9]
	s_waitcnt lgkmcnt(0)
	s_add_i32 s66, s0, s6
	s_lshl_b64 s[0:1], s[66:67], 2
	s_add_u32 s0, s2, s0
	s_addc_u32 s1, s3, s1
	s_load_dword s2, s[0:1], 0x0
	v_cmp_ne_u32_e64 s[0:1], 1, v1
	s_andn2_b64 vcc, exec, s[8:9]
	s_mov_b32 s6, 0
	s_cbranch_vccz .LBB43_7
; %bb.5:
	s_and_b64 vcc, exec, s[0:1]
	s_cbranch_vccz .LBB43_8
.LBB43_6:
	s_load_dword s33, s[4:5], 0x0
	s_waitcnt lgkmcnt(0)
	s_cmp_lt_i32 s33, 1
	s_cbranch_scc0 .LBB43_9
	s_branch .LBB43_62
.LBB43_7:
	s_waitcnt lgkmcnt(0)
	s_ashr_i32 s3, s2, 31
	s_lshl_b64 s[6:7], s[2:3], 2
	s_add_u32 s6, s10, s6
	s_addc_u32 s7, s11, s7
	s_load_dword s3, s[6:7], 0x0
	s_waitcnt lgkmcnt(0)
	s_sub_i32 s6, s3, s56
	s_and_b64 vcc, exec, s[0:1]
	s_cbranch_vccnz .LBB43_6
.LBB43_8:
	s_waitcnt lgkmcnt(0)
	s_ashr_i32 s3, s2, 31
	s_lshl_b64 s[0:1], s[2:3], 2
	s_add_u32 s0, s10, s0
	s_addc_u32 s1, s11, s1
	s_load_dword s0, s[0:1], 0x4
	s_waitcnt lgkmcnt(0)
	s_sub_i32 s67, s0, s56
	s_load_dword s33, s[4:5], 0x0
	s_waitcnt lgkmcnt(0)
	s_cmp_lt_i32 s33, 1
	s_cbranch_scc1 .LBB43_62
.LBB43_9:
	s_load_dwordx8 s[40:47], s[4:5], 0x58
	s_load_dwordx2 s[68:69], s[4:5], 0x88
	s_load_dwordx4 s[60:63], s[4:5], 0x78
	s_ashr_i32 s3, s2, 31
	s_lshl_b64 s[10:11], s[2:3], 2
	s_waitcnt lgkmcnt(0)
	s_add_u32 s0, s46, s10
	s_addc_u32 s1, s47, s11
	s_load_dword s2, s[0:1], 0x0
	s_load_dwordx2 s[46:47], s[4:5], 0x48
	s_load_dwordx8 s[48:55], s[4:5], 0x28
	v_lshrrev_b32_e32 v6, 4, v0
	v_add_u32_e32 v18, s6, v6
	s_waitcnt lgkmcnt(0)
	s_sub_i32 s38, s2, s58
	v_mbcnt_lo_u32_b32 v7, -1, 0
	v_cmp_gt_i32_e32 vcc, s67, v18
	s_add_u32 s40, s40, s10
	v_mbcnt_hi_u32_b32 v7, -1, v7
	s_addc_u32 s41, s41, s11
	v_sub_u32_e32 v7, 63, v7
	s_and_b64 s[70:71], s[8:9], vcc
	v_and_b32_e32 v1, 15, v0
	v_mov_b32_e32 v6, 0
	v_lshrrev_b64 v[8:9], v7, -1
	v_lshrrev_b32_e32 v7, 3, v0
	s_movk_i32 s4, 0x1ff
	s_movk_i32 s10, 0x60
	;; [unrolled: 1-line block ×14, first 2 shown]
	s_add_u32 s66, s52, 4
	s_mov_b32 s92, 0
	v_cmp_eq_u32_e64 s[0:1], 0, v0
	v_cmp_eq_u32_e64 s[2:3], 15, v1
	v_subrev_u32_e32 v19, s59, v0
	v_and_b32_e32 v20, 60, v7
	v_cmp_eq_u32_e64 s[4:5], s4, v0
	v_cmp_gt_u32_e64 s[6:7], 32, v0
	v_cmp_gt_u32_e64 s[8:9], 64, v0
	;; [unrolled: 1-line block ×15, first 2 shown]
	s_addc_u32 s90, s53, 0
	v_or_b32_e32 v21, 0xfffffe00, v0
	v_lshlrev_b32_e32 v22, 3, v0
	v_mov_b32_e32 v25, 0x800
	v_mov_b32_e32 v23, s38
	;; [unrolled: 1-line block ×3, first 2 shown]
	s_movk_i32 s91, 0x5ff
	v_mov_b32_e32 v24, 1
	s_branch .LBB43_11
.LBB43_10:                              ;   in Loop: Header=BB43_11 Depth=1
	s_or_b64 exec, exec, s[38:39]
	ds_read_b32 v10, v6 offset:18432
	s_waitcnt lgkmcnt(0)
	s_barrier
	v_cmp_le_i32_e32 vcc, s33, v10
	v_readfirstlane_b32 s92, v10
	v_add_u32_e32 v25, 0x800, v10
	s_cbranch_vccnz .LBB43_62
.LBB43_11:                              ; =>This Loop Header: Depth=1
                                        ;     Child Loop BB43_12 Depth 2
                                        ;     Child Loop BB43_18 Depth 2
                                        ;       Child Loop BB43_24 Depth 3
                                        ;     Child Loop BB43_41 Depth 2
                                        ;     Child Loop BB43_53 Depth 2
	;; [unrolled: 1-line block ×3, first 2 shown]
	s_mov_b64 s[38:39], 0
	v_mov_b32_e32 v10, v22
	v_mov_b32_e32 v11, v21
.LBB43_12:                              ;   Parent Loop BB43_11 Depth=1
                                        ; =>  This Inner Loop Header: Depth=2
	ds_write_b8 v11, v6 offset:16896
	ds_write_b64 v10, v[6:7]
	v_add_u32_e32 v11, 0x200, v11
	v_cmp_lt_u32_e32 vcc, s91, v11
	s_or_b64 s[38:39], vcc, s[38:39]
	v_add_u32_e32 v10, 0x1000, v10
	s_andn2_b64 exec, exec, s[38:39]
	s_cbranch_execnz .LBB43_12
; %bb.13:                               ;   in Loop: Header=BB43_11 Depth=1
	s_or_b64 exec, exec, s[38:39]
	s_and_saveexec_b64 s[38:39], s[0:1]
	s_cbranch_execz .LBB43_15
; %bb.14:                               ;   in Loop: Header=BB43_11 Depth=1
	v_mov_b32_e32 v10, s33
	ds_write_b32 v6, v10 offset:18432
.LBB43_15:                              ;   in Loop: Header=BB43_11 Depth=1
	s_or_b64 exec, exec, s[38:39]
	v_mov_b32_e32 v26, s33
	s_waitcnt lgkmcnt(0)
	s_barrier
	s_and_saveexec_b64 s[72:73], s[70:71]
	s_cbranch_execz .LBB43_37
; %bb.16:                               ;   in Loop: Header=BB43_11 Depth=1
	s_cmp_lg_u32 s92, 0
	s_mov_b64 s[74:75], 0
	s_cselect_b64 s[76:77], -1, 0
	v_mov_b32_e32 v26, s33
	v_mov_b32_e32 v10, v18
	s_branch .LBB43_18
.LBB43_17:                              ;   in Loop: Header=BB43_18 Depth=2
	s_or_b64 exec, exec, s[38:39]
	v_add_u32_e32 v10, 32, v10
	v_cmp_le_i32_e32 vcc, s67, v10
	s_or_b64 s[74:75], vcc, s[74:75]
	s_andn2_b64 exec, exec, s[74:75]
	s_cbranch_execz .LBB43_36
.LBB43_18:                              ;   Parent Loop BB43_11 Depth=1
                                        ; =>  This Loop Header: Depth=2
                                        ;       Child Loop BB43_24 Depth 3
	v_ashrrev_i32_e32 v11, 31, v10
	v_lshlrev_b64 v[12:13], 2, v[10:11]
	v_mov_b32_e32 v15, s49
	v_add_co_u32_e32 v14, vcc, s48, v12
	v_addc_co_u32_e32 v15, vcc, v15, v13, vcc
	global_load_dword v16, v[14:15], off
	v_lshlrev_b64 v[14:15], 3, v[10:11]
	v_mov_b32_e32 v11, s51
	v_add_co_u32_e32 v14, vcc, s50, v14
	v_addc_co_u32_e32 v15, vcc, v11, v15, vcc
	global_load_dwordx2 v[14:15], v[14:15], off
	s_and_b64 vcc, exec, s[76:77]
	s_waitcnt vmcnt(0)
	v_subrev_u32_e32 v16, s56, v16
	v_ashrrev_i32_e32 v17, 31, v16
	s_cbranch_vccz .LBB43_35
; %bb.19:                               ;   in Loop: Header=BB43_18 Depth=2
	v_mov_b32_e32 v11, s69
	v_add_co_u32_e32 v28, vcc, s68, v12
	v_addc_co_u32_e32 v29, vcc, v11, v13, vcc
	global_load_dword v11, v[28:29], off
	s_cbranch_execnz .LBB43_21
.LBB43_20:                              ;   in Loop: Header=BB43_18 Depth=2
	v_lshlrev_b64 v[28:29], 2, v[16:17]
	s_waitcnt vmcnt(0)
	v_mov_b32_e32 v11, s53
	v_add_co_u32_e32 v28, vcc, s52, v28
	v_addc_co_u32_e32 v29, vcc, v11, v29, vcc
	global_load_dword v11, v[28:29], off
	s_waitcnt vmcnt(0)
	v_subrev_u32_e32 v11, s57, v11
.LBB43_21:                              ;   in Loop: Header=BB43_18 Depth=2
	v_lshlrev_b64 v[16:17], 2, v[16:17]
	v_mov_b32_e32 v27, s90
	v_add_co_u32_e32 v16, vcc, s66, v16
	v_addc_co_u32_e32 v17, vcc, v27, v17, vcc
	global_load_dword v16, v[16:17], off
	s_waitcnt vmcnt(1)
	v_add_u32_e32 v11, v11, v1
	s_waitcnt vmcnt(0)
	v_subrev_u32_e32 v27, s57, v16
	v_cmp_lt_i32_e32 vcc, v11, v27
	s_and_saveexec_b64 s[78:79], vcc
	s_cbranch_execz .LBB43_33
; %bb.22:                               ;   in Loop: Header=BB43_18 Depth=2
	v_mul_f64 v[14:15], v[2:3], v[14:15]
	s_mov_b64 s[82:83], 0
	v_mov_b32_e32 v16, v11
                                        ; implicit-def: $sgpr80_sgpr81
                                        ; implicit-def: $sgpr84_sgpr85
	s_branch .LBB43_24
.LBB43_23:                              ;   in Loop: Header=BB43_24 Depth=3
	s_or_b64 exec, exec, s[86:87]
	s_and_b64 s[38:39], exec, s[88:89]
	s_or_b64 s[82:83], s[38:39], s[82:83]
	s_andn2_b64 s[38:39], s[80:81], exec
	s_and_b64 s[80:81], s[84:85], exec
	s_or_b64 s[80:81], s[38:39], s[80:81]
	v_mov_b32_e32 v16, v29
	s_andn2_b64 exec, exec, s[82:83]
	s_cbranch_execz .LBB43_30
.LBB43_24:                              ;   Parent Loop BB43_11 Depth=1
                                        ;     Parent Loop BB43_18 Depth=2
                                        ; =>    This Inner Loop Header: Depth=3
	v_ashrrev_i32_e32 v17, 31, v16
	v_lshlrev_b64 v[28:29], 2, v[16:17]
	v_mov_b32_e32 v30, s55
	v_add_co_u32_e32 v28, vcc, s54, v28
	v_addc_co_u32_e32 v29, vcc, v30, v29, vcc
	global_load_dword v28, v[28:29], off
                                        ; implicit-def: $sgpr86_sgpr87
	s_waitcnt vmcnt(0)
	v_subrev_u32_e32 v28, s57, v28
	v_cmp_gt_i32_e32 vcc, s92, v28
	v_cmp_ge_i32_e64 s[38:39], v28, v25
	s_or_b64 s[88:89], vcc, s[38:39]
	s_mov_b64 s[38:39], 0
	s_and_saveexec_b64 s[94:95], s[88:89]
	s_xor_b64 s[88:89], exec, s[94:95]
; %bb.25:                               ;   in Loop: Header=BB43_24 Depth=3
	v_cmp_lt_i32_e32 vcc, v28, v25
	s_mov_b64 s[86:87], -1
	s_and_b64 s[38:39], vcc, exec
; %bb.26:                               ;   in Loop: Header=BB43_24 Depth=3
	s_andn2_saveexec_b64 s[88:89], s[88:89]
	s_cbranch_execz .LBB43_28
; %bb.27:                               ;   in Loop: Header=BB43_24 Depth=3
	v_lshlrev_b64 v[30:31], 3, v[16:17]
	v_mov_b32_e32 v17, s47
	v_add_co_u32_e32 v30, vcc, s46, v30
	v_addc_co_u32_e32 v31, vcc, v17, v31, vcc
	global_load_dwordx2 v[30:31], v[30:31], off
	v_subrev_u32_e32 v17, s92, v28
	ds_write_b8 v17, v24 offset:16384
	v_lshlrev_b32_e32 v17, 3, v17
	s_or_b64 s[38:39], s[38:39], exec
	s_waitcnt vmcnt(0)
	v_mul_f64 v[30:31], v[14:15], v[30:31]
	ds_add_f64 v17, v[30:31]
.LBB43_28:                              ;   in Loop: Header=BB43_24 Depth=3
	s_or_b64 exec, exec, s[88:89]
	s_andn2_b64 s[84:85], s[84:85], exec
	s_and_b64 s[86:87], s[86:87], exec
	s_mov_b64 s[88:89], -1
	s_or_b64 s[84:85], s[84:85], s[86:87]
	v_mov_b32_e32 v17, v16
                                        ; implicit-def: $vgpr29
	s_and_saveexec_b64 s[86:87], s[38:39]
	s_cbranch_execz .LBB43_23
; %bb.29:                               ;   in Loop: Header=BB43_24 Depth=3
	v_add_u32_e32 v29, 16, v16
	v_cmp_ge_i32_e32 vcc, v29, v27
	s_andn2_b64 s[84:85], s[84:85], exec
	s_orn2_b64 s[88:89], vcc, exec
	v_mov_b32_e32 v17, v16
	s_branch .LBB43_23
.LBB43_30:                              ;   in Loop: Header=BB43_18 Depth=2
	s_or_b64 exec, exec, s[82:83]
	s_and_saveexec_b64 s[38:39], s[80:81]
	s_xor_b64 s[38:39], exec, s[38:39]
; %bb.31:                               ;   in Loop: Header=BB43_18 Depth=2
	v_min_i32_e32 v26, v28, v26
	v_mov_b32_e32 v11, v17
; %bb.32:                               ;   in Loop: Header=BB43_18 Depth=2
	s_or_b64 exec, exec, s[38:39]
.LBB43_33:                              ;   in Loop: Header=BB43_18 Depth=2
	s_or_b64 exec, exec, s[78:79]
	v_mov_b32_dpp v14, v11 row_shr:1 row_mask:0xf bank_mask:0xf
	v_min_i32_e32 v11, v14, v11
	s_nop 1
	v_mov_b32_dpp v14, v11 row_shr:2 row_mask:0xf bank_mask:0xf
	v_min_i32_e32 v11, v14, v11
	s_nop 1
	v_mov_b32_dpp v14, v11 row_shr:4 row_mask:0xf bank_mask:0xe
	v_min_i32_e32 v11, v14, v11
	s_nop 1
	v_mov_b32_dpp v14, v11 row_shr:8 row_mask:0xf bank_mask:0xc
	s_and_saveexec_b64 s[38:39], s[2:3]
	s_cbranch_execz .LBB43_17
; %bb.34:                               ;   in Loop: Header=BB43_18 Depth=2
	v_min_i32_e32 v11, v14, v11
	v_mov_b32_e32 v14, s69
	v_add_co_u32_e32 v12, vcc, s68, v12
	v_addc_co_u32_e32 v13, vcc, v14, v13, vcc
	global_store_dword v[12:13], v11, off
	s_branch .LBB43_17
.LBB43_35:                              ;   in Loop: Header=BB43_18 Depth=2
                                        ; implicit-def: $vgpr11
	s_branch .LBB43_20
.LBB43_36:                              ;   in Loop: Header=BB43_11 Depth=1
	s_or_b64 exec, exec, s[74:75]
.LBB43_37:                              ;   in Loop: Header=BB43_11 Depth=1
	s_or_b64 exec, exec, s[72:73]
	s_andn2_b64 vcc, exec, s[64:65]
	s_cbranch_vccnz .LBB43_51
; %bb.38:                               ;   in Loop: Header=BB43_11 Depth=1
	s_load_dwordx2 s[38:39], s[40:41], 0x0
	s_waitcnt lgkmcnt(0)
	s_sub_i32 s84, s39, s59
	v_add_u32_e32 v10, s38, v19
	v_cmp_gt_i32_e32 vcc, s84, v10
	s_and_saveexec_b64 s[72:73], vcc
	s_cbranch_execz .LBB43_50
; %bb.39:                               ;   in Loop: Header=BB43_11 Depth=1
	s_mov_b64 s[74:75], 0
                                        ; implicit-def: $sgpr76_sgpr77
                                        ; implicit-def: $sgpr78_sgpr79
	s_branch .LBB43_41
.LBB43_40:                              ;   in Loop: Header=BB43_41 Depth=2
	s_or_b64 exec, exec, s[80:81]
	s_and_b64 s[38:39], exec, s[82:83]
	s_or_b64 s[74:75], s[38:39], s[74:75]
	s_andn2_b64 s[38:39], s[76:77], exec
	s_and_b64 s[76:77], s[78:79], exec
	s_or_b64 s[76:77], s[38:39], s[76:77]
	s_andn2_b64 exec, exec, s[74:75]
	s_cbranch_execz .LBB43_47
.LBB43_41:                              ;   Parent Loop BB43_11 Depth=1
                                        ; =>  This Inner Loop Header: Depth=2
	v_ashrrev_i32_e32 v11, 31, v10
	v_lshlrev_b64 v[12:13], 2, v[10:11]
	v_mov_b32_e32 v14, s43
	v_add_co_u32_e32 v12, vcc, s42, v12
	v_addc_co_u32_e32 v13, vcc, v14, v13, vcc
	global_load_dword v12, v[12:13], off
                                        ; implicit-def: $sgpr80_sgpr81
	s_waitcnt vmcnt(0)
	v_subrev_u32_e32 v12, s59, v12
	v_cmp_gt_i32_e32 vcc, s92, v12
	v_cmp_ge_i32_e64 s[38:39], v12, v25
	s_or_b64 s[82:83], vcc, s[38:39]
	s_mov_b64 s[38:39], 0
	s_and_saveexec_b64 s[86:87], s[82:83]
	s_xor_b64 s[82:83], exec, s[86:87]
; %bb.42:                               ;   in Loop: Header=BB43_41 Depth=2
	v_cmp_lt_i32_e32 vcc, v12, v25
	s_mov_b64 s[80:81], -1
	s_and_b64 s[38:39], vcc, exec
; %bb.43:                               ;   in Loop: Header=BB43_41 Depth=2
	s_andn2_saveexec_b64 s[82:83], s[82:83]
	s_cbranch_execz .LBB43_45
; %bb.44:                               ;   in Loop: Header=BB43_41 Depth=2
	v_lshlrev_b64 v[14:15], 3, v[10:11]
	v_mov_b32_e32 v11, s45
	v_add_co_u32_e32 v14, vcc, s44, v14
	v_addc_co_u32_e32 v15, vcc, v11, v15, vcc
	global_load_dwordx2 v[14:15], v[14:15], off
	v_subrev_u32_e32 v11, s92, v12
	ds_write_b8 v11, v24 offset:16384
	v_lshlrev_b32_e32 v11, 3, v11
	s_or_b64 s[38:39], s[38:39], exec
	s_waitcnt vmcnt(0)
	v_mul_f64 v[14:15], v[4:5], v[14:15]
	ds_add_f64 v11, v[14:15]
.LBB43_45:                              ;   in Loop: Header=BB43_41 Depth=2
	s_or_b64 exec, exec, s[82:83]
	s_andn2_b64 s[78:79], s[78:79], exec
	s_and_b64 s[80:81], s[80:81], exec
	s_mov_b64 s[82:83], -1
	s_or_b64 s[78:79], s[78:79], s[80:81]
	s_and_saveexec_b64 s[80:81], s[38:39]
	s_cbranch_execz .LBB43_40
; %bb.46:                               ;   in Loop: Header=BB43_41 Depth=2
	v_add_u32_e32 v10, 0x200, v10
	v_cmp_le_i32_e32 vcc, s84, v10
	s_andn2_b64 s[78:79], s[78:79], exec
	s_orn2_b64 s[82:83], vcc, exec
	s_branch .LBB43_40
.LBB43_47:                              ;   in Loop: Header=BB43_11 Depth=1
	s_or_b64 exec, exec, s[74:75]
	s_and_saveexec_b64 s[38:39], s[76:77]
	s_xor_b64 s[38:39], exec, s[38:39]
; %bb.48:                               ;   in Loop: Header=BB43_11 Depth=1
	v_min_i32_e32 v26, v12, v26
; %bb.49:                               ;   in Loop: Header=BB43_11 Depth=1
	s_or_b64 exec, exec, s[38:39]
.LBB43_50:                              ;   in Loop: Header=BB43_11 Depth=1
	s_or_b64 exec, exec, s[72:73]
.LBB43_51:                              ;   in Loop: Header=BB43_11 Depth=1
	v_mov_b32_dpp v10, v26 row_shr:1 row_mask:0xf bank_mask:0xf
	v_min_i32_e32 v10, v10, v26
	s_nop 1
	v_mov_b32_dpp v11, v10 row_shr:2 row_mask:0xf bank_mask:0xf
	v_min_i32_e32 v10, v11, v10
	s_nop 1
	v_mov_b32_dpp v11, v10 row_shr:4 row_mask:0xf bank_mask:0xe
	v_min_i32_e32 v10, v11, v10
	s_nop 1
	v_mov_b32_dpp v11, v10 row_shr:8 row_mask:0xf bank_mask:0xc
	s_and_saveexec_b64 s[38:39], s[2:3]
	s_cbranch_execz .LBB43_56
; %bb.52:                               ;   in Loop: Header=BB43_11 Depth=1
	s_mov_b64 s[72:73], exec
	v_min_i32_e32 v10, v11, v10
	s_brev_b32 s74, -2
.LBB43_53:                              ;   Parent Loop BB43_11 Depth=1
                                        ; =>  This Inner Loop Header: Depth=2
	s_ff1_i32_b64 s75, s[72:73]
	v_readlane_b32 s78, v10, s75
	s_lshl_b64 s[76:77], 1, s75
	s_min_i32 s74, s74, s78
	s_andn2_b64 s[72:73], s[72:73], s[76:77]
	s_cmp_lg_u64 s[72:73], 0
	s_cbranch_scc1 .LBB43_53
; %bb.54:                               ;   in Loop: Header=BB43_11 Depth=1
	v_mbcnt_lo_u32_b32 v10, exec_lo, 0
	v_mbcnt_hi_u32_b32 v10, exec_hi, v10
	v_cmp_eq_u32_e32 vcc, 0, v10
	s_and_saveexec_b64 s[72:73], vcc
	s_xor_b64 s[72:73], exec, s[72:73]
	s_cbranch_execz .LBB43_56
; %bb.55:                               ;   in Loop: Header=BB43_11 Depth=1
	v_mov_b32_e32 v10, s74
	ds_min_i32 v6, v10 offset:18432
.LBB43_56:                              ;   in Loop: Header=BB43_11 Depth=1
	s_or_b64 exec, exec, s[38:39]
	s_add_i32 s74, s58, s92
	s_mov_b64 s[38:39], 0
	v_mov_b32_e32 v12, v22
	v_mov_b32_e32 v13, v0
	s_waitcnt lgkmcnt(0)
	s_barrier
	s_branch .LBB43_58
.LBB43_57:                              ;   in Loop: Header=BB43_58 Depth=2
	s_or_b64 exec, exec, s[72:73]
	s_waitcnt lgkmcnt(0)
	s_barrier
	ds_read_b32 v10, v6 offset:60
	v_add_u32_e32 v11, 0x200, v13
	v_cmp_lt_u32_e32 vcc, s91, v13
	v_add_u32_e32 v12, 0x1000, v12
	s_or_b64 s[38:39], vcc, s[38:39]
	s_waitcnt lgkmcnt(0)
	v_add_u32_e32 v23, v10, v23
	v_mov_b32_e32 v13, v11
	s_andn2_b64 exec, exec, s[38:39]
	s_cbranch_execz .LBB43_10
.LBB43_58:                              ;   Parent Loop BB43_11 Depth=1
                                        ; =>  This Inner Loop Header: Depth=2
	ds_read_u8 v25, v13 offset:16384
	ds_read_b64 v[10:11], v12
	s_waitcnt lgkmcnt(0)
	s_barrier
	v_cmp_ne_u16_e32 vcc, 0, v25
	s_bcnt1_i32_b64 s72, vcc
	v_and_b32_e32 v14, vcc_lo, v8
	v_bcnt_u32_b32 v27, v14, 0
	v_mov_b32_e32 v14, s72
	ds_write_b32 v20, v14
	s_waitcnt lgkmcnt(0)
	s_barrier
	ds_read_b128 v[14:17], v6
	v_and_b32_e32 v26, vcc_hi, v9
	v_bcnt_u32_b32 v37, v26, v27
	ds_read_b128 v[26:29], v6 offset:16
	ds_read_b128 v[30:33], v6 offset:32
	ds_read_b96 v[34:36], v6 offset:48
	s_waitcnt lgkmcnt(0)
	v_cndmask_b32_e64 v14, v14, 0, s[6:7]
	v_add_u32_e32 v14, v14, v37
	v_cndmask_b32_e64 v15, v15, 0, s[8:9]
	v_cndmask_b32_e64 v16, v16, 0, s[10:11]
	v_add3_u32 v14, v14, v15, v16
	v_cndmask_b32_e64 v15, v17, 0, s[12:13]
	v_cndmask_b32_e64 v16, v26, 0, s[14:15]
	v_add3_u32 v14, v14, v15, v16
	;; [unrolled: 3-line block ×7, first 2 shown]
	v_and_b32_e32 v15, 1, v25
	v_cmp_eq_u32_e32 vcc, 1, v15
	s_and_saveexec_b64 s[72:73], vcc
	s_cbranch_execz .LBB43_60
; %bb.59:                               ;   in Loop: Header=BB43_58 Depth=2
	v_add3_u32 v16, v23, v14, -1
	v_ashrrev_i32_e32 v17, 31, v16
	v_lshlrev_b64 v[26:27], 2, v[16:17]
	v_mov_b32_e32 v25, s61
	v_add_co_u32_e32 v26, vcc, s60, v26
	v_addc_co_u32_e32 v27, vcc, v25, v27, vcc
	v_lshlrev_b64 v[16:17], 3, v[16:17]
	v_add_u32_e32 v15, s74, v13
	v_mov_b32_e32 v25, s63
	v_add_co_u32_e32 v16, vcc, s62, v16
	v_addc_co_u32_e32 v17, vcc, v25, v17, vcc
	global_store_dword v[26:27], v15, off
	global_store_dwordx2 v[16:17], v[10:11], off
.LBB43_60:                              ;   in Loop: Header=BB43_58 Depth=2
	s_or_b64 exec, exec, s[72:73]
	s_and_saveexec_b64 s[72:73], s[4:5]
	s_cbranch_execz .LBB43_57
; %bb.61:                               ;   in Loop: Header=BB43_58 Depth=2
	ds_write_b32 v6, v14 offset:60
	s_branch .LBB43_57
.LBB43_62:
	s_endpgm
	.section	.rodata,"a",@progbits
	.p2align	6, 0x0
	.amdhsa_kernel _ZN9rocsparseL36csrgemm_fill_block_per_row_multipassILj512ELj16ELj2048ELj32EiidEEvT4_PKS1_S3_NS_24const_host_device_scalarIT5_EEPKT3_S3_PKS5_S9_S3_SB_S6_S9_S3_SB_S9_PS1_PS5_PS7_21rocsparse_index_base_SF_SF_SF_bbb
		.amdhsa_group_segment_fixed_size 18440
		.amdhsa_private_segment_fixed_size 0
		.amdhsa_kernarg_size 164
		.amdhsa_user_sgpr_count 6
		.amdhsa_user_sgpr_private_segment_buffer 1
		.amdhsa_user_sgpr_dispatch_ptr 0
		.amdhsa_user_sgpr_queue_ptr 0
		.amdhsa_user_sgpr_kernarg_segment_ptr 1
		.amdhsa_user_sgpr_dispatch_id 0
		.amdhsa_user_sgpr_flat_scratch_init 0
		.amdhsa_user_sgpr_kernarg_preload_length 0
		.amdhsa_user_sgpr_kernarg_preload_offset 0
		.amdhsa_user_sgpr_private_segment_size 0
		.amdhsa_uses_dynamic_stack 0
		.amdhsa_system_sgpr_private_segment_wavefront_offset 0
		.amdhsa_system_sgpr_workgroup_id_x 1
		.amdhsa_system_sgpr_workgroup_id_y 0
		.amdhsa_system_sgpr_workgroup_id_z 0
		.amdhsa_system_sgpr_workgroup_info 0
		.amdhsa_system_vgpr_workitem_id 0
		.amdhsa_next_free_vgpr 38
		.amdhsa_next_free_sgpr 96
		.amdhsa_accum_offset 40
		.amdhsa_reserve_vcc 1
		.amdhsa_reserve_flat_scratch 0
		.amdhsa_float_round_mode_32 0
		.amdhsa_float_round_mode_16_64 0
		.amdhsa_float_denorm_mode_32 3
		.amdhsa_float_denorm_mode_16_64 3
		.amdhsa_dx10_clamp 1
		.amdhsa_ieee_mode 1
		.amdhsa_fp16_overflow 0
		.amdhsa_tg_split 0
		.amdhsa_exception_fp_ieee_invalid_op 0
		.amdhsa_exception_fp_denorm_src 0
		.amdhsa_exception_fp_ieee_div_zero 0
		.amdhsa_exception_fp_ieee_overflow 0
		.amdhsa_exception_fp_ieee_underflow 0
		.amdhsa_exception_fp_ieee_inexact 0
		.amdhsa_exception_int_div_zero 0
	.end_amdhsa_kernel
	.section	.text._ZN9rocsparseL36csrgemm_fill_block_per_row_multipassILj512ELj16ELj2048ELj32EiidEEvT4_PKS1_S3_NS_24const_host_device_scalarIT5_EEPKT3_S3_PKS5_S9_S3_SB_S6_S9_S3_SB_S9_PS1_PS5_PS7_21rocsparse_index_base_SF_SF_SF_bbb,"axG",@progbits,_ZN9rocsparseL36csrgemm_fill_block_per_row_multipassILj512ELj16ELj2048ELj32EiidEEvT4_PKS1_S3_NS_24const_host_device_scalarIT5_EEPKT3_S3_PKS5_S9_S3_SB_S6_S9_S3_SB_S9_PS1_PS5_PS7_21rocsparse_index_base_SF_SF_SF_bbb,comdat
.Lfunc_end43:
	.size	_ZN9rocsparseL36csrgemm_fill_block_per_row_multipassILj512ELj16ELj2048ELj32EiidEEvT4_PKS1_S3_NS_24const_host_device_scalarIT5_EEPKT3_S3_PKS5_S9_S3_SB_S6_S9_S3_SB_S9_PS1_PS5_PS7_21rocsparse_index_base_SF_SF_SF_bbb, .Lfunc_end43-_ZN9rocsparseL36csrgemm_fill_block_per_row_multipassILj512ELj16ELj2048ELj32EiidEEvT4_PKS1_S3_NS_24const_host_device_scalarIT5_EEPKT3_S3_PKS5_S9_S3_SB_S6_S9_S3_SB_S9_PS1_PS5_PS7_21rocsparse_index_base_SF_SF_SF_bbb
                                        ; -- End function
	.section	.AMDGPU.csdata,"",@progbits
; Kernel info:
; codeLenInByte = 2548
; NumSgprs: 100
; NumVgprs: 38
; NumAgprs: 0
; TotalNumVgprs: 38
; ScratchSize: 0
; MemoryBound: 0
; FloatMode: 240
; IeeeMode: 1
; LDSByteSize: 18440 bytes/workgroup (compile time only)
; SGPRBlocks: 12
; VGPRBlocks: 4
; NumSGPRsForWavesPerEU: 100
; NumVGPRsForWavesPerEU: 38
; AccumOffset: 40
; Occupancy: 6
; WaveLimiterHint : 1
; COMPUTE_PGM_RSRC2:SCRATCH_EN: 0
; COMPUTE_PGM_RSRC2:USER_SGPR: 6
; COMPUTE_PGM_RSRC2:TRAP_HANDLER: 0
; COMPUTE_PGM_RSRC2:TGID_X_EN: 1
; COMPUTE_PGM_RSRC2:TGID_Y_EN: 0
; COMPUTE_PGM_RSRC2:TGID_Z_EN: 0
; COMPUTE_PGM_RSRC2:TIDIG_COMP_CNT: 0
; COMPUTE_PGM_RSRC3_GFX90A:ACCUM_OFFSET: 9
; COMPUTE_PGM_RSRC3_GFX90A:TG_SPLIT: 0
	.section	.text._ZN9rocsparseL36csrgemm_fill_block_per_row_multipassILj512ELj16ELj2048ELj64EiidEEvT4_PKS1_S3_NS_24const_host_device_scalarIT5_EEPKT3_S3_PKS5_S9_S3_SB_S6_S9_S3_SB_S9_PS1_PS5_PS7_21rocsparse_index_base_SF_SF_SF_bbb,"axG",@progbits,_ZN9rocsparseL36csrgemm_fill_block_per_row_multipassILj512ELj16ELj2048ELj64EiidEEvT4_PKS1_S3_NS_24const_host_device_scalarIT5_EEPKT3_S3_PKS5_S9_S3_SB_S6_S9_S3_SB_S9_PS1_PS5_PS7_21rocsparse_index_base_SF_SF_SF_bbb,comdat
	.globl	_ZN9rocsparseL36csrgemm_fill_block_per_row_multipassILj512ELj16ELj2048ELj64EiidEEvT4_PKS1_S3_NS_24const_host_device_scalarIT5_EEPKT3_S3_PKS5_S9_S3_SB_S6_S9_S3_SB_S9_PS1_PS5_PS7_21rocsparse_index_base_SF_SF_SF_bbb ; -- Begin function _ZN9rocsparseL36csrgemm_fill_block_per_row_multipassILj512ELj16ELj2048ELj64EiidEEvT4_PKS1_S3_NS_24const_host_device_scalarIT5_EEPKT3_S3_PKS5_S9_S3_SB_S6_S9_S3_SB_S9_PS1_PS5_PS7_21rocsparse_index_base_SF_SF_SF_bbb
	.p2align	8
	.type	_ZN9rocsparseL36csrgemm_fill_block_per_row_multipassILj512ELj16ELj2048ELj64EiidEEvT4_PKS1_S3_NS_24const_host_device_scalarIT5_EEPKT3_S3_PKS5_S9_S3_SB_S6_S9_S3_SB_S9_PS1_PS5_PS7_21rocsparse_index_base_SF_SF_SF_bbb,@function
_ZN9rocsparseL36csrgemm_fill_block_per_row_multipassILj512ELj16ELj2048ELj64EiidEEvT4_PKS1_S3_NS_24const_host_device_scalarIT5_EEPKT3_S3_PKS5_S9_S3_SB_S6_S9_S3_SB_S9_PS1_PS5_PS7_21rocsparse_index_base_SF_SF_SF_bbb: ; @_ZN9rocsparseL36csrgemm_fill_block_per_row_multipassILj512ELj16ELj2048ELj64EiidEEvT4_PKS1_S3_NS_24const_host_device_scalarIT5_EEPKT3_S3_PKS5_S9_S3_SB_S6_S9_S3_SB_S9_PS1_PS5_PS7_21rocsparse_index_base_SF_SF_SF_bbb
; %bb.0:
	s_load_dword s7, s[4:5], 0xa0
	s_load_dwordx4 s[0:3], s[4:5], 0x8
	s_load_dwordx2 s[10:11], s[4:5], 0x18
	s_load_dwordx4 s[28:31], s[4:5], 0x90
	s_load_dwordx2 s[12:13], s[4:5], 0x50
	s_waitcnt lgkmcnt(0)
	s_and_b32 s8, 1, s7
	s_bitcmp1_b32 s7, 16
	s_cselect_b64 s[14:15], -1, 0
	s_cmp_eq_u32 s8, 1
	s_cselect_b64 s[8:9], -1, 0
	s_and_b64 s[16:17], s[8:9], exec
	s_cselect_b32 s17, s11, 0
	s_cselect_b32 s16, s10, 0
	s_xor_b64 s[18:19], s[8:9], -1
	s_or_b64 s[18:19], s[18:19], s[14:15]
	s_and_b64 vcc, exec, s[18:19]
	v_pk_mov_b32 v[2:3], s[16:17], s[16:17] op_sel:[0,1]
	s_cbranch_vccnz .LBB44_2
; %bb.1:
	v_pk_mov_b32 v[2:3], s[10:11], s[10:11] op_sel:[0,1]
	flat_load_dwordx2 v[2:3], v[2:3]
.LBB44_2:
	s_bitcmp1_b32 s7, 8
	s_load_dwordx2 s[10:11], s[4:5], 0x20
	s_cselect_b64 s[34:35], -1, 0
	s_and_b64 s[16:17], s[34:35], exec
	s_cselect_b32 s17, s13, 0
	s_cselect_b32 s16, s12, 0
	s_xor_b64 s[18:19], s[34:35], -1
	s_or_b64 s[14:15], s[18:19], s[14:15]
	s_and_b64 vcc, exec, s[14:15]
	v_pk_mov_b32 v[4:5], s[16:17], s[16:17] op_sel:[0,1]
	s_cbranch_vccnz .LBB44_4
; %bb.3:
	v_pk_mov_b32 v[4:5], s[12:13], s[12:13] op_sel:[0,1]
	flat_load_dwordx2 v[4:5], v[4:5]
.LBB44_4:
	s_load_dword s0, s[0:1], 0x0
	s_mov_b32 s49, 0
	v_cndmask_b32_e64 v1, 0, 1, s[8:9]
	s_waitcnt lgkmcnt(0)
	s_add_i32 s48, s0, s6
	s_lshl_b64 s[0:1], s[48:49], 2
	s_add_u32 s0, s2, s0
	s_addc_u32 s1, s3, s1
	s_load_dword s2, s[0:1], 0x0
	v_cmp_ne_u32_e64 s[0:1], 1, v1
	s_andn2_b64 vcc, exec, s[8:9]
	s_mov_b32 s6, 0
	s_cbranch_vccz .LBB44_7
; %bb.5:
	s_and_b64 vcc, exec, s[0:1]
	s_cbranch_vccz .LBB44_8
.LBB44_6:
	s_load_dword s33, s[4:5], 0x0
	s_waitcnt lgkmcnt(0)
	s_cmp_lt_i32 s33, 1
	s_cbranch_scc0 .LBB44_9
	s_branch .LBB44_62
.LBB44_7:
	s_waitcnt lgkmcnt(0)
	s_ashr_i32 s3, s2, 31
	s_lshl_b64 s[6:7], s[2:3], 2
	s_add_u32 s6, s10, s6
	s_addc_u32 s7, s11, s7
	s_load_dword s3, s[6:7], 0x0
	s_waitcnt lgkmcnt(0)
	s_sub_i32 s6, s3, s28
	s_and_b64 vcc, exec, s[0:1]
	s_cbranch_vccnz .LBB44_6
.LBB44_8:
	s_waitcnt lgkmcnt(0)
	s_ashr_i32 s3, s2, 31
	s_lshl_b64 s[0:1], s[2:3], 2
	s_add_u32 s0, s10, s0
	s_addc_u32 s1, s11, s1
	s_load_dword s0, s[0:1], 0x4
	s_waitcnt lgkmcnt(0)
	s_sub_i32 s49, s0, s28
	s_load_dword s33, s[4:5], 0x0
	s_waitcnt lgkmcnt(0)
	s_cmp_lt_i32 s33, 1
	s_cbranch_scc1 .LBB44_62
.LBB44_9:
	s_load_dwordx8 s[20:27], s[4:5], 0x58
	s_load_dwordx2 s[50:51], s[4:5], 0x88
	s_load_dwordx4 s[44:47], s[4:5], 0x78
	s_ashr_i32 s3, s2, 31
	s_lshl_b64 s[10:11], s[2:3], 2
	s_waitcnt lgkmcnt(0)
	s_add_u32 s0, s26, s10
	s_addc_u32 s1, s27, s11
	s_load_dword s2, s[0:1], 0x0
	s_load_dwordx2 s[26:27], s[4:5], 0x48
	s_load_dwordx8 s[36:43], s[4:5], 0x28
	v_lshrrev_b32_e32 v7, 4, v0
	v_add_u32_e32 v18, s6, v7
	s_waitcnt lgkmcnt(0)
	s_sub_i32 s56, s2, s30
	v_cmp_gt_i32_e32 vcc, s49, v18
	s_add_u32 s52, s20, s10
	v_mbcnt_lo_u32_b32 v8, -1, 0
	s_addc_u32 s53, s21, s11
	v_mbcnt_hi_u32_b32 v8, -1, v8
	s_and_b64 s[54:55], s[8:9], vcc
	v_and_b32_e32 v1, 15, v0
	v_mov_b32_e32 v6, 0
	v_sub_u32_e32 v8, 63, v8
	s_movk_i32 s4, 0x1ff
	s_movk_i32 s8, 0x80
	;; [unrolled: 1-line block ×7, first 2 shown]
	s_add_u32 s48, s40, 4
	s_mov_b32 s76, 0
	v_cmp_eq_u32_e64 s[0:1], 0, v0
	v_cmp_eq_u32_e64 s[2:3], 15, v1
	v_subrev_u32_e32 v19, s31, v0
	v_lshrrev_b64 v[8:9], v8, -1
	v_and_b32_e32 v20, 28, v7
	v_cmp_eq_u32_e64 s[4:5], s4, v0
	v_cmp_gt_u32_e64 s[6:7], 64, v0
	v_cmp_gt_u32_e64 s[8:9], s8, v0
	;; [unrolled: 1-line block ×7, first 2 shown]
	s_addc_u32 s74, s41, 0
	v_or_b32_e32 v21, 0xfffffe00, v0
	v_lshlrev_b32_e32 v22, 3, v0
	v_mov_b32_e32 v25, 0x800
	v_mov_b32_e32 v23, s56
	;; [unrolled: 1-line block ×3, first 2 shown]
	s_movk_i32 s75, 0x5ff
	v_mov_b32_e32 v24, 1
	s_branch .LBB44_11
.LBB44_10:                              ;   in Loop: Header=BB44_11 Depth=1
	s_or_b64 exec, exec, s[20:21]
	ds_read_b32 v10, v6 offset:18432
	s_waitcnt lgkmcnt(0)
	s_barrier
	v_cmp_le_i32_e32 vcc, s33, v10
	v_readfirstlane_b32 s76, v10
	v_add_u32_e32 v25, 0x800, v10
	s_cbranch_vccnz .LBB44_62
.LBB44_11:                              ; =>This Loop Header: Depth=1
                                        ;     Child Loop BB44_12 Depth 2
                                        ;     Child Loop BB44_18 Depth 2
                                        ;       Child Loop BB44_24 Depth 3
                                        ;     Child Loop BB44_41 Depth 2
                                        ;     Child Loop BB44_53 Depth 2
                                        ;     Child Loop BB44_58 Depth 2
	s_mov_b64 s[20:21], 0
	v_mov_b32_e32 v10, v22
	v_mov_b32_e32 v11, v21
.LBB44_12:                              ;   Parent Loop BB44_11 Depth=1
                                        ; =>  This Inner Loop Header: Depth=2
	ds_write_b8 v11, v6 offset:16896
	ds_write_b64 v10, v[6:7]
	v_add_u32_e32 v11, 0x200, v11
	v_cmp_lt_u32_e32 vcc, s75, v11
	s_or_b64 s[20:21], vcc, s[20:21]
	v_add_u32_e32 v10, 0x1000, v10
	s_andn2_b64 exec, exec, s[20:21]
	s_cbranch_execnz .LBB44_12
; %bb.13:                               ;   in Loop: Header=BB44_11 Depth=1
	s_or_b64 exec, exec, s[20:21]
	s_and_saveexec_b64 s[20:21], s[0:1]
	s_cbranch_execz .LBB44_15
; %bb.14:                               ;   in Loop: Header=BB44_11 Depth=1
	v_mov_b32_e32 v10, s33
	ds_write_b32 v6, v10 offset:18432
.LBB44_15:                              ;   in Loop: Header=BB44_11 Depth=1
	s_or_b64 exec, exec, s[20:21]
	v_mov_b32_e32 v26, s33
	s_waitcnt lgkmcnt(0)
	s_barrier
	s_and_saveexec_b64 s[56:57], s[54:55]
	s_cbranch_execz .LBB44_37
; %bb.16:                               ;   in Loop: Header=BB44_11 Depth=1
	s_cmp_lg_u32 s76, 0
	s_mov_b64 s[58:59], 0
	s_cselect_b64 s[60:61], -1, 0
	v_mov_b32_e32 v26, s33
	v_mov_b32_e32 v10, v18
	s_branch .LBB44_18
.LBB44_17:                              ;   in Loop: Header=BB44_18 Depth=2
	s_or_b64 exec, exec, s[20:21]
	v_add_u32_e32 v10, 32, v10
	v_cmp_le_i32_e32 vcc, s49, v10
	s_or_b64 s[58:59], vcc, s[58:59]
	s_andn2_b64 exec, exec, s[58:59]
	s_cbranch_execz .LBB44_36
.LBB44_18:                              ;   Parent Loop BB44_11 Depth=1
                                        ; =>  This Loop Header: Depth=2
                                        ;       Child Loop BB44_24 Depth 3
	v_ashrrev_i32_e32 v11, 31, v10
	v_lshlrev_b64 v[12:13], 2, v[10:11]
	v_mov_b32_e32 v15, s37
	v_add_co_u32_e32 v14, vcc, s36, v12
	v_addc_co_u32_e32 v15, vcc, v15, v13, vcc
	global_load_dword v16, v[14:15], off
	v_lshlrev_b64 v[14:15], 3, v[10:11]
	v_mov_b32_e32 v11, s39
	v_add_co_u32_e32 v14, vcc, s38, v14
	v_addc_co_u32_e32 v15, vcc, v11, v15, vcc
	global_load_dwordx2 v[14:15], v[14:15], off
	s_and_b64 vcc, exec, s[60:61]
	s_waitcnt vmcnt(0)
	v_subrev_u32_e32 v16, s28, v16
	v_ashrrev_i32_e32 v17, 31, v16
	s_cbranch_vccz .LBB44_35
; %bb.19:                               ;   in Loop: Header=BB44_18 Depth=2
	v_mov_b32_e32 v11, s51
	v_add_co_u32_e32 v28, vcc, s50, v12
	v_addc_co_u32_e32 v29, vcc, v11, v13, vcc
	global_load_dword v11, v[28:29], off
	s_cbranch_execnz .LBB44_21
.LBB44_20:                              ;   in Loop: Header=BB44_18 Depth=2
	v_lshlrev_b64 v[28:29], 2, v[16:17]
	s_waitcnt vmcnt(0)
	v_mov_b32_e32 v11, s41
	v_add_co_u32_e32 v28, vcc, s40, v28
	v_addc_co_u32_e32 v29, vcc, v11, v29, vcc
	global_load_dword v11, v[28:29], off
	s_waitcnt vmcnt(0)
	v_subrev_u32_e32 v11, s29, v11
.LBB44_21:                              ;   in Loop: Header=BB44_18 Depth=2
	v_lshlrev_b64 v[16:17], 2, v[16:17]
	v_mov_b32_e32 v27, s74
	v_add_co_u32_e32 v16, vcc, s48, v16
	v_addc_co_u32_e32 v17, vcc, v27, v17, vcc
	global_load_dword v16, v[16:17], off
	s_waitcnt vmcnt(1)
	v_add_u32_e32 v11, v11, v1
	s_waitcnt vmcnt(0)
	v_subrev_u32_e32 v27, s29, v16
	v_cmp_lt_i32_e32 vcc, v11, v27
	s_and_saveexec_b64 s[62:63], vcc
	s_cbranch_execz .LBB44_33
; %bb.22:                               ;   in Loop: Header=BB44_18 Depth=2
	v_mul_f64 v[14:15], v[2:3], v[14:15]
	s_mov_b64 s[66:67], 0
	v_mov_b32_e32 v16, v11
                                        ; implicit-def: $sgpr64_sgpr65
                                        ; implicit-def: $sgpr68_sgpr69
	s_branch .LBB44_24
.LBB44_23:                              ;   in Loop: Header=BB44_24 Depth=3
	s_or_b64 exec, exec, s[70:71]
	s_and_b64 s[20:21], exec, s[72:73]
	s_or_b64 s[66:67], s[20:21], s[66:67]
	s_andn2_b64 s[20:21], s[64:65], exec
	s_and_b64 s[64:65], s[68:69], exec
	s_or_b64 s[64:65], s[20:21], s[64:65]
	v_mov_b32_e32 v16, v29
	s_andn2_b64 exec, exec, s[66:67]
	s_cbranch_execz .LBB44_30
.LBB44_24:                              ;   Parent Loop BB44_11 Depth=1
                                        ;     Parent Loop BB44_18 Depth=2
                                        ; =>    This Inner Loop Header: Depth=3
	v_ashrrev_i32_e32 v17, 31, v16
	v_lshlrev_b64 v[28:29], 2, v[16:17]
	v_mov_b32_e32 v30, s43
	v_add_co_u32_e32 v28, vcc, s42, v28
	v_addc_co_u32_e32 v29, vcc, v30, v29, vcc
	global_load_dword v28, v[28:29], off
                                        ; implicit-def: $sgpr70_sgpr71
	s_waitcnt vmcnt(0)
	v_subrev_u32_e32 v28, s29, v28
	v_cmp_gt_i32_e32 vcc, s76, v28
	v_cmp_ge_i32_e64 s[20:21], v28, v25
	s_or_b64 s[72:73], vcc, s[20:21]
	s_mov_b64 s[20:21], 0
	s_and_saveexec_b64 s[78:79], s[72:73]
	s_xor_b64 s[72:73], exec, s[78:79]
; %bb.25:                               ;   in Loop: Header=BB44_24 Depth=3
	v_cmp_lt_i32_e32 vcc, v28, v25
	s_mov_b64 s[70:71], -1
	s_and_b64 s[20:21], vcc, exec
; %bb.26:                               ;   in Loop: Header=BB44_24 Depth=3
	s_andn2_saveexec_b64 s[72:73], s[72:73]
	s_cbranch_execz .LBB44_28
; %bb.27:                               ;   in Loop: Header=BB44_24 Depth=3
	v_lshlrev_b64 v[30:31], 3, v[16:17]
	v_mov_b32_e32 v17, s27
	v_add_co_u32_e32 v30, vcc, s26, v30
	v_addc_co_u32_e32 v31, vcc, v17, v31, vcc
	global_load_dwordx2 v[30:31], v[30:31], off
	v_subrev_u32_e32 v17, s76, v28
	ds_write_b8 v17, v24 offset:16384
	v_lshlrev_b32_e32 v17, 3, v17
	s_or_b64 s[20:21], s[20:21], exec
	s_waitcnt vmcnt(0)
	v_mul_f64 v[30:31], v[14:15], v[30:31]
	ds_add_f64 v17, v[30:31]
.LBB44_28:                              ;   in Loop: Header=BB44_24 Depth=3
	s_or_b64 exec, exec, s[72:73]
	s_andn2_b64 s[68:69], s[68:69], exec
	s_and_b64 s[70:71], s[70:71], exec
	s_mov_b64 s[72:73], -1
	s_or_b64 s[68:69], s[68:69], s[70:71]
	v_mov_b32_e32 v17, v16
                                        ; implicit-def: $vgpr29
	s_and_saveexec_b64 s[70:71], s[20:21]
	s_cbranch_execz .LBB44_23
; %bb.29:                               ;   in Loop: Header=BB44_24 Depth=3
	v_add_u32_e32 v29, 16, v16
	v_cmp_ge_i32_e32 vcc, v29, v27
	s_andn2_b64 s[68:69], s[68:69], exec
	s_orn2_b64 s[72:73], vcc, exec
	v_mov_b32_e32 v17, v16
	s_branch .LBB44_23
.LBB44_30:                              ;   in Loop: Header=BB44_18 Depth=2
	s_or_b64 exec, exec, s[66:67]
	s_and_saveexec_b64 s[20:21], s[64:65]
	s_xor_b64 s[20:21], exec, s[20:21]
; %bb.31:                               ;   in Loop: Header=BB44_18 Depth=2
	v_min_i32_e32 v26, v28, v26
	v_mov_b32_e32 v11, v17
; %bb.32:                               ;   in Loop: Header=BB44_18 Depth=2
	s_or_b64 exec, exec, s[20:21]
.LBB44_33:                              ;   in Loop: Header=BB44_18 Depth=2
	s_or_b64 exec, exec, s[62:63]
	v_mov_b32_dpp v14, v11 row_shr:1 row_mask:0xf bank_mask:0xf
	v_min_i32_e32 v11, v14, v11
	s_nop 1
	v_mov_b32_dpp v14, v11 row_shr:2 row_mask:0xf bank_mask:0xf
	v_min_i32_e32 v11, v14, v11
	s_nop 1
	;; [unrolled: 3-line block ×3, first 2 shown]
	v_mov_b32_dpp v14, v11 row_shr:8 row_mask:0xf bank_mask:0xc
	s_and_saveexec_b64 s[20:21], s[2:3]
	s_cbranch_execz .LBB44_17
; %bb.34:                               ;   in Loop: Header=BB44_18 Depth=2
	v_min_i32_e32 v11, v14, v11
	v_mov_b32_e32 v14, s51
	v_add_co_u32_e32 v12, vcc, s50, v12
	v_addc_co_u32_e32 v13, vcc, v14, v13, vcc
	global_store_dword v[12:13], v11, off
	s_branch .LBB44_17
.LBB44_35:                              ;   in Loop: Header=BB44_18 Depth=2
                                        ; implicit-def: $vgpr11
	s_branch .LBB44_20
.LBB44_36:                              ;   in Loop: Header=BB44_11 Depth=1
	s_or_b64 exec, exec, s[58:59]
.LBB44_37:                              ;   in Loop: Header=BB44_11 Depth=1
	s_or_b64 exec, exec, s[56:57]
	s_andn2_b64 vcc, exec, s[34:35]
	s_cbranch_vccnz .LBB44_51
; %bb.38:                               ;   in Loop: Header=BB44_11 Depth=1
	s_load_dwordx2 s[20:21], s[52:53], 0x0
	s_waitcnt lgkmcnt(0)
	s_sub_i32 s68, s21, s31
	v_add_u32_e32 v10, s20, v19
	v_cmp_gt_i32_e32 vcc, s68, v10
	s_and_saveexec_b64 s[56:57], vcc
	s_cbranch_execz .LBB44_50
; %bb.39:                               ;   in Loop: Header=BB44_11 Depth=1
	s_mov_b64 s[58:59], 0
                                        ; implicit-def: $sgpr60_sgpr61
                                        ; implicit-def: $sgpr62_sgpr63
	s_branch .LBB44_41
.LBB44_40:                              ;   in Loop: Header=BB44_41 Depth=2
	s_or_b64 exec, exec, s[64:65]
	s_and_b64 s[20:21], exec, s[66:67]
	s_or_b64 s[58:59], s[20:21], s[58:59]
	s_andn2_b64 s[20:21], s[60:61], exec
	s_and_b64 s[60:61], s[62:63], exec
	s_or_b64 s[60:61], s[20:21], s[60:61]
	s_andn2_b64 exec, exec, s[58:59]
	s_cbranch_execz .LBB44_47
.LBB44_41:                              ;   Parent Loop BB44_11 Depth=1
                                        ; =>  This Inner Loop Header: Depth=2
	v_ashrrev_i32_e32 v11, 31, v10
	v_lshlrev_b64 v[12:13], 2, v[10:11]
	v_mov_b32_e32 v14, s23
	v_add_co_u32_e32 v12, vcc, s22, v12
	v_addc_co_u32_e32 v13, vcc, v14, v13, vcc
	global_load_dword v12, v[12:13], off
                                        ; implicit-def: $sgpr64_sgpr65
	s_waitcnt vmcnt(0)
	v_subrev_u32_e32 v12, s31, v12
	v_cmp_gt_i32_e32 vcc, s76, v12
	v_cmp_ge_i32_e64 s[20:21], v12, v25
	s_or_b64 s[66:67], vcc, s[20:21]
	s_mov_b64 s[20:21], 0
	s_and_saveexec_b64 s[70:71], s[66:67]
	s_xor_b64 s[66:67], exec, s[70:71]
; %bb.42:                               ;   in Loop: Header=BB44_41 Depth=2
	v_cmp_lt_i32_e32 vcc, v12, v25
	s_mov_b64 s[64:65], -1
	s_and_b64 s[20:21], vcc, exec
; %bb.43:                               ;   in Loop: Header=BB44_41 Depth=2
	s_andn2_saveexec_b64 s[66:67], s[66:67]
	s_cbranch_execz .LBB44_45
; %bb.44:                               ;   in Loop: Header=BB44_41 Depth=2
	v_lshlrev_b64 v[14:15], 3, v[10:11]
	v_mov_b32_e32 v11, s25
	v_add_co_u32_e32 v14, vcc, s24, v14
	v_addc_co_u32_e32 v15, vcc, v11, v15, vcc
	global_load_dwordx2 v[14:15], v[14:15], off
	v_subrev_u32_e32 v11, s76, v12
	ds_write_b8 v11, v24 offset:16384
	v_lshlrev_b32_e32 v11, 3, v11
	s_or_b64 s[20:21], s[20:21], exec
	s_waitcnt vmcnt(0)
	v_mul_f64 v[14:15], v[4:5], v[14:15]
	ds_add_f64 v11, v[14:15]
.LBB44_45:                              ;   in Loop: Header=BB44_41 Depth=2
	s_or_b64 exec, exec, s[66:67]
	s_andn2_b64 s[62:63], s[62:63], exec
	s_and_b64 s[64:65], s[64:65], exec
	s_mov_b64 s[66:67], -1
	s_or_b64 s[62:63], s[62:63], s[64:65]
	s_and_saveexec_b64 s[64:65], s[20:21]
	s_cbranch_execz .LBB44_40
; %bb.46:                               ;   in Loop: Header=BB44_41 Depth=2
	v_add_u32_e32 v10, 0x200, v10
	v_cmp_le_i32_e32 vcc, s68, v10
	s_andn2_b64 s[62:63], s[62:63], exec
	s_orn2_b64 s[66:67], vcc, exec
	s_branch .LBB44_40
.LBB44_47:                              ;   in Loop: Header=BB44_11 Depth=1
	s_or_b64 exec, exec, s[58:59]
	s_and_saveexec_b64 s[20:21], s[60:61]
	s_xor_b64 s[20:21], exec, s[20:21]
; %bb.48:                               ;   in Loop: Header=BB44_11 Depth=1
	v_min_i32_e32 v26, v12, v26
; %bb.49:                               ;   in Loop: Header=BB44_11 Depth=1
	s_or_b64 exec, exec, s[20:21]
.LBB44_50:                              ;   in Loop: Header=BB44_11 Depth=1
	s_or_b64 exec, exec, s[56:57]
.LBB44_51:                              ;   in Loop: Header=BB44_11 Depth=1
	v_mov_b32_dpp v10, v26 row_shr:1 row_mask:0xf bank_mask:0xf
	v_min_i32_e32 v10, v10, v26
	s_nop 1
	v_mov_b32_dpp v11, v10 row_shr:2 row_mask:0xf bank_mask:0xf
	v_min_i32_e32 v10, v11, v10
	s_nop 1
	;; [unrolled: 3-line block ×3, first 2 shown]
	v_mov_b32_dpp v11, v10 row_shr:8 row_mask:0xf bank_mask:0xc
	s_and_saveexec_b64 s[20:21], s[2:3]
	s_cbranch_execz .LBB44_56
; %bb.52:                               ;   in Loop: Header=BB44_11 Depth=1
	s_mov_b64 s[56:57], exec
	v_min_i32_e32 v10, v11, v10
	s_brev_b32 s58, -2
.LBB44_53:                              ;   Parent Loop BB44_11 Depth=1
                                        ; =>  This Inner Loop Header: Depth=2
	s_ff1_i32_b64 s59, s[56:57]
	v_readlane_b32 s62, v10, s59
	s_lshl_b64 s[60:61], 1, s59
	s_min_i32 s58, s58, s62
	s_andn2_b64 s[56:57], s[56:57], s[60:61]
	s_cmp_lg_u64 s[56:57], 0
	s_cbranch_scc1 .LBB44_53
; %bb.54:                               ;   in Loop: Header=BB44_11 Depth=1
	v_mbcnt_lo_u32_b32 v10, exec_lo, 0
	v_mbcnt_hi_u32_b32 v10, exec_hi, v10
	v_cmp_eq_u32_e32 vcc, 0, v10
	s_and_saveexec_b64 s[56:57], vcc
	s_xor_b64 s[56:57], exec, s[56:57]
	s_cbranch_execz .LBB44_56
; %bb.55:                               ;   in Loop: Header=BB44_11 Depth=1
	v_mov_b32_e32 v10, s58
	ds_min_i32 v6, v10 offset:18432
.LBB44_56:                              ;   in Loop: Header=BB44_11 Depth=1
	s_or_b64 exec, exec, s[20:21]
	s_add_i32 s58, s30, s76
	s_mov_b64 s[20:21], 0
	v_mov_b32_e32 v12, v22
	v_mov_b32_e32 v13, v0
	s_waitcnt lgkmcnt(0)
	s_barrier
	s_branch .LBB44_58
.LBB44_57:                              ;   in Loop: Header=BB44_58 Depth=2
	s_or_b64 exec, exec, s[56:57]
	s_waitcnt lgkmcnt(0)
	s_barrier
	ds_read_b32 v10, v6 offset:28
	v_add_u32_e32 v11, 0x200, v13
	v_cmp_lt_u32_e32 vcc, s75, v13
	v_add_u32_e32 v12, 0x1000, v12
	s_or_b64 s[20:21], vcc, s[20:21]
	s_waitcnt lgkmcnt(0)
	v_add_u32_e32 v23, v10, v23
	v_mov_b32_e32 v13, v11
	s_andn2_b64 exec, exec, s[20:21]
	s_cbranch_execz .LBB44_10
.LBB44_58:                              ;   Parent Loop BB44_11 Depth=1
                                        ; =>  This Inner Loop Header: Depth=2
	ds_read_u8 v25, v13 offset:16384
	ds_read_b64 v[10:11], v12
	s_waitcnt lgkmcnt(0)
	s_barrier
	v_cmp_ne_u16_e32 vcc, 0, v25
	s_bcnt1_i32_b64 s56, vcc
	v_mov_b32_e32 v14, s56
	ds_write_b32 v20, v14
	s_waitcnt lgkmcnt(0)
	s_barrier
	ds_read_b128 v[14:17], v6
	v_and_b32_e32 v27, vcc_lo, v8
	v_and_b32_e32 v26, vcc_hi, v9
	v_bcnt_u32_b32 v27, v27, 0
	v_bcnt_u32_b32 v29, v26, v27
	ds_read_b96 v[26:28], v6 offset:16
	s_waitcnt lgkmcnt(0)
	v_cndmask_b32_e64 v14, v14, 0, s[6:7]
	v_add_u32_e32 v14, v14, v29
	v_cndmask_b32_e64 v15, v15, 0, s[8:9]
	v_cndmask_b32_e64 v16, v16, 0, s[10:11]
	v_add3_u32 v14, v14, v15, v16
	v_cndmask_b32_e64 v15, v17, 0, s[12:13]
	v_cndmask_b32_e64 v16, v26, 0, s[14:15]
	v_add3_u32 v14, v14, v15, v16
	;; [unrolled: 3-line block ×3, first 2 shown]
	v_and_b32_e32 v15, 1, v25
	v_cmp_eq_u32_e32 vcc, 1, v15
	s_and_saveexec_b64 s[56:57], vcc
	s_cbranch_execz .LBB44_60
; %bb.59:                               ;   in Loop: Header=BB44_58 Depth=2
	v_add3_u32 v16, v23, v14, -1
	v_ashrrev_i32_e32 v17, 31, v16
	v_lshlrev_b64 v[26:27], 2, v[16:17]
	v_mov_b32_e32 v25, s45
	v_add_co_u32_e32 v26, vcc, s44, v26
	v_addc_co_u32_e32 v27, vcc, v25, v27, vcc
	v_lshlrev_b64 v[16:17], 3, v[16:17]
	v_add_u32_e32 v15, s58, v13
	v_mov_b32_e32 v25, s47
	v_add_co_u32_e32 v16, vcc, s46, v16
	v_addc_co_u32_e32 v17, vcc, v25, v17, vcc
	global_store_dword v[26:27], v15, off
	global_store_dwordx2 v[16:17], v[10:11], off
.LBB44_60:                              ;   in Loop: Header=BB44_58 Depth=2
	s_or_b64 exec, exec, s[56:57]
	s_and_saveexec_b64 s[56:57], s[4:5]
	s_cbranch_execz .LBB44_57
; %bb.61:                               ;   in Loop: Header=BB44_58 Depth=2
	ds_write_b32 v6, v14 offset:28
	s_branch .LBB44_57
.LBB44_62:
	s_endpgm
	.section	.rodata,"a",@progbits
	.p2align	6, 0x0
	.amdhsa_kernel _ZN9rocsparseL36csrgemm_fill_block_per_row_multipassILj512ELj16ELj2048ELj64EiidEEvT4_PKS1_S3_NS_24const_host_device_scalarIT5_EEPKT3_S3_PKS5_S9_S3_SB_S6_S9_S3_SB_S9_PS1_PS5_PS7_21rocsparse_index_base_SF_SF_SF_bbb
		.amdhsa_group_segment_fixed_size 18440
		.amdhsa_private_segment_fixed_size 0
		.amdhsa_kernarg_size 164
		.amdhsa_user_sgpr_count 6
		.amdhsa_user_sgpr_private_segment_buffer 1
		.amdhsa_user_sgpr_dispatch_ptr 0
		.amdhsa_user_sgpr_queue_ptr 0
		.amdhsa_user_sgpr_kernarg_segment_ptr 1
		.amdhsa_user_sgpr_dispatch_id 0
		.amdhsa_user_sgpr_flat_scratch_init 0
		.amdhsa_user_sgpr_kernarg_preload_length 0
		.amdhsa_user_sgpr_kernarg_preload_offset 0
		.amdhsa_user_sgpr_private_segment_size 0
		.amdhsa_uses_dynamic_stack 0
		.amdhsa_system_sgpr_private_segment_wavefront_offset 0
		.amdhsa_system_sgpr_workgroup_id_x 1
		.amdhsa_system_sgpr_workgroup_id_y 0
		.amdhsa_system_sgpr_workgroup_id_z 0
		.amdhsa_system_sgpr_workgroup_info 0
		.amdhsa_system_vgpr_workitem_id 0
		.amdhsa_next_free_vgpr 32
		.amdhsa_next_free_sgpr 80
		.amdhsa_accum_offset 32
		.amdhsa_reserve_vcc 1
		.amdhsa_reserve_flat_scratch 0
		.amdhsa_float_round_mode_32 0
		.amdhsa_float_round_mode_16_64 0
		.amdhsa_float_denorm_mode_32 3
		.amdhsa_float_denorm_mode_16_64 3
		.amdhsa_dx10_clamp 1
		.amdhsa_ieee_mode 1
		.amdhsa_fp16_overflow 0
		.amdhsa_tg_split 0
		.amdhsa_exception_fp_ieee_invalid_op 0
		.amdhsa_exception_fp_denorm_src 0
		.amdhsa_exception_fp_ieee_div_zero 0
		.amdhsa_exception_fp_ieee_overflow 0
		.amdhsa_exception_fp_ieee_underflow 0
		.amdhsa_exception_fp_ieee_inexact 0
		.amdhsa_exception_int_div_zero 0
	.end_amdhsa_kernel
	.section	.text._ZN9rocsparseL36csrgemm_fill_block_per_row_multipassILj512ELj16ELj2048ELj64EiidEEvT4_PKS1_S3_NS_24const_host_device_scalarIT5_EEPKT3_S3_PKS5_S9_S3_SB_S6_S9_S3_SB_S9_PS1_PS5_PS7_21rocsparse_index_base_SF_SF_SF_bbb,"axG",@progbits,_ZN9rocsparseL36csrgemm_fill_block_per_row_multipassILj512ELj16ELj2048ELj64EiidEEvT4_PKS1_S3_NS_24const_host_device_scalarIT5_EEPKT3_S3_PKS5_S9_S3_SB_S6_S9_S3_SB_S9_PS1_PS5_PS7_21rocsparse_index_base_SF_SF_SF_bbb,comdat
.Lfunc_end44:
	.size	_ZN9rocsparseL36csrgemm_fill_block_per_row_multipassILj512ELj16ELj2048ELj64EiidEEvT4_PKS1_S3_NS_24const_host_device_scalarIT5_EEPKT3_S3_PKS5_S9_S3_SB_S6_S9_S3_SB_S9_PS1_PS5_PS7_21rocsparse_index_base_SF_SF_SF_bbb, .Lfunc_end44-_ZN9rocsparseL36csrgemm_fill_block_per_row_multipassILj512ELj16ELj2048ELj64EiidEEvT4_PKS1_S3_NS_24const_host_device_scalarIT5_EEPKT3_S3_PKS5_S9_S3_SB_S6_S9_S3_SB_S9_PS1_PS5_PS7_21rocsparse_index_base_SF_SF_SF_bbb
                                        ; -- End function
	.section	.AMDGPU.csdata,"",@progbits
; Kernel info:
; codeLenInByte = 2340
; NumSgprs: 84
; NumVgprs: 32
; NumAgprs: 0
; TotalNumVgprs: 32
; ScratchSize: 0
; MemoryBound: 0
; FloatMode: 240
; IeeeMode: 1
; LDSByteSize: 18440 bytes/workgroup (compile time only)
; SGPRBlocks: 10
; VGPRBlocks: 3
; NumSGPRsForWavesPerEU: 84
; NumVGPRsForWavesPerEU: 32
; AccumOffset: 32
; Occupancy: 6
; WaveLimiterHint : 1
; COMPUTE_PGM_RSRC2:SCRATCH_EN: 0
; COMPUTE_PGM_RSRC2:USER_SGPR: 6
; COMPUTE_PGM_RSRC2:TRAP_HANDLER: 0
; COMPUTE_PGM_RSRC2:TGID_X_EN: 1
; COMPUTE_PGM_RSRC2:TGID_Y_EN: 0
; COMPUTE_PGM_RSRC2:TGID_Z_EN: 0
; COMPUTE_PGM_RSRC2:TIDIG_COMP_CNT: 0
; COMPUTE_PGM_RSRC3_GFX90A:ACCUM_OFFSET: 7
; COMPUTE_PGM_RSRC3_GFX90A:TG_SPLIT: 0
	.section	.text._ZN9rocsparseL26csrgemm_group_reduce_part2ILj256ELj11E21rocsparse_complex_numIfEiiEEvT3_PKT2_PS3_Pij,"axG",@progbits,_ZN9rocsparseL26csrgemm_group_reduce_part2ILj256ELj11E21rocsparse_complex_numIfEiiEEvT3_PKT2_PS3_Pij,comdat
	.globl	_ZN9rocsparseL26csrgemm_group_reduce_part2ILj256ELj11E21rocsparse_complex_numIfEiiEEvT3_PKT2_PS3_Pij ; -- Begin function _ZN9rocsparseL26csrgemm_group_reduce_part2ILj256ELj11E21rocsparse_complex_numIfEiiEEvT3_PKT2_PS3_Pij
	.p2align	8
	.type	_ZN9rocsparseL26csrgemm_group_reduce_part2ILj256ELj11E21rocsparse_complex_numIfEiiEEvT3_PKT2_PS3_Pij,@function
_ZN9rocsparseL26csrgemm_group_reduce_part2ILj256ELj11E21rocsparse_complex_numIfEiiEEvT3_PKT2_PS3_Pij: ; @_ZN9rocsparseL26csrgemm_group_reduce_part2ILj256ELj11E21rocsparse_complex_numIfEiiEEvT3_PKT2_PS3_Pij
; %bb.0:
	s_load_dword s7, s[4:5], 0x0
	s_load_dwordx2 s[0:1], s[4:5], 0x10
	v_mul_u32_u24_e32 v1, 11, v0
	v_lshl_or_b32 v2, s6, 8, v0
	v_lshlrev_b32_e32 v1, 2, v1
	v_mov_b32_e32 v6, 0
	s_waitcnt lgkmcnt(0)
	v_cmp_gt_i32_e32 vcc, s7, v2
	ds_write2_b32 v1, v6, v6 offset1:1
	ds_write2_b32 v1, v6, v6 offset0:2 offset1:3
	ds_write2_b32 v1, v6, v6 offset0:4 offset1:5
	;; [unrolled: 1-line block ×4, first 2 shown]
	ds_write_b32 v1, v6 offset:40
	s_waitcnt lgkmcnt(0)
	s_and_saveexec_b64 s[2:3], vcc
	s_cbranch_execz .LBB45_43
; %bb.1:
	s_load_dword s18, s[4:5], 0x20
	s_load_dwordx2 s[8:9], s[4:5], 0x8
	s_load_dwordx2 s[10:11], s[4:5], 0x18
	s_load_dword s20, s[4:5], 0x28
	s_mov_b64 s[4:5], 0
	s_waitcnt lgkmcnt(0)
	s_cmpk_lt_u32 s18, 0xc084
	s_cselect_b64 s[12:13], -1, 0
	s_cmp_lt_u32 s18, 0x18084
	s_cselect_b64 s[14:15], -1, 0
	s_cmp_lt_u32 s18, 0x30084
	;; [unrolled: 2-line block ×3, first 2 shown]
	s_cselect_b64 s[18:19], -1, 0
	s_lshl_b32 s33, s20, 8
	v_mov_b32_e32 v7, s9
	s_movk_i32 s9, 0x100
	s_movk_i32 s42, 0x200
	;; [unrolled: 1-line block ×5, first 2 shown]
	s_xor_b64 s[12:13], s[12:13], -1
	v_mov_b32_e32 v8, 6
	s_movk_i32 s46, 0x2001
	s_xor_b64 s[14:15], s[14:15], -1
	v_mov_b32_e32 v9, 7
	s_movk_i32 s47, 0x4001
	s_xor_b64 s[16:17], s[16:17], -1
	v_mov_b32_e32 v10, 8
	s_mov_b32 s48, 0x8001
	s_xor_b64 s[18:19], s[18:19], -1
	v_mov_b32_e32 v11, 9
	v_mov_b32_e32 v12, 10
	;; [unrolled: 1-line block ×7, first 2 shown]
	s_branch .LBB45_3
.LBB45_2:                               ;   in Loop: Header=BB45_3 Depth=1
	s_or_b64 exec, exec, s[20:21]
	v_add_u32_e32 v2, s33, v2
	v_cmp_le_i32_e32 vcc, s7, v2
	s_or_b64 s[4:5], vcc, s[4:5]
	s_andn2_b64 exec, exec, s[4:5]
	s_cbranch_execz .LBB45_43
.LBB45_3:                               ; =>This Inner Loop Header: Depth=1
	v_ashrrev_i32_e32 v3, 31, v2
	v_lshlrev_b64 v[4:5], 2, v[2:3]
	v_add_co_u32_e32 v18, vcc, s8, v4
	v_addc_co_u32_e32 v19, vcc, v7, v5, vcc
	global_load_dwordx2 v[18:19], v[18:19], off
	s_waitcnt vmcnt(0)
	v_sub_u32_e32 v3, v19, v18
	v_cmp_lt_i32_e32 vcc, 16, v3
	s_and_saveexec_b64 s[20:21], vcc
	s_xor_b64 s[20:21], exec, s[20:21]
	s_cbranch_execz .LBB45_41
; %bb.4:                                ;   in Loop: Header=BB45_3 Depth=1
	v_cmp_lt_u32_e32 vcc, 32, v3
	s_and_saveexec_b64 s[22:23], vcc
	s_xor_b64 s[22:23], exec, s[22:23]
	s_cbranch_execz .LBB45_38
; %bb.5:                                ;   in Loop: Header=BB45_3 Depth=1
	v_cmp_lt_u32_e32 vcc, s9, v3
	;; [unrolled: 5-line block ×5, first 2 shown]
	s_and_saveexec_b64 s[30:31], vcc
	s_xor_b64 s[30:31], exec, s[30:31]
	s_cbranch_execz .LBB45_26
; %bb.9:                                ;   in Loop: Header=BB45_3 Depth=1
	v_cmp_gt_u32_e32 vcc, s45, v3
	s_and_b64 s[34:35], s[12:13], vcc
	s_and_saveexec_b64 s[36:37], s[34:35]
	s_xor_b64 s[34:35], exec, s[36:37]
	s_cbranch_execz .LBB45_11
; %bb.10:                               ;   in Loop: Header=BB45_3 Depth=1
	ds_read_b32 v3, v1 offset:24
	v_mov_b32_e32 v18, s11
	v_add_co_u32_e32 v4, vcc, s10, v4
	v_addc_co_u32_e32 v5, vcc, v18, v5, vcc
	s_waitcnt lgkmcnt(0)
	v_add_u32_e32 v3, 1, v3
	ds_write_b32 v1, v3 offset:24
	global_store_dword v[4:5], v8, off
                                        ; implicit-def: $vgpr3
                                        ; implicit-def: $vgpr4_vgpr5
.LBB45_11:                              ;   in Loop: Header=BB45_3 Depth=1
	s_andn2_saveexec_b64 s[34:35], s[34:35]
	s_cbranch_execz .LBB45_25
; %bb.12:                               ;   in Loop: Header=BB45_3 Depth=1
	v_cmp_gt_u32_e32 vcc, s46, v3
	s_and_b64 s[36:37], s[14:15], vcc
	s_and_saveexec_b64 s[38:39], s[36:37]
	s_xor_b64 s[36:37], exec, s[38:39]
	s_cbranch_execz .LBB45_14
; %bb.13:                               ;   in Loop: Header=BB45_3 Depth=1
	ds_read_b32 v3, v1 offset:28
	v_mov_b32_e32 v18, s11
	v_add_co_u32_e32 v4, vcc, s10, v4
	v_addc_co_u32_e32 v5, vcc, v18, v5, vcc
	s_waitcnt lgkmcnt(0)
	v_add_u32_e32 v3, 1, v3
	ds_write_b32 v1, v3 offset:28
	global_store_dword v[4:5], v9, off
                                        ; implicit-def: $vgpr3
                                        ; implicit-def: $vgpr4_vgpr5
.LBB45_14:                              ;   in Loop: Header=BB45_3 Depth=1
	s_andn2_saveexec_b64 s[36:37], s[36:37]
	s_cbranch_execz .LBB45_24
; %bb.15:                               ;   in Loop: Header=BB45_3 Depth=1
	v_cmp_gt_u32_e32 vcc, s47, v3
	s_and_b64 s[38:39], s[16:17], vcc
	s_and_saveexec_b64 s[40:41], s[38:39]
	s_xor_b64 s[38:39], exec, s[40:41]
	s_cbranch_execz .LBB45_17
; %bb.16:                               ;   in Loop: Header=BB45_3 Depth=1
	ds_read_b32 v3, v1 offset:32
	v_mov_b32_e32 v18, s11
	v_add_co_u32_e32 v4, vcc, s10, v4
	v_addc_co_u32_e32 v5, vcc, v18, v5, vcc
	s_waitcnt lgkmcnt(0)
	v_add_u32_e32 v3, 1, v3
	ds_write_b32 v1, v3 offset:32
	global_store_dword v[4:5], v10, off
                                        ; implicit-def: $vgpr3
                                        ; implicit-def: $vgpr4_vgpr5
.LBB45_17:                              ;   in Loop: Header=BB45_3 Depth=1
	s_andn2_saveexec_b64 s[38:39], s[38:39]
	s_cbranch_execz .LBB45_23
; %bb.18:                               ;   in Loop: Header=BB45_3 Depth=1
	v_cmp_gt_u32_e32 vcc, s48, v3
	s_and_b64 s[40:41], s[18:19], vcc
	v_mov_b32_e32 v3, s11
	v_add_co_u32_e32 v4, vcc, s10, v4
	v_addc_co_u32_e32 v5, vcc, v3, v5, vcc
	s_and_saveexec_b64 s[50:51], s[40:41]
	s_xor_b64 s[40:41], exec, s[50:51]
	s_cbranch_execz .LBB45_20
; %bb.19:                               ;   in Loop: Header=BB45_3 Depth=1
	ds_read_b32 v3, v1 offset:36
	global_store_dword v[4:5], v11, off
                                        ; implicit-def: $vgpr4_vgpr5
	s_waitcnt lgkmcnt(0)
	v_add_u32_e32 v3, 1, v3
	ds_write_b32 v1, v3 offset:36
.LBB45_20:                              ;   in Loop: Header=BB45_3 Depth=1
	s_andn2_saveexec_b64 s[40:41], s[40:41]
	s_cbranch_execz .LBB45_22
; %bb.21:                               ;   in Loop: Header=BB45_3 Depth=1
	ds_read_b32 v3, v1 offset:40
	global_store_dword v[4:5], v12, off
	s_waitcnt lgkmcnt(0)
	v_add_u32_e32 v3, 1, v3
	ds_write_b32 v1, v3 offset:40
.LBB45_22:                              ;   in Loop: Header=BB45_3 Depth=1
	s_or_b64 exec, exec, s[40:41]
.LBB45_23:                              ;   in Loop: Header=BB45_3 Depth=1
	s_or_b64 exec, exec, s[38:39]
.LBB45_24:                              ;   in Loop: Header=BB45_3 Depth=1
	s_or_b64 exec, exec, s[36:37]
.LBB45_25:                              ;   in Loop: Header=BB45_3 Depth=1
	s_or_b64 exec, exec, s[34:35]
                                        ; implicit-def: $vgpr4_vgpr5
.LBB45_26:                              ;   in Loop: Header=BB45_3 Depth=1
	s_andn2_saveexec_b64 s[30:31], s[30:31]
	s_cbranch_execz .LBB45_28
; %bb.27:                               ;   in Loop: Header=BB45_3 Depth=1
	ds_read_b32 v3, v1 offset:20
	v_mov_b32_e32 v18, s11
	v_add_co_u32_e32 v4, vcc, s10, v4
	v_addc_co_u32_e32 v5, vcc, v18, v5, vcc
	s_waitcnt lgkmcnt(0)
	v_add_u32_e32 v3, 1, v3
	ds_write_b32 v1, v3 offset:20
	global_store_dword v[4:5], v13, off
.LBB45_28:                              ;   in Loop: Header=BB45_3 Depth=1
	s_or_b64 exec, exec, s[30:31]
                                        ; implicit-def: $vgpr4_vgpr5
.LBB45_29:                              ;   in Loop: Header=BB45_3 Depth=1
	s_andn2_saveexec_b64 s[28:29], s[28:29]
	s_cbranch_execz .LBB45_31
; %bb.30:                               ;   in Loop: Header=BB45_3 Depth=1
	ds_read_b32 v3, v1 offset:16
	v_mov_b32_e32 v18, s11
	v_add_co_u32_e32 v4, vcc, s10, v4
	v_addc_co_u32_e32 v5, vcc, v18, v5, vcc
	s_waitcnt lgkmcnt(0)
	v_add_u32_e32 v3, 1, v3
	ds_write_b32 v1, v3 offset:16
	global_store_dword v[4:5], v14, off
.LBB45_31:                              ;   in Loop: Header=BB45_3 Depth=1
	s_or_b64 exec, exec, s[28:29]
                                        ; implicit-def: $vgpr4_vgpr5
.LBB45_32:                              ;   in Loop: Header=BB45_3 Depth=1
	s_andn2_saveexec_b64 s[26:27], s[26:27]
	s_cbranch_execz .LBB45_34
; %bb.33:                               ;   in Loop: Header=BB45_3 Depth=1
	ds_read_b32 v3, v1 offset:12
	v_mov_b32_e32 v18, s11
	v_add_co_u32_e32 v4, vcc, s10, v4
	v_addc_co_u32_e32 v5, vcc, v18, v5, vcc
	s_waitcnt lgkmcnt(0)
	v_add_u32_e32 v3, 1, v3
	ds_write_b32 v1, v3 offset:12
	global_store_dword v[4:5], v15, off
.LBB45_34:                              ;   in Loop: Header=BB45_3 Depth=1
	s_or_b64 exec, exec, s[26:27]
                                        ; implicit-def: $vgpr4_vgpr5
.LBB45_35:                              ;   in Loop: Header=BB45_3 Depth=1
	s_andn2_saveexec_b64 s[24:25], s[24:25]
	s_cbranch_execz .LBB45_37
; %bb.36:                               ;   in Loop: Header=BB45_3 Depth=1
	ds_read_b32 v3, v1 offset:8
	v_mov_b32_e32 v18, s11
	v_add_co_u32_e32 v4, vcc, s10, v4
	v_addc_co_u32_e32 v5, vcc, v18, v5, vcc
	s_waitcnt lgkmcnt(0)
	v_add_u32_e32 v3, 1, v3
	ds_write_b32 v1, v3 offset:8
	global_store_dword v[4:5], v16, off
.LBB45_37:                              ;   in Loop: Header=BB45_3 Depth=1
	s_or_b64 exec, exec, s[24:25]
                                        ; implicit-def: $vgpr4_vgpr5
.LBB45_38:                              ;   in Loop: Header=BB45_3 Depth=1
	s_andn2_saveexec_b64 s[22:23], s[22:23]
	s_cbranch_execz .LBB45_40
; %bb.39:                               ;   in Loop: Header=BB45_3 Depth=1
	ds_read_b32 v3, v1 offset:4
	v_mov_b32_e32 v18, s11
	v_add_co_u32_e32 v4, vcc, s10, v4
	v_addc_co_u32_e32 v5, vcc, v18, v5, vcc
	s_waitcnt lgkmcnt(0)
	v_add_u32_e32 v3, 1, v3
	ds_write_b32 v1, v3 offset:4
	global_store_dword v[4:5], v17, off
.LBB45_40:                              ;   in Loop: Header=BB45_3 Depth=1
	s_or_b64 exec, exec, s[22:23]
                                        ; implicit-def: $vgpr4_vgpr5
.LBB45_41:                              ;   in Loop: Header=BB45_3 Depth=1
	s_andn2_saveexec_b64 s[20:21], s[20:21]
	s_cbranch_execz .LBB45_2
; %bb.42:                               ;   in Loop: Header=BB45_3 Depth=1
	ds_read_b32 v3, v1
	v_mov_b32_e32 v18, s11
	v_add_co_u32_e32 v4, vcc, s10, v4
	v_addc_co_u32_e32 v5, vcc, v18, v5, vcc
	s_waitcnt lgkmcnt(0)
	v_add_u32_e32 v3, 1, v3
	ds_write_b32 v1, v3
	global_store_dword v[4:5], v6, off
	s_branch .LBB45_2
.LBB45_43:
	s_or_b64 exec, exec, s[2:3]
	s_movk_i32 s2, 0x80
	v_cmp_gt_u32_e32 vcc, s2, v0
	s_waitcnt lgkmcnt(0)
	s_barrier
	s_barrier
	;; [unrolled: 1-line block ×3, first 2 shown]
	s_and_saveexec_b64 s[2:3], vcc
	s_cbranch_execz .LBB45_45
; %bb.44:
	v_add_u32_e32 v2, 0x1600, v1
	v_add_u32_e32 v4, 0x1608, v1
	v_add_u32_e32 v6, 0x1610, v1
	ds_read2_b32 v[2:3], v2 offset1:1
	ds_read2_b32 v[4:5], v4 offset1:1
	;; [unrolled: 1-line block ×4, first 2 shown]
	ds_read2_b32 v[10:11], v1 offset0:2 offset1:3
	ds_read2_b32 v[12:13], v1 offset0:4 offset1:5
	;; [unrolled: 1-line block ×4, first 2 shown]
	s_waitcnt lgkmcnt(4)
	v_add_u32_e32 v3, v9, v3
	v_add_u32_e32 v2, v8, v2
	ds_write2_b32 v1, v2, v3 offset1:1
	s_waitcnt lgkmcnt(4)
	v_add_u32_e32 v2, v11, v5
	v_add_u32_e32 v3, v10, v4
	ds_write2_b32 v1, v3, v2 offset0:2 offset1:3
	v_add_u32_e32 v2, 0x1618, v1
	ds_read2_b32 v[2:3], v2 offset1:1
	s_waitcnt lgkmcnt(5)
	v_add_u32_e32 v4, v13, v7
	v_add_u32_e32 v5, v12, v6
	ds_write2_b32 v1, v5, v4 offset0:4 offset1:5
	v_add_u32_e32 v4, 0x1620, v1
	ds_read2_b32 v[4:5], v4 offset1:1
	s_waitcnt lgkmcnt(2)
	v_add_u32_e32 v7, v14, v2
	v_add_u32_e32 v2, 40, v1
	;; [unrolled: 1-line block ×3, first 2 shown]
	ds_read2st64_b32 v[2:3], v2 offset1:22
	s_waitcnt lgkmcnt(1)
	v_add_u32_e32 v5, v17, v5
	v_add_u32_e32 v4, v16, v4
	ds_write2_b32 v1, v7, v6 offset0:6 offset1:7
	ds_write2_b32 v1, v4, v5 offset0:8 offset1:9
	s_waitcnt lgkmcnt(2)
	v_add_u32_e32 v2, v2, v3
	ds_write_b32 v1, v2 offset:40
.LBB45_45:
	s_or_b64 exec, exec, s[2:3]
	v_cmp_gt_u32_e32 vcc, 64, v0
	s_waitcnt lgkmcnt(0)
	s_barrier
	s_and_saveexec_b64 s[2:3], vcc
	s_cbranch_execz .LBB45_47
; %bb.46:
	v_add_u32_e32 v2, 0xb00, v1
	v_add_u32_e32 v4, 0xb08, v1
	v_add_u32_e32 v6, 0xb10, v1
	ds_read2_b32 v[2:3], v2 offset1:1
	ds_read2_b32 v[4:5], v4 offset1:1
	ds_read2_b32 v[6:7], v6 offset1:1
	ds_read2_b32 v[8:9], v1 offset1:1
	ds_read2_b32 v[10:11], v1 offset0:2 offset1:3
	ds_read2_b32 v[12:13], v1 offset0:4 offset1:5
	;; [unrolled: 1-line block ×4, first 2 shown]
	s_waitcnt lgkmcnt(4)
	v_add_u32_e32 v3, v9, v3
	v_add_u32_e32 v2, v8, v2
	ds_write2_b32 v1, v2, v3 offset1:1
	s_waitcnt lgkmcnt(4)
	v_add_u32_e32 v2, v11, v5
	v_add_u32_e32 v3, v10, v4
	ds_write2_b32 v1, v3, v2 offset0:2 offset1:3
	v_add_u32_e32 v2, 0xb18, v1
	ds_read2_b32 v[2:3], v2 offset1:1
	s_waitcnt lgkmcnt(5)
	v_add_u32_e32 v4, v13, v7
	v_add_u32_e32 v5, v12, v6
	ds_write2_b32 v1, v5, v4 offset0:4 offset1:5
	v_add_u32_e32 v4, 0xb20, v1
	ds_read2_b32 v[4:5], v4 offset1:1
	s_waitcnt lgkmcnt(2)
	v_add_u32_e32 v7, v14, v2
	v_add_u32_e32 v2, 40, v1
	;; [unrolled: 1-line block ×3, first 2 shown]
	ds_read2st64_b32 v[2:3], v2 offset1:11
	s_waitcnt lgkmcnt(1)
	v_add_u32_e32 v5, v17, v5
	v_add_u32_e32 v4, v16, v4
	ds_write2_b32 v1, v7, v6 offset0:6 offset1:7
	ds_write2_b32 v1, v4, v5 offset0:8 offset1:9
	s_waitcnt lgkmcnt(2)
	v_add_u32_e32 v2, v2, v3
	ds_write_b32 v1, v2 offset:40
.LBB45_47:
	s_or_b64 exec, exec, s[2:3]
	v_cmp_gt_u32_e32 vcc, 32, v0
	s_waitcnt lgkmcnt(0)
	s_barrier
	s_and_saveexec_b64 s[2:3], vcc
	s_cbranch_execz .LBB45_49
; %bb.48:
	v_add_u32_e32 v2, 0x580, v1
	ds_read2_b32 v[2:3], v2 offset1:1
	ds_read2_b32 v[4:5], v1 offset1:1
	ds_read2_b32 v[6:7], v1 offset0:2 offset1:3
	ds_read2_b32 v[8:9], v1 offset0:4 offset1:5
	;; [unrolled: 1-line block ×3, first 2 shown]
	ds_read_b32 v16, v1 offset:1448
	s_waitcnt lgkmcnt(4)
	v_add_u32_e32 v3, v5, v3
	v_add_u32_e32 v2, v4, v2
	ds_write2_b32 v1, v2, v3 offset1:1
	v_add_u32_e32 v2, 0x588, v1
	ds_read2_b32 v[2:3], v2 offset1:1
	v_add_u32_e32 v4, 0x590, v1
	v_add_u32_e32 v12, 0x598, v1
	;; [unrolled: 1-line block ×3, first 2 shown]
	ds_read2_b32 v[4:5], v4 offset1:1
	ds_read2_b32 v[12:13], v12 offset1:1
	;; [unrolled: 1-line block ×3, first 2 shown]
	s_waitcnt lgkmcnt(3)
	v_add_u32_e32 v3, v7, v3
	v_add_u32_e32 v2, v6, v2
	ds_write2_b32 v1, v2, v3 offset0:2 offset1:3
	s_waitcnt lgkmcnt(3)
	v_add_u32_e32 v2, v9, v5
	v_add_u32_e32 v3, v8, v4
	ds_write2_b32 v1, v3, v2 offset0:4 offset1:5
	ds_read2_b32 v[2:3], v1 offset0:8 offset1:9
	ds_read_b32 v6, v1 offset:40
	s_waitcnt lgkmcnt(5)
	v_add_u32_e32 v4, v11, v13
	v_add_u32_e32 v5, v10, v12
	ds_write2_b32 v1, v5, v4 offset0:6 offset1:7
	s_waitcnt lgkmcnt(2)
	v_add_u32_e32 v3, v3, v15
	v_add_u32_e32 v2, v2, v14
	ds_write2_b32 v1, v2, v3 offset0:8 offset1:9
	s_waitcnt lgkmcnt(2)
	v_add_u32_e32 v2, v6, v16
	ds_write_b32 v1, v2 offset:40
.LBB45_49:
	s_or_b64 exec, exec, s[2:3]
	v_cmp_gt_u32_e32 vcc, 16, v0
	s_waitcnt lgkmcnt(0)
	s_barrier
	s_and_saveexec_b64 s[2:3], vcc
	s_cbranch_execz .LBB45_51
; %bb.50:
	ds_read2_b32 v[2:3], v1 offset0:176 offset1:177
	ds_read2_b32 v[4:5], v1 offset0:178 offset1:179
	ds_read2_b32 v[6:7], v1 offset0:180 offset1:181
	ds_read2_b32 v[8:9], v1 offset1:1
	ds_read2_b32 v[10:11], v1 offset0:2 offset1:3
	ds_read2_b32 v[12:13], v1 offset0:4 offset1:5
	ds_read2_b32 v[14:15], v1 offset0:6 offset1:7
	ds_read2_b32 v[16:17], v1 offset0:8 offset1:9
	s_waitcnt lgkmcnt(4)
	v_add_u32_e32 v3, v9, v3
	v_add_u32_e32 v2, v8, v2
	ds_write2_b32 v1, v2, v3 offset1:1
	s_waitcnt lgkmcnt(4)
	v_add_u32_e32 v2, v11, v5
	v_add_u32_e32 v3, v10, v4
	ds_write2_b32 v1, v3, v2 offset0:2 offset1:3
	ds_read2_b32 v[2:3], v1 offset0:182 offset1:183
	s_waitcnt lgkmcnt(5)
	v_add_u32_e32 v4, v13, v7
	v_add_u32_e32 v5, v12, v6
	ds_write2_b32 v1, v5, v4 offset0:4 offset1:5
	ds_read2_b32 v[4:5], v1 offset0:184 offset1:185
	s_waitcnt lgkmcnt(2)
	v_add_u32_e32 v6, v15, v3
	v_add_u32_e32 v7, v14, v2
	ds_read2_b32 v[2:3], v1 offset0:10 offset1:186
	ds_write2_b32 v1, v7, v6 offset0:6 offset1:7
	s_waitcnt lgkmcnt(2)
	v_add_u32_e32 v5, v17, v5
	v_add_u32_e32 v4, v16, v4
	ds_write2_b32 v1, v4, v5 offset0:8 offset1:9
	s_waitcnt lgkmcnt(2)
	v_add_u32_e32 v2, v2, v3
	ds_write_b32 v1, v2 offset:40
.LBB45_51:
	s_or_b64 exec, exec, s[2:3]
	v_cmp_gt_u32_e32 vcc, 8, v0
	s_waitcnt lgkmcnt(0)
	s_barrier
	s_and_saveexec_b64 s[2:3], vcc
	s_cbranch_execz .LBB45_53
; %bb.52:
	ds_read2_b32 v[2:3], v1 offset0:88 offset1:89
	ds_read2_b32 v[4:5], v1 offset0:90 offset1:91
	ds_read2_b32 v[6:7], v1 offset0:92 offset1:93
	ds_read2_b32 v[8:9], v1 offset1:1
	ds_read2_b32 v[10:11], v1 offset0:2 offset1:3
	ds_read2_b32 v[12:13], v1 offset0:4 offset1:5
	ds_read2_b32 v[14:15], v1 offset0:6 offset1:7
	ds_read2_b32 v[16:17], v1 offset0:8 offset1:9
	s_waitcnt lgkmcnt(4)
	v_add_u32_e32 v3, v9, v3
	v_add_u32_e32 v2, v8, v2
	ds_write2_b32 v1, v2, v3 offset1:1
	s_waitcnt lgkmcnt(4)
	v_add_u32_e32 v2, v11, v5
	v_add_u32_e32 v3, v10, v4
	ds_write2_b32 v1, v3, v2 offset0:2 offset1:3
	ds_read2_b32 v[2:3], v1 offset0:94 offset1:95
	s_waitcnt lgkmcnt(5)
	v_add_u32_e32 v4, v13, v7
	v_add_u32_e32 v5, v12, v6
	ds_write2_b32 v1, v5, v4 offset0:4 offset1:5
	ds_read2_b32 v[4:5], v1 offset0:96 offset1:97
	s_waitcnt lgkmcnt(2)
	v_add_u32_e32 v6, v15, v3
	v_add_u32_e32 v7, v14, v2
	ds_read2_b32 v[2:3], v1 offset0:10 offset1:98
	ds_write2_b32 v1, v7, v6 offset0:6 offset1:7
	s_waitcnt lgkmcnt(2)
	v_add_u32_e32 v5, v17, v5
	v_add_u32_e32 v4, v16, v4
	ds_write2_b32 v1, v4, v5 offset0:8 offset1:9
	s_waitcnt lgkmcnt(2)
	v_add_u32_e32 v2, v2, v3
	ds_write_b32 v1, v2 offset:40
.LBB45_53:
	s_or_b64 exec, exec, s[2:3]
	v_cmp_gt_u32_e32 vcc, 4, v0
	s_waitcnt lgkmcnt(0)
	s_barrier
	s_and_saveexec_b64 s[2:3], vcc
	s_cbranch_execz .LBB45_55
; %bb.54:
	ds_read2_b32 v[2:3], v1 offset0:44 offset1:45
	ds_read2_b32 v[4:5], v1 offset0:46 offset1:47
	ds_read2_b32 v[6:7], v1 offset0:48 offset1:49
	ds_read2_b32 v[8:9], v1 offset1:1
	ds_read2_b32 v[10:11], v1 offset0:2 offset1:3
	ds_read2_b32 v[12:13], v1 offset0:4 offset1:5
	ds_read2_b32 v[14:15], v1 offset0:6 offset1:7
	ds_read2_b32 v[16:17], v1 offset0:8 offset1:9
	s_waitcnt lgkmcnt(4)
	v_add_u32_e32 v3, v9, v3
	v_add_u32_e32 v2, v8, v2
	ds_write2_b32 v1, v2, v3 offset1:1
	s_waitcnt lgkmcnt(4)
	v_add_u32_e32 v2, v11, v5
	v_add_u32_e32 v3, v10, v4
	ds_write2_b32 v1, v3, v2 offset0:2 offset1:3
	ds_read2_b32 v[2:3], v1 offset0:50 offset1:51
	s_waitcnt lgkmcnt(5)
	v_add_u32_e32 v4, v13, v7
	v_add_u32_e32 v5, v12, v6
	ds_write2_b32 v1, v5, v4 offset0:4 offset1:5
	ds_read2_b32 v[4:5], v1 offset0:52 offset1:53
	s_waitcnt lgkmcnt(2)
	v_add_u32_e32 v6, v15, v3
	v_add_u32_e32 v7, v14, v2
	ds_read2_b32 v[2:3], v1 offset0:10 offset1:54
	ds_write2_b32 v1, v7, v6 offset0:6 offset1:7
	s_waitcnt lgkmcnt(2)
	v_add_u32_e32 v5, v17, v5
	v_add_u32_e32 v4, v16, v4
	ds_write2_b32 v1, v4, v5 offset0:8 offset1:9
	s_waitcnt lgkmcnt(2)
	v_add_u32_e32 v2, v2, v3
	ds_write_b32 v1, v2 offset:40
.LBB45_55:
	s_or_b64 exec, exec, s[2:3]
	v_cmp_gt_u32_e32 vcc, 2, v0
	s_waitcnt lgkmcnt(0)
	s_barrier
	s_and_saveexec_b64 s[2:3], vcc
	s_cbranch_execz .LBB45_57
; %bb.56:
	ds_read2_b32 v[2:3], v1 offset0:22 offset1:23
	ds_read2_b32 v[4:5], v1 offset0:24 offset1:25
	ds_read2_b32 v[6:7], v1 offset0:26 offset1:27
	ds_read2_b32 v[8:9], v1 offset1:1
	ds_read2_b32 v[10:11], v1 offset0:2 offset1:3
	ds_read2_b32 v[12:13], v1 offset0:4 offset1:5
	ds_read2_b32 v[14:15], v1 offset0:6 offset1:7
	ds_read2_b32 v[16:17], v1 offset0:8 offset1:9
	s_waitcnt lgkmcnt(4)
	v_add_u32_e32 v3, v9, v3
	v_add_u32_e32 v2, v8, v2
	ds_write2_b32 v1, v2, v3 offset1:1
	s_waitcnt lgkmcnt(4)
	v_add_u32_e32 v2, v11, v5
	v_add_u32_e32 v3, v10, v4
	ds_write2_b32 v1, v3, v2 offset0:2 offset1:3
	ds_read2_b32 v[2:3], v1 offset0:28 offset1:29
	s_waitcnt lgkmcnt(5)
	v_add_u32_e32 v4, v13, v7
	v_add_u32_e32 v5, v12, v6
	ds_write2_b32 v1, v5, v4 offset0:4 offset1:5
	ds_read2_b32 v[4:5], v1 offset0:30 offset1:31
	s_waitcnt lgkmcnt(2)
	v_add_u32_e32 v6, v15, v3
	v_add_u32_e32 v7, v14, v2
	ds_read2_b32 v[2:3], v1 offset0:10 offset1:32
	ds_write2_b32 v1, v7, v6 offset0:6 offset1:7
	s_waitcnt lgkmcnt(2)
	v_add_u32_e32 v5, v17, v5
	v_add_u32_e32 v4, v16, v4
	ds_write2_b32 v1, v4, v5 offset0:8 offset1:9
	s_waitcnt lgkmcnt(2)
	v_add_u32_e32 v2, v2, v3
	ds_write_b32 v1, v2 offset:40
.LBB45_57:
	s_or_b64 exec, exec, s[2:3]
	v_cmp_eq_u32_e32 vcc, 0, v0
	s_waitcnt lgkmcnt(0)
	s_barrier
	s_and_saveexec_b64 s[2:3], vcc
	s_cbranch_execz .LBB45_59
; %bb.58:
	v_mov_b32_e32 v1, 0
	ds_read2_b32 v[14:15], v1 offset0:11 offset1:12
	ds_read_b128 v[2:5], v1
	ds_read_b128 v[6:9], v1 offset:16
	ds_read_b96 v[10:12], v1 offset:32
	ds_read2_b32 v[16:17], v1 offset0:13 offset1:14
	s_waitcnt lgkmcnt(3)
	v_add_u32_e32 v3, v3, v15
	v_add_u32_e32 v2, v2, v14
	ds_read2_b32 v[14:15], v1 offset0:15 offset1:16
	ds_read2_b32 v[18:19], v1 offset0:17 offset1:18
	;; [unrolled: 1-line block ×3, first 2 shown]
	s_waitcnt lgkmcnt(3)
	v_add_u32_e32 v5, v5, v17
	v_add_u32_e32 v4, v4, v16
	ds_write_b128 v1, v[2:5]
	s_waitcnt lgkmcnt(3)
	v_add_u32_e32 v2, v6, v14
	ds_read_b32 v6, v1 offset:84
	v_add_u32_e32 v3, v7, v15
	s_waitcnt lgkmcnt(3)
	v_add_u32_e32 v5, v9, v19
	v_add_u32_e32 v4, v8, v18
	ds_write_b128 v1, v[2:5] offset:16
	s_waitcnt lgkmcnt(3)
	v_add_u32_e32 v3, v11, v21
	v_add_u32_e32 v2, v10, v20
	s_waitcnt lgkmcnt(1)
	v_add_u32_e32 v4, v12, v6
	ds_write_b96 v1, v[2:4] offset:32
.LBB45_59:
	s_or_b64 exec, exec, s[2:3]
	v_cmp_gt_u32_e32 vcc, 11, v0
	s_waitcnt lgkmcnt(0)
	s_barrier
	s_and_saveexec_b64 s[2:3], vcc
	s_cbranch_execz .LBB45_61
; %bb.60:
	v_mad_u64_u32 v[2:3], s[2:3], s6, 11, v[0:1]
	v_lshlrev_b32_e32 v0, 2, v0
	ds_read_b32 v4, v0
	v_mov_b32_e32 v3, 0
	v_lshlrev_b64 v[2:3], 2, v[2:3]
	v_mov_b32_e32 v1, s1
	v_add_co_u32_e32 v0, vcc, s0, v2
	v_addc_co_u32_e32 v1, vcc, v1, v3, vcc
	s_waitcnt lgkmcnt(0)
	global_store_dword v[0:1], v4, off
.LBB45_61:
	s_endpgm
	.section	.rodata,"a",@progbits
	.p2align	6, 0x0
	.amdhsa_kernel _ZN9rocsparseL26csrgemm_group_reduce_part2ILj256ELj11E21rocsparse_complex_numIfEiiEEvT3_PKT2_PS3_Pij
		.amdhsa_group_segment_fixed_size 11264
		.amdhsa_private_segment_fixed_size 0
		.amdhsa_kernarg_size 296
		.amdhsa_user_sgpr_count 6
		.amdhsa_user_sgpr_private_segment_buffer 1
		.amdhsa_user_sgpr_dispatch_ptr 0
		.amdhsa_user_sgpr_queue_ptr 0
		.amdhsa_user_sgpr_kernarg_segment_ptr 1
		.amdhsa_user_sgpr_dispatch_id 0
		.amdhsa_user_sgpr_flat_scratch_init 0
		.amdhsa_user_sgpr_kernarg_preload_length 0
		.amdhsa_user_sgpr_kernarg_preload_offset 0
		.amdhsa_user_sgpr_private_segment_size 0
		.amdhsa_uses_dynamic_stack 0
		.amdhsa_system_sgpr_private_segment_wavefront_offset 0
		.amdhsa_system_sgpr_workgroup_id_x 1
		.amdhsa_system_sgpr_workgroup_id_y 0
		.amdhsa_system_sgpr_workgroup_id_z 0
		.amdhsa_system_sgpr_workgroup_info 0
		.amdhsa_system_vgpr_workitem_id 0
		.amdhsa_next_free_vgpr 22
		.amdhsa_next_free_sgpr 52
		.amdhsa_accum_offset 24
		.amdhsa_reserve_vcc 1
		.amdhsa_reserve_flat_scratch 0
		.amdhsa_float_round_mode_32 0
		.amdhsa_float_round_mode_16_64 0
		.amdhsa_float_denorm_mode_32 3
		.amdhsa_float_denorm_mode_16_64 3
		.amdhsa_dx10_clamp 1
		.amdhsa_ieee_mode 1
		.amdhsa_fp16_overflow 0
		.amdhsa_tg_split 0
		.amdhsa_exception_fp_ieee_invalid_op 0
		.amdhsa_exception_fp_denorm_src 0
		.amdhsa_exception_fp_ieee_div_zero 0
		.amdhsa_exception_fp_ieee_overflow 0
		.amdhsa_exception_fp_ieee_underflow 0
		.amdhsa_exception_fp_ieee_inexact 0
		.amdhsa_exception_int_div_zero 0
	.end_amdhsa_kernel
	.section	.text._ZN9rocsparseL26csrgemm_group_reduce_part2ILj256ELj11E21rocsparse_complex_numIfEiiEEvT3_PKT2_PS3_Pij,"axG",@progbits,_ZN9rocsparseL26csrgemm_group_reduce_part2ILj256ELj11E21rocsparse_complex_numIfEiiEEvT3_PKT2_PS3_Pij,comdat
.Lfunc_end45:
	.size	_ZN9rocsparseL26csrgemm_group_reduce_part2ILj256ELj11E21rocsparse_complex_numIfEiiEEvT3_PKT2_PS3_Pij, .Lfunc_end45-_ZN9rocsparseL26csrgemm_group_reduce_part2ILj256ELj11E21rocsparse_complex_numIfEiiEEvT3_PKT2_PS3_Pij
                                        ; -- End function
	.section	.AMDGPU.csdata,"",@progbits
; Kernel info:
; codeLenInByte = 3140
; NumSgprs: 56
; NumVgprs: 22
; NumAgprs: 0
; TotalNumVgprs: 22
; ScratchSize: 0
; MemoryBound: 0
; FloatMode: 240
; IeeeMode: 1
; LDSByteSize: 11264 bytes/workgroup (compile time only)
; SGPRBlocks: 6
; VGPRBlocks: 2
; NumSGPRsForWavesPerEU: 56
; NumVGPRsForWavesPerEU: 22
; AccumOffset: 24
; Occupancy: 5
; WaveLimiterHint : 0
; COMPUTE_PGM_RSRC2:SCRATCH_EN: 0
; COMPUTE_PGM_RSRC2:USER_SGPR: 6
; COMPUTE_PGM_RSRC2:TRAP_HANDLER: 0
; COMPUTE_PGM_RSRC2:TGID_X_EN: 1
; COMPUTE_PGM_RSRC2:TGID_Y_EN: 0
; COMPUTE_PGM_RSRC2:TGID_Z_EN: 0
; COMPUTE_PGM_RSRC2:TIDIG_COMP_CNT: 0
; COMPUTE_PGM_RSRC3_GFX90A:ACCUM_OFFSET: 5
; COMPUTE_PGM_RSRC3_GFX90A:TG_SPLIT: 0
	.section	.text._ZN9rocsparseL23csrgemm_fill_wf_per_rowILj256ELj8ELj16ELj137Eii21rocsparse_complex_numIfEEEvT4_S3_PKS3_S5_NS_24const_host_device_scalarIT5_EEPKT3_S5_PKS7_SB_S5_SD_S8_SB_S5_SD_SB_PS3_PS7_21rocsparse_index_base_SG_SG_SG_bbb,"axG",@progbits,_ZN9rocsparseL23csrgemm_fill_wf_per_rowILj256ELj8ELj16ELj137Eii21rocsparse_complex_numIfEEEvT4_S3_PKS3_S5_NS_24const_host_device_scalarIT5_EEPKT3_S5_PKS7_SB_S5_SD_S8_SB_S5_SD_SB_PS3_PS7_21rocsparse_index_base_SG_SG_SG_bbb,comdat
	.globl	_ZN9rocsparseL23csrgemm_fill_wf_per_rowILj256ELj8ELj16ELj137Eii21rocsparse_complex_numIfEEEvT4_S3_PKS3_S5_NS_24const_host_device_scalarIT5_EEPKT3_S5_PKS7_SB_S5_SD_S8_SB_S5_SD_SB_PS3_PS7_21rocsparse_index_base_SG_SG_SG_bbb ; -- Begin function _ZN9rocsparseL23csrgemm_fill_wf_per_rowILj256ELj8ELj16ELj137Eii21rocsparse_complex_numIfEEEvT4_S3_PKS3_S5_NS_24const_host_device_scalarIT5_EEPKT3_S5_PKS7_SB_S5_SD_S8_SB_S5_SD_SB_PS3_PS7_21rocsparse_index_base_SG_SG_SG_bbb
	.p2align	8
	.type	_ZN9rocsparseL23csrgemm_fill_wf_per_rowILj256ELj8ELj16ELj137Eii21rocsparse_complex_numIfEEEvT4_S3_PKS3_S5_NS_24const_host_device_scalarIT5_EEPKT3_S5_PKS7_SB_S5_SD_S8_SB_S5_SD_SB_PS3_PS7_21rocsparse_index_base_SG_SG_SG_bbb,@function
_ZN9rocsparseL23csrgemm_fill_wf_per_rowILj256ELj8ELj16ELj137Eii21rocsparse_complex_numIfEEEvT4_S3_PKS3_S5_NS_24const_host_device_scalarIT5_EEPKT3_S5_PKS7_SB_S5_SD_S8_SB_S5_SD_SB_PS3_PS7_21rocsparse_index_base_SG_SG_SG_bbb: ; @_ZN9rocsparseL23csrgemm_fill_wf_per_rowILj256ELj8ELj16ELj137Eii21rocsparse_complex_numIfEEEvT4_S3_PKS3_S5_NS_24const_host_device_scalarIT5_EEPKT3_S5_PKS7_SB_S5_SD_S8_SB_S5_SD_SB_PS3_PS7_21rocsparse_index_base_SG_SG_SG_bbb
; %bb.0:
	s_load_dwordx8 s[8:15], s[4:5], 0x60
	s_load_dwordx8 s[16:23], s[4:5], 0x40
	s_load_dword s7, s[4:5], 0x98
	s_load_dwordx4 s[40:43], s[4:5], 0x8
	s_load_dwordx8 s[24:31], s[4:5], 0x20
	s_load_dwordx2 s[2:3], s[4:5], 0x80
	s_load_dwordx4 s[36:39], s[4:5], 0x88
	s_waitcnt lgkmcnt(0)
	s_bitcmp1_b32 s7, 0
	s_cselect_b64 s[46:47], -1, 0
	s_bitcmp1_b32 s7, 16
	s_cselect_b64 s[0:1], -1, 0
	s_xor_b64 s[0:1], s[0:1], -1
	v_cndmask_b32_e64 v1, 0, 1, s[0:1]
	s_mov_b32 s35, 0
	s_bitcmp0_b32 s7, 0
	v_cmp_ne_u32_e64 s[0:1], 1, v1
	s_mov_b32 s54, 0
	s_cbranch_scc1 .LBB46_5
; %bb.1:
	s_load_dwordx2 s[34:35], s[4:5], 0x18
	s_and_b64 vcc, exec, s[0:1]
	s_waitcnt lgkmcnt(0)
	s_mov_b32 s54, s34
	s_cbranch_vccnz .LBB46_3
; %bb.2:
	s_load_dword s54, s[34:35], 0x0
.LBB46_3:
	s_and_b64 vcc, exec, s[0:1]
	s_cbranch_vccnz .LBB46_5
; %bb.4:
	s_load_dword s35, s[34:35], 0x4
.LBB46_5:
	s_bitcmp1_b32 s7, 8
	s_cselect_b64 s[44:45], -1, 0
	s_bfe_u32 s7, s7, 0x10008
	s_mov_b32 s34, 0
	s_cmp_eq_u32 s7, 0
	s_mov_b32 s33, 0
	s_cbranch_scc1 .LBB46_11
; %bb.6:
	s_and_b64 vcc, exec, s[0:1]
	s_mov_b32 s33, s20
	s_cbranch_vccnz .LBB46_8
; %bb.7:
	s_load_dword s33, s[20:21], 0x0
.LBB46_8:
	s_and_b64 vcc, exec, s[0:1]
	s_cbranch_vccnz .LBB46_10
; %bb.9:
	s_load_dword s21, s[20:21], 0x4
.LBB46_10:
	s_waitcnt lgkmcnt(0)
	s_mov_b32 s34, s21
.LBB46_11:
	s_load_dwordx2 s[0:1], s[4:5], 0x0
	v_and_b32_e32 v11, 7, v0
	v_lshrrev_b32_e32 v2, 3, v0
	v_lshlrev_b32_e32 v0, 3, v11
	v_lshl_or_b32 v7, v2, 7, v0
	v_lshlrev_b32_e32 v0, 6, v2
	v_lshlrev_b32_e32 v1, 2, v11
	s_movk_i32 s4, 0x1000
	v_or_b32_e32 v6, -8, v11
	v_or3_b32 v8, v0, v1, s4
	v_mov_b32_e32 v0, 0
	s_mov_b64 s[4:5], 0
	s_waitcnt lgkmcnt(0)
	v_mov_b32_e32 v3, s1
	v_mov_b32_e32 v1, v0
	v_mov_b32_e32 v4, v8
	v_mov_b32_e32 v5, v7
	v_mov_b32_e32 v9, v6
.LBB46_12:                              ; =>This Inner Loop Header: Depth=1
	v_add_co_u32_e32 v9, vcc, 8, v9
	s_xor_b64 s[20:21], vcc, -1
	s_and_b64 s[20:21], exec, s[20:21]
	ds_write_b32 v4, v3
	ds_write_b64 v5, v[0:1]
	v_add_u32_e32 v5, 64, v5
	s_or_b64 s[4:5], s[20:21], s[4:5]
	v_add_u32_e32 v4, 32, v4
	s_andn2_b64 exec, exec, s[4:5]
	s_cbranch_execnz .LBB46_12
; %bb.13:
	s_or_b64 exec, exec, s[4:5]
	s_lshl_b32 s4, s6, 5
	s_and_b32 s4, s4, 0x1fffffe0
	v_or_b32_e32 v0, s4, v2
	v_cmp_gt_i32_e32 vcc, s0, v0
	s_waitcnt lgkmcnt(0)
	s_and_saveexec_b64 s[4:5], vcc
	s_cbranch_execz .LBB46_57
; %bb.14:
	s_cmp_eq_u64 s[42:43], 0
	s_cbranch_scc1 .LBB46_16
; %bb.15:
	s_load_dword s0, s[40:41], 0x0
	v_mov_b32_e32 v3, s43
	s_waitcnt lgkmcnt(0)
	v_add_u32_e32 v0, s0, v0
	v_ashrrev_i32_e32 v1, 31, v0
	v_lshlrev_b64 v[0:1], 2, v[0:1]
	v_add_co_u32_e32 v0, vcc, s42, v0
	v_addc_co_u32_e32 v1, vcc, v3, v1, vcc
	global_load_dword v0, v[0:1], off
.LBB46_16:
	v_mov_b32_e32 v1, 0x1000
	v_lshl_or_b32 v9, v2, 6, v1
	s_waitcnt vmcnt(0)
	v_ashrrev_i32_e32 v1, 31, v0
	v_lshlrev_b32_e32 v10, 7, v2
	s_andn2_b64 vcc, exec, s[46:47]
	v_lshlrev_b64 v[0:1], 2, v[0:1]
	s_cbranch_vccnz .LBB46_36
; %bb.17:
	v_mov_b32_e32 v3, s25
	v_add_co_u32_e32 v2, vcc, s24, v0
	v_addc_co_u32_e32 v3, vcc, v3, v1, vcc
	global_load_dwordx2 v[2:3], v[2:3], off
	v_subrev_u32_e32 v4, s36, v11
	s_waitcnt vmcnt(0)
	v_subrev_u32_e32 v12, s36, v3
	v_add_u32_e32 v2, v2, v4
	v_cmp_lt_i32_e32 vcc, v2, v12
	s_and_saveexec_b64 s[4:5], vcc
	s_cbranch_execz .LBB46_35
; %bb.18:
	s_mov_b64 s[6:7], 0
	v_mov_b32_e32 v13, s27
	v_mov_b32_e32 v14, s31
	s_branch .LBB46_20
.LBB46_19:                              ;   in Loop: Header=BB46_20 Depth=1
	s_or_b64 exec, exec, s[20:21]
	v_add_u32_e32 v2, 8, v2
	v_cmp_ge_i32_e32 vcc, v2, v12
	s_or_b64 s[6:7], vcc, s[6:7]
	s_andn2_b64 exec, exec, s[6:7]
	s_cbranch_execz .LBB46_35
.LBB46_20:                              ; =>This Loop Header: Depth=1
                                        ;     Child Loop BB46_23 Depth 2
                                        ;       Child Loop BB46_25 Depth 3
	v_ashrrev_i32_e32 v3, 31, v2
	v_lshlrev_b64 v[4:5], 2, v[2:3]
	v_add_co_u32_e32 v4, vcc, s26, v4
	v_addc_co_u32_e32 v5, vcc, v13, v5, vcc
	global_load_dword v4, v[4:5], off
	s_waitcnt vmcnt(0)
	v_subrev_u32_e32 v4, s36, v4
	v_ashrrev_i32_e32 v5, 31, v4
	v_lshlrev_b64 v[4:5], 2, v[4:5]
	v_add_co_u32_e32 v4, vcc, s30, v4
	v_addc_co_u32_e32 v5, vcc, v14, v5, vcc
	global_load_dwordx2 v[4:5], v[4:5], off
	s_waitcnt vmcnt(0)
	v_cmp_lt_i32_e32 vcc, v4, v5
	s_and_saveexec_b64 s[20:21], vcc
	s_cbranch_execz .LBB46_19
; %bb.21:                               ;   in Loop: Header=BB46_20 Depth=1
	v_lshlrev_b64 v[16:17], 3, v[2:3]
	v_mov_b32_e32 v3, s29
	v_add_co_u32_e32 v16, vcc, s28, v16
	v_addc_co_u32_e32 v17, vcc, v3, v17, vcc
	global_load_dwordx2 v[18:19], v[16:17], off
	v_subrev_u32_e32 v3, s37, v5
	v_subrev_u32_e32 v4, s37, v4
	s_mov_b64 s[24:25], 0
	s_waitcnt vmcnt(0)
	v_mul_f32_e64 v15, v19, -s35
	v_mul_f32_e32 v16, s54, v19
	v_fmac_f32_e32 v15, s54, v18
	v_fmac_f32_e32 v16, s35, v18
	s_branch .LBB46_23
.LBB46_22:                              ;   in Loop: Header=BB46_23 Depth=2
	s_or_b64 exec, exec, s[40:41]
	v_add_u32_e32 v4, 1, v4
	v_cmp_ge_i32_e32 vcc, v4, v3
	s_or_b64 s[24:25], vcc, s[24:25]
	s_andn2_b64 exec, exec, s[24:25]
	s_cbranch_execz .LBB46_19
.LBB46_23:                              ;   Parent Loop BB46_20 Depth=1
                                        ; =>  This Loop Header: Depth=2
                                        ;       Child Loop BB46_25 Depth 3
	v_ashrrev_i32_e32 v5, 31, v4
	v_lshlrev_b64 v[18:19], 2, v[4:5]
	v_mov_b32_e32 v17, s17
	v_add_co_u32_e32 v18, vcc, s16, v18
	v_addc_co_u32_e32 v19, vcc, v17, v19, vcc
	global_load_dword v17, v[18:19], off
	v_lshlrev_b64 v[18:19], 3, v[4:5]
	v_mov_b32_e32 v5, s19
	v_add_co_u32_e32 v18, vcc, s18, v18
	v_addc_co_u32_e32 v19, vcc, v5, v19, vcc
	global_load_dwordx2 v[20:21], v[18:19], off
	s_mov_b64 s[40:41], 0
	s_waitcnt vmcnt(1)
	v_subrev_u32_e32 v5, s37, v17
	v_lshl_add_u32 v19, v5, 3, v5
	v_and_b32_e32 v19, 15, v19
	s_waitcnt vmcnt(0)
	v_mul_f32_e64 v17, v21, -v16
	v_mul_f32_e32 v18, v15, v21
	v_fmac_f32_e32 v17, v15, v20
	v_fmac_f32_e32 v18, v16, v20
	s_branch .LBB46_25
.LBB46_24:                              ;   in Loop: Header=BB46_25 Depth=3
	s_or_b64 exec, exec, s[42:43]
	s_xor_b64 s[42:43], s[46:47], -1
	s_and_b64 s[42:43], exec, s[42:43]
	s_or_b64 s[40:41], s[42:43], s[40:41]
	s_andn2_b64 exec, exec, s[40:41]
	s_cbranch_execz .LBB46_22
.LBB46_25:                              ;   Parent Loop BB46_20 Depth=1
                                        ;     Parent Loop BB46_23 Depth=2
                                        ; =>    This Inner Loop Header: Depth=3
	v_lshl_add_u32 v20, v19, 2, v9
	ds_read_b32 v21, v20
                                        ; implicit-def: $sgpr46_sgpr47
	s_waitcnt lgkmcnt(0)
	v_cmp_ne_u32_e32 vcc, v21, v5
	s_and_saveexec_b64 s[42:43], vcc
	s_xor_b64 s[42:43], exec, s[42:43]
	s_cbranch_execz .LBB46_33
; %bb.26:                               ;   in Loop: Header=BB46_25 Depth=3
	v_cmp_ne_u32_e32 vcc, s1, v21
                                        ; implicit-def: $sgpr46_sgpr47
	s_and_saveexec_b64 s[48:49], vcc
	s_xor_b64 s[48:49], exec, s[48:49]
; %bb.27:                               ;   in Loop: Header=BB46_25 Depth=3
	v_add_u32_e32 v19, 1, v19
	v_and_b32_e32 v19, 15, v19
	s_mov_b64 s[46:47], -1
                                        ; implicit-def: $vgpr20
; %bb.28:                               ;   in Loop: Header=BB46_25 Depth=3
	s_andn2_saveexec_b64 s[48:49], s[48:49]
	s_cbranch_execz .LBB46_32
; %bb.29:                               ;   in Loop: Header=BB46_25 Depth=3
	v_mov_b32_e32 v21, s1
	ds_cmpst_rtn_b32 v20, v20, v21, v5
	s_mov_b64 s[50:51], -1
	s_waitcnt lgkmcnt(0)
	v_cmp_eq_u32_e32 vcc, s1, v20
	s_and_saveexec_b64 s[52:53], vcc
	s_cbranch_execz .LBB46_31
; %bb.30:                               ;   in Loop: Header=BB46_25 Depth=3
	v_lshl_add_u32 v20, v19, 3, v10
	ds_add_f32 v20, v17
	ds_add_f32 v20, v18 offset:4
	s_xor_b64 s[50:51], exec, -1
.LBB46_31:                              ;   in Loop: Header=BB46_25 Depth=3
	s_or_b64 exec, exec, s[52:53]
	s_andn2_b64 s[46:47], s[46:47], exec
	s_and_b64 s[50:51], s[50:51], exec
	s_or_b64 s[46:47], s[46:47], s[50:51]
.LBB46_32:                              ;   in Loop: Header=BB46_25 Depth=3
	s_or_b64 exec, exec, s[48:49]
	s_and_b64 s[46:47], s[46:47], exec
.LBB46_33:                              ;   in Loop: Header=BB46_25 Depth=3
	s_andn2_saveexec_b64 s[42:43], s[42:43]
	s_cbranch_execz .LBB46_24
; %bb.34:                               ;   in Loop: Header=BB46_25 Depth=3
	v_lshl_add_u32 v20, v19, 3, v10
	ds_add_f32 v20, v17
	ds_add_f32 v20, v18 offset:4
	s_andn2_b64 s[46:47], s[46:47], exec
	s_branch .LBB46_24
.LBB46_35:
	s_or_b64 exec, exec, s[4:5]
.LBB46_36:
	s_andn2_b64 vcc, exec, s[44:45]
	s_cbranch_vccnz .LBB46_53
; %bb.37:
	v_mov_b32_e32 v3, s23
	v_add_co_u32_e32 v2, vcc, s22, v0
	v_addc_co_u32_e32 v3, vcc, v3, v1, vcc
	global_load_dwordx2 v[2:3], v[2:3], off
	v_subrev_u32_e32 v5, s39, v11
	s_waitcnt vmcnt(0)
	v_subrev_u32_e32 v4, s39, v3
	v_add_u32_e32 v2, v2, v5
	v_cmp_lt_i32_e32 vcc, v2, v4
	s_and_saveexec_b64 s[4:5], vcc
	s_cbranch_execz .LBB46_52
; %bb.38:
	s_mov_b64 s[6:7], 0
	v_mov_b32_e32 v5, s9
	v_mov_b32_e32 v11, s11
	s_branch .LBB46_40
.LBB46_39:                              ;   in Loop: Header=BB46_40 Depth=1
	s_or_b64 exec, exec, s[16:17]
	v_add_u32_e32 v2, 8, v2
	v_cmp_ge_i32_e32 vcc, v2, v4
	s_or_b64 s[6:7], vcc, s[6:7]
	s_andn2_b64 exec, exec, s[6:7]
	s_cbranch_execz .LBB46_52
.LBB46_40:                              ; =>This Loop Header: Depth=1
                                        ;     Child Loop BB46_42 Depth 2
	v_ashrrev_i32_e32 v3, 31, v2
	v_lshlrev_b64 v[12:13], 2, v[2:3]
	v_add_co_u32_e32 v12, vcc, s8, v12
	v_addc_co_u32_e32 v13, vcc, v5, v13, vcc
	global_load_dword v16, v[12:13], off
	v_lshlrev_b64 v[12:13], 3, v[2:3]
	v_add_co_u32_e32 v12, vcc, s10, v12
	v_addc_co_u32_e32 v13, vcc, v11, v13, vcc
	global_load_dwordx2 v[14:15], v[12:13], off
	s_mov_b64 s[16:17], 0
	s_waitcnt vmcnt(1)
	v_subrev_u32_e32 v3, s39, v16
	s_waitcnt vmcnt(0)
	v_mul_f32_e64 v12, v15, -s34
	v_mul_f32_e32 v13, s33, v15
	v_fmac_f32_e32 v12, s33, v14
	v_fmac_f32_e32 v13, s34, v14
	v_lshl_add_u32 v14, v3, 3, v3
	v_and_b32_e32 v14, 15, v14
	s_branch .LBB46_42
.LBB46_41:                              ;   in Loop: Header=BB46_42 Depth=2
	s_or_b64 exec, exec, s[18:19]
	s_xor_b64 s[18:19], s[20:21], -1
	s_and_b64 s[18:19], exec, s[18:19]
	s_or_b64 s[16:17], s[18:19], s[16:17]
	s_andn2_b64 exec, exec, s[16:17]
	s_cbranch_execz .LBB46_39
.LBB46_42:                              ;   Parent Loop BB46_40 Depth=1
                                        ; =>  This Inner Loop Header: Depth=2
	v_lshl_add_u32 v15, v14, 2, v9
	ds_read_b32 v16, v15
                                        ; implicit-def: $sgpr20_sgpr21
	s_waitcnt lgkmcnt(0)
	v_cmp_ne_u32_e32 vcc, v16, v3
	s_and_saveexec_b64 s[18:19], vcc
	s_xor_b64 s[18:19], exec, s[18:19]
	s_cbranch_execz .LBB46_50
; %bb.43:                               ;   in Loop: Header=BB46_42 Depth=2
	v_cmp_ne_u32_e32 vcc, s1, v16
                                        ; implicit-def: $sgpr20_sgpr21
	s_and_saveexec_b64 s[22:23], vcc
	s_xor_b64 s[22:23], exec, s[22:23]
; %bb.44:                               ;   in Loop: Header=BB46_42 Depth=2
	v_add_u32_e32 v14, 1, v14
	v_and_b32_e32 v14, 15, v14
	s_mov_b64 s[20:21], -1
                                        ; implicit-def: $vgpr15
; %bb.45:                               ;   in Loop: Header=BB46_42 Depth=2
	s_andn2_saveexec_b64 s[22:23], s[22:23]
	s_cbranch_execz .LBB46_49
; %bb.46:                               ;   in Loop: Header=BB46_42 Depth=2
	v_mov_b32_e32 v16, s1
	ds_cmpst_rtn_b32 v15, v15, v16, v3
	s_mov_b64 s[24:25], -1
	s_waitcnt lgkmcnt(0)
	v_cmp_eq_u32_e32 vcc, s1, v15
	s_and_saveexec_b64 s[26:27], vcc
	s_cbranch_execz .LBB46_48
; %bb.47:                               ;   in Loop: Header=BB46_42 Depth=2
	v_lshl_add_u32 v15, v14, 3, v10
	ds_add_f32 v15, v12
	ds_add_f32 v15, v13 offset:4
	s_xor_b64 s[24:25], exec, -1
.LBB46_48:                              ;   in Loop: Header=BB46_42 Depth=2
	s_or_b64 exec, exec, s[26:27]
	s_andn2_b64 s[20:21], s[20:21], exec
	s_and_b64 s[24:25], s[24:25], exec
	s_or_b64 s[20:21], s[20:21], s[24:25]
.LBB46_49:                              ;   in Loop: Header=BB46_42 Depth=2
	s_or_b64 exec, exec, s[22:23]
	s_and_b64 s[20:21], s[20:21], exec
.LBB46_50:                              ;   in Loop: Header=BB46_42 Depth=2
	s_andn2_saveexec_b64 s[18:19], s[18:19]
	s_cbranch_execz .LBB46_41
; %bb.51:                               ;   in Loop: Header=BB46_42 Depth=2
	v_lshl_add_u32 v15, v14, 3, v10
	ds_add_f32 v15, v12
	ds_add_f32 v15, v13 offset:4
	s_andn2_b64 s[20:21], s[20:21], exec
	s_branch .LBB46_41
.LBB46_52:
	s_or_b64 exec, exec, s[4:5]
.LBB46_53:
	v_mov_b32_e32 v2, s13
	v_add_co_u32_e32 v0, vcc, s12, v0
	v_addc_co_u32_e32 v1, vcc, v2, v1, vcc
	s_waitcnt lgkmcnt(0)
	global_load_dword v0, v[0:1], off
	s_mov_b64 s[4:5], 0
	s_waitcnt vmcnt(0)
	v_subrev_u32_e32 v0, s38, v0
	s_branch .LBB46_55
.LBB46_54:                              ;   in Loop: Header=BB46_55 Depth=1
	s_or_b64 exec, exec, s[6:7]
	v_add_co_u32_e32 v6, vcc, 8, v6
	s_xor_b64 s[6:7], vcc, -1
	s_and_b64 s[6:7], exec, s[6:7]
	v_add_u32_e32 v7, 64, v7
	s_or_b64 s[4:5], s[6:7], s[4:5]
	v_add_u32_e32 v8, 32, v8
	s_andn2_b64 exec, exec, s[4:5]
	s_cbranch_execz .LBB46_57
.LBB46_55:                              ; =>This Inner Loop Header: Depth=1
	ds_read_b32 v1, v8
	s_waitcnt lgkmcnt(0)
	v_cmp_gt_i32_e32 vcc, s1, v1
	s_and_saveexec_b64 s[6:7], vcc
	s_cbranch_execz .LBB46_54
; %bb.56:                               ;   in Loop: Header=BB46_55 Depth=1
	ds_read_b128 v[2:5], v9
	ds_read_b128 v[10:13], v9 offset:16
	ds_read_b128 v[14:17], v9 offset:32
	;; [unrolled: 1-line block ×3, first 2 shown]
	s_waitcnt lgkmcnt(3)
	v_cmp_gt_i32_e32 vcc, v1, v2
	v_cndmask_b32_e64 v2, 0, 1, vcc
	v_cmp_gt_i32_e32 vcc, v1, v3
	v_addc_co_u32_e32 v2, vcc, v0, v2, vcc
	v_cmp_gt_i32_e32 vcc, v1, v4
	v_cndmask_b32_e64 v3, 0, 1, vcc
	v_cmp_gt_i32_e32 vcc, v1, v5
	v_addc_co_u32_e32 v2, vcc, v2, v3, vcc
	s_waitcnt lgkmcnt(2)
	v_cmp_gt_i32_e32 vcc, v1, v10
	v_cndmask_b32_e64 v3, 0, 1, vcc
	v_cmp_gt_i32_e32 vcc, v1, v11
	v_addc_co_u32_e32 v2, vcc, v2, v3, vcc
	v_cmp_gt_i32_e32 vcc, v1, v12
	v_cndmask_b32_e64 v3, 0, 1, vcc
	v_cmp_gt_i32_e32 vcc, v1, v13
	v_addc_co_u32_e32 v2, vcc, v2, v3, vcc
	;; [unrolled: 9-line block ×4, first 2 shown]
	v_ashrrev_i32_e32 v3, 31, v2
	v_lshlrev_b64 v[4:5], 2, v[2:3]
	v_mov_b32_e32 v10, s15
	v_add_co_u32_e32 v4, vcc, s14, v4
	v_add_u32_e32 v1, s38, v1
	v_addc_co_u32_e32 v5, vcc, v10, v5, vcc
	global_store_dword v[4:5], v1, off
	ds_read_b64 v[4:5], v7
	v_lshlrev_b64 v[2:3], 3, v[2:3]
	v_mov_b32_e32 v1, s3
	v_add_co_u32_e32 v2, vcc, s2, v2
	v_addc_co_u32_e32 v3, vcc, v1, v3, vcc
	s_waitcnt lgkmcnt(0)
	global_store_dwordx2 v[2:3], v[4:5], off
	s_branch .LBB46_54
.LBB46_57:
	s_endpgm
	.section	.rodata,"a",@progbits
	.p2align	6, 0x0
	.amdhsa_kernel _ZN9rocsparseL23csrgemm_fill_wf_per_rowILj256ELj8ELj16ELj137Eii21rocsparse_complex_numIfEEEvT4_S3_PKS3_S5_NS_24const_host_device_scalarIT5_EEPKT3_S5_PKS7_SB_S5_SD_S8_SB_S5_SD_SB_PS3_PS7_21rocsparse_index_base_SG_SG_SG_bbb
		.amdhsa_group_segment_fixed_size 6144
		.amdhsa_private_segment_fixed_size 0
		.amdhsa_kernarg_size 156
		.amdhsa_user_sgpr_count 6
		.amdhsa_user_sgpr_private_segment_buffer 1
		.amdhsa_user_sgpr_dispatch_ptr 0
		.amdhsa_user_sgpr_queue_ptr 0
		.amdhsa_user_sgpr_kernarg_segment_ptr 1
		.amdhsa_user_sgpr_dispatch_id 0
		.amdhsa_user_sgpr_flat_scratch_init 0
		.amdhsa_user_sgpr_kernarg_preload_length 0
		.amdhsa_user_sgpr_kernarg_preload_offset 0
		.amdhsa_user_sgpr_private_segment_size 0
		.amdhsa_uses_dynamic_stack 0
		.amdhsa_system_sgpr_private_segment_wavefront_offset 0
		.amdhsa_system_sgpr_workgroup_id_x 1
		.amdhsa_system_sgpr_workgroup_id_y 0
		.amdhsa_system_sgpr_workgroup_id_z 0
		.amdhsa_system_sgpr_workgroup_info 0
		.amdhsa_system_vgpr_workitem_id 0
		.amdhsa_next_free_vgpr 22
		.amdhsa_next_free_sgpr 55
		.amdhsa_accum_offset 24
		.amdhsa_reserve_vcc 1
		.amdhsa_reserve_flat_scratch 0
		.amdhsa_float_round_mode_32 0
		.amdhsa_float_round_mode_16_64 0
		.amdhsa_float_denorm_mode_32 3
		.amdhsa_float_denorm_mode_16_64 3
		.amdhsa_dx10_clamp 1
		.amdhsa_ieee_mode 1
		.amdhsa_fp16_overflow 0
		.amdhsa_tg_split 0
		.amdhsa_exception_fp_ieee_invalid_op 0
		.amdhsa_exception_fp_denorm_src 0
		.amdhsa_exception_fp_ieee_div_zero 0
		.amdhsa_exception_fp_ieee_overflow 0
		.amdhsa_exception_fp_ieee_underflow 0
		.amdhsa_exception_fp_ieee_inexact 0
		.amdhsa_exception_int_div_zero 0
	.end_amdhsa_kernel
	.section	.text._ZN9rocsparseL23csrgemm_fill_wf_per_rowILj256ELj8ELj16ELj137Eii21rocsparse_complex_numIfEEEvT4_S3_PKS3_S5_NS_24const_host_device_scalarIT5_EEPKT3_S5_PKS7_SB_S5_SD_S8_SB_S5_SD_SB_PS3_PS7_21rocsparse_index_base_SG_SG_SG_bbb,"axG",@progbits,_ZN9rocsparseL23csrgemm_fill_wf_per_rowILj256ELj8ELj16ELj137Eii21rocsparse_complex_numIfEEEvT4_S3_PKS3_S5_NS_24const_host_device_scalarIT5_EEPKT3_S5_PKS7_SB_S5_SD_S8_SB_S5_SD_SB_PS3_PS7_21rocsparse_index_base_SG_SG_SG_bbb,comdat
.Lfunc_end46:
	.size	_ZN9rocsparseL23csrgemm_fill_wf_per_rowILj256ELj8ELj16ELj137Eii21rocsparse_complex_numIfEEEvT4_S3_PKS3_S5_NS_24const_host_device_scalarIT5_EEPKT3_S5_PKS7_SB_S5_SD_S8_SB_S5_SD_SB_PS3_PS7_21rocsparse_index_base_SG_SG_SG_bbb, .Lfunc_end46-_ZN9rocsparseL23csrgemm_fill_wf_per_rowILj256ELj8ELj16ELj137Eii21rocsparse_complex_numIfEEEvT4_S3_PKS3_S5_NS_24const_host_device_scalarIT5_EEPKT3_S5_PKS7_SB_S5_SD_S8_SB_S5_SD_SB_PS3_PS7_21rocsparse_index_base_SG_SG_SG_bbb
                                        ; -- End function
	.section	.AMDGPU.csdata,"",@progbits
; Kernel info:
; codeLenInByte = 1908
; NumSgprs: 59
; NumVgprs: 22
; NumAgprs: 0
; TotalNumVgprs: 22
; ScratchSize: 0
; MemoryBound: 0
; FloatMode: 240
; IeeeMode: 1
; LDSByteSize: 6144 bytes/workgroup (compile time only)
; SGPRBlocks: 7
; VGPRBlocks: 2
; NumSGPRsForWavesPerEU: 59
; NumVGPRsForWavesPerEU: 22
; AccumOffset: 24
; Occupancy: 8
; WaveLimiterHint : 1
; COMPUTE_PGM_RSRC2:SCRATCH_EN: 0
; COMPUTE_PGM_RSRC2:USER_SGPR: 6
; COMPUTE_PGM_RSRC2:TRAP_HANDLER: 0
; COMPUTE_PGM_RSRC2:TGID_X_EN: 1
; COMPUTE_PGM_RSRC2:TGID_Y_EN: 0
; COMPUTE_PGM_RSRC2:TGID_Z_EN: 0
; COMPUTE_PGM_RSRC2:TIDIG_COMP_CNT: 0
; COMPUTE_PGM_RSRC3_GFX90A:ACCUM_OFFSET: 5
; COMPUTE_PGM_RSRC3_GFX90A:TG_SPLIT: 0
	.section	.text._ZN9rocsparseL23csrgemm_fill_wf_per_rowILj256ELj16ELj32ELj137Eii21rocsparse_complex_numIfEEEvT4_S3_PKS3_S5_NS_24const_host_device_scalarIT5_EEPKT3_S5_PKS7_SB_S5_SD_S8_SB_S5_SD_SB_PS3_PS7_21rocsparse_index_base_SG_SG_SG_bbb,"axG",@progbits,_ZN9rocsparseL23csrgemm_fill_wf_per_rowILj256ELj16ELj32ELj137Eii21rocsparse_complex_numIfEEEvT4_S3_PKS3_S5_NS_24const_host_device_scalarIT5_EEPKT3_S5_PKS7_SB_S5_SD_S8_SB_S5_SD_SB_PS3_PS7_21rocsparse_index_base_SG_SG_SG_bbb,comdat
	.globl	_ZN9rocsparseL23csrgemm_fill_wf_per_rowILj256ELj16ELj32ELj137Eii21rocsparse_complex_numIfEEEvT4_S3_PKS3_S5_NS_24const_host_device_scalarIT5_EEPKT3_S5_PKS7_SB_S5_SD_S8_SB_S5_SD_SB_PS3_PS7_21rocsparse_index_base_SG_SG_SG_bbb ; -- Begin function _ZN9rocsparseL23csrgemm_fill_wf_per_rowILj256ELj16ELj32ELj137Eii21rocsparse_complex_numIfEEEvT4_S3_PKS3_S5_NS_24const_host_device_scalarIT5_EEPKT3_S5_PKS7_SB_S5_SD_S8_SB_S5_SD_SB_PS3_PS7_21rocsparse_index_base_SG_SG_SG_bbb
	.p2align	8
	.type	_ZN9rocsparseL23csrgemm_fill_wf_per_rowILj256ELj16ELj32ELj137Eii21rocsparse_complex_numIfEEEvT4_S3_PKS3_S5_NS_24const_host_device_scalarIT5_EEPKT3_S5_PKS7_SB_S5_SD_S8_SB_S5_SD_SB_PS3_PS7_21rocsparse_index_base_SG_SG_SG_bbb,@function
_ZN9rocsparseL23csrgemm_fill_wf_per_rowILj256ELj16ELj32ELj137Eii21rocsparse_complex_numIfEEEvT4_S3_PKS3_S5_NS_24const_host_device_scalarIT5_EEPKT3_S5_PKS7_SB_S5_SD_S8_SB_S5_SD_SB_PS3_PS7_21rocsparse_index_base_SG_SG_SG_bbb: ; @_ZN9rocsparseL23csrgemm_fill_wf_per_rowILj256ELj16ELj32ELj137Eii21rocsparse_complex_numIfEEEvT4_S3_PKS3_S5_NS_24const_host_device_scalarIT5_EEPKT3_S5_PKS7_SB_S5_SD_S8_SB_S5_SD_SB_PS3_PS7_21rocsparse_index_base_SG_SG_SG_bbb
; %bb.0:
	s_load_dwordx8 s[8:15], s[4:5], 0x60
	s_load_dwordx8 s[16:23], s[4:5], 0x40
	s_load_dword s7, s[4:5], 0x98
	s_load_dwordx4 s[40:43], s[4:5], 0x8
	s_load_dwordx8 s[24:31], s[4:5], 0x20
	s_load_dwordx2 s[2:3], s[4:5], 0x80
	s_load_dwordx4 s[36:39], s[4:5], 0x88
	s_waitcnt lgkmcnt(0)
	s_bitcmp1_b32 s7, 0
	s_cselect_b64 s[46:47], -1, 0
	s_bitcmp1_b32 s7, 16
	s_cselect_b64 s[0:1], -1, 0
	s_xor_b64 s[0:1], s[0:1], -1
	v_cndmask_b32_e64 v1, 0, 1, s[0:1]
	s_mov_b32 s35, 0
	s_bitcmp0_b32 s7, 0
	v_cmp_ne_u32_e64 s[0:1], 1, v1
	s_mov_b32 s54, 0
	s_cbranch_scc1 .LBB47_5
; %bb.1:
	s_load_dwordx2 s[34:35], s[4:5], 0x18
	s_and_b64 vcc, exec, s[0:1]
	s_waitcnt lgkmcnt(0)
	s_mov_b32 s54, s34
	s_cbranch_vccnz .LBB47_3
; %bb.2:
	s_load_dword s54, s[34:35], 0x0
.LBB47_3:
	s_and_b64 vcc, exec, s[0:1]
	s_cbranch_vccnz .LBB47_5
; %bb.4:
	s_load_dword s35, s[34:35], 0x4
.LBB47_5:
	s_bitcmp1_b32 s7, 8
	s_cselect_b64 s[44:45], -1, 0
	s_bfe_u32 s7, s7, 0x10008
	s_mov_b32 s34, 0
	s_cmp_eq_u32 s7, 0
	s_mov_b32 s33, 0
	s_cbranch_scc1 .LBB47_11
; %bb.6:
	s_and_b64 vcc, exec, s[0:1]
	s_mov_b32 s33, s20
	s_cbranch_vccnz .LBB47_8
; %bb.7:
	s_load_dword s33, s[20:21], 0x0
.LBB47_8:
	s_and_b64 vcc, exec, s[0:1]
	s_cbranch_vccnz .LBB47_10
; %bb.9:
	s_load_dword s21, s[20:21], 0x4
.LBB47_10:
	s_waitcnt lgkmcnt(0)
	s_mov_b32 s34, s21
.LBB47_11:
	s_load_dwordx2 s[0:1], s[4:5], 0x0
	v_and_b32_e32 v11, 15, v0
	v_lshrrev_b32_e32 v2, 4, v0
	v_lshlrev_b32_e32 v0, 3, v11
	v_lshl_or_b32 v7, v2, 8, v0
	v_lshlrev_b32_e32 v0, 7, v2
	v_lshlrev_b32_e32 v1, 2, v11
	s_movk_i32 s4, 0x1000
	v_or_b32_e32 v6, -16, v11
	v_or3_b32 v8, v0, v1, s4
	v_mov_b32_e32 v0, 0
	s_mov_b64 s[4:5], 0
	s_waitcnt lgkmcnt(0)
	v_mov_b32_e32 v3, s1
	v_mov_b32_e32 v1, v0
	;; [unrolled: 1-line block ×5, first 2 shown]
.LBB47_12:                              ; =>This Inner Loop Header: Depth=1
	v_add_co_u32_e32 v9, vcc, 16, v9
	s_xor_b64 s[20:21], vcc, -1
	s_and_b64 s[20:21], exec, s[20:21]
	ds_write_b32 v4, v3
	ds_write_b64 v5, v[0:1]
	v_add_u32_e32 v5, 0x80, v5
	s_or_b64 s[4:5], s[20:21], s[4:5]
	v_add_u32_e32 v4, 64, v4
	s_andn2_b64 exec, exec, s[4:5]
	s_cbranch_execnz .LBB47_12
; %bb.13:
	s_or_b64 exec, exec, s[4:5]
	s_lshl_b32 s4, s6, 4
	s_and_b32 s4, s4, 0xffffff0
	v_or_b32_e32 v0, s4, v2
	v_cmp_gt_i32_e32 vcc, s0, v0
	s_waitcnt lgkmcnt(0)
	s_and_saveexec_b64 s[4:5], vcc
	s_cbranch_execz .LBB47_57
; %bb.14:
	s_cmp_eq_u64 s[42:43], 0
	s_cbranch_scc1 .LBB47_16
; %bb.15:
	s_load_dword s0, s[40:41], 0x0
	v_mov_b32_e32 v3, s43
	s_waitcnt lgkmcnt(0)
	v_add_u32_e32 v0, s0, v0
	v_ashrrev_i32_e32 v1, 31, v0
	v_lshlrev_b64 v[0:1], 2, v[0:1]
	v_add_co_u32_e32 v0, vcc, s42, v0
	v_addc_co_u32_e32 v1, vcc, v3, v1, vcc
	global_load_dword v0, v[0:1], off
.LBB47_16:
	v_mov_b32_e32 v1, 0x1000
	v_lshl_or_b32 v9, v2, 7, v1
	s_waitcnt vmcnt(0)
	v_ashrrev_i32_e32 v1, 31, v0
	v_lshlrev_b32_e32 v10, 8, v2
	s_andn2_b64 vcc, exec, s[46:47]
	v_lshlrev_b64 v[0:1], 2, v[0:1]
	s_cbranch_vccnz .LBB47_36
; %bb.17:
	v_mov_b32_e32 v3, s25
	v_add_co_u32_e32 v2, vcc, s24, v0
	v_addc_co_u32_e32 v3, vcc, v3, v1, vcc
	global_load_dwordx2 v[2:3], v[2:3], off
	v_subrev_u32_e32 v4, s36, v11
	s_waitcnt vmcnt(0)
	v_subrev_u32_e32 v12, s36, v3
	v_add_u32_e32 v2, v2, v4
	v_cmp_lt_i32_e32 vcc, v2, v12
	s_and_saveexec_b64 s[4:5], vcc
	s_cbranch_execz .LBB47_35
; %bb.18:
	s_mov_b64 s[6:7], 0
	v_mov_b32_e32 v13, s27
	v_mov_b32_e32 v14, s31
	s_branch .LBB47_20
.LBB47_19:                              ;   in Loop: Header=BB47_20 Depth=1
	s_or_b64 exec, exec, s[20:21]
	v_add_u32_e32 v2, 16, v2
	v_cmp_ge_i32_e32 vcc, v2, v12
	s_or_b64 s[6:7], vcc, s[6:7]
	s_andn2_b64 exec, exec, s[6:7]
	s_cbranch_execz .LBB47_35
.LBB47_20:                              ; =>This Loop Header: Depth=1
                                        ;     Child Loop BB47_23 Depth 2
                                        ;       Child Loop BB47_25 Depth 3
	v_ashrrev_i32_e32 v3, 31, v2
	v_lshlrev_b64 v[4:5], 2, v[2:3]
	v_add_co_u32_e32 v4, vcc, s26, v4
	v_addc_co_u32_e32 v5, vcc, v13, v5, vcc
	global_load_dword v4, v[4:5], off
	s_waitcnt vmcnt(0)
	v_subrev_u32_e32 v4, s36, v4
	v_ashrrev_i32_e32 v5, 31, v4
	v_lshlrev_b64 v[4:5], 2, v[4:5]
	v_add_co_u32_e32 v4, vcc, s30, v4
	v_addc_co_u32_e32 v5, vcc, v14, v5, vcc
	global_load_dwordx2 v[4:5], v[4:5], off
	s_waitcnt vmcnt(0)
	v_cmp_lt_i32_e32 vcc, v4, v5
	s_and_saveexec_b64 s[20:21], vcc
	s_cbranch_execz .LBB47_19
; %bb.21:                               ;   in Loop: Header=BB47_20 Depth=1
	v_lshlrev_b64 v[16:17], 3, v[2:3]
	v_mov_b32_e32 v3, s29
	v_add_co_u32_e32 v16, vcc, s28, v16
	v_addc_co_u32_e32 v17, vcc, v3, v17, vcc
	global_load_dwordx2 v[18:19], v[16:17], off
	v_subrev_u32_e32 v3, s37, v5
	v_subrev_u32_e32 v4, s37, v4
	s_mov_b64 s[24:25], 0
	s_waitcnt vmcnt(0)
	v_mul_f32_e64 v15, v19, -s35
	v_mul_f32_e32 v16, s54, v19
	v_fmac_f32_e32 v15, s54, v18
	v_fmac_f32_e32 v16, s35, v18
	s_branch .LBB47_23
.LBB47_22:                              ;   in Loop: Header=BB47_23 Depth=2
	s_or_b64 exec, exec, s[40:41]
	v_add_u32_e32 v4, 1, v4
	v_cmp_ge_i32_e32 vcc, v4, v3
	s_or_b64 s[24:25], vcc, s[24:25]
	s_andn2_b64 exec, exec, s[24:25]
	s_cbranch_execz .LBB47_19
.LBB47_23:                              ;   Parent Loop BB47_20 Depth=1
                                        ; =>  This Loop Header: Depth=2
                                        ;       Child Loop BB47_25 Depth 3
	v_ashrrev_i32_e32 v5, 31, v4
	v_lshlrev_b64 v[18:19], 2, v[4:5]
	v_mov_b32_e32 v17, s17
	v_add_co_u32_e32 v18, vcc, s16, v18
	v_addc_co_u32_e32 v19, vcc, v17, v19, vcc
	global_load_dword v17, v[18:19], off
	v_lshlrev_b64 v[18:19], 3, v[4:5]
	v_mov_b32_e32 v5, s19
	v_add_co_u32_e32 v18, vcc, s18, v18
	v_addc_co_u32_e32 v19, vcc, v5, v19, vcc
	global_load_dwordx2 v[20:21], v[18:19], off
	s_mov_b64 s[40:41], 0
	s_waitcnt vmcnt(1)
	v_subrev_u32_e32 v5, s37, v17
	v_lshl_add_u32 v19, v5, 3, v5
	v_and_b32_e32 v19, 31, v19
	s_waitcnt vmcnt(0)
	v_mul_f32_e64 v17, v21, -v16
	v_mul_f32_e32 v18, v15, v21
	v_fmac_f32_e32 v17, v15, v20
	v_fmac_f32_e32 v18, v16, v20
	s_branch .LBB47_25
.LBB47_24:                              ;   in Loop: Header=BB47_25 Depth=3
	s_or_b64 exec, exec, s[42:43]
	s_xor_b64 s[42:43], s[46:47], -1
	s_and_b64 s[42:43], exec, s[42:43]
	s_or_b64 s[40:41], s[42:43], s[40:41]
	s_andn2_b64 exec, exec, s[40:41]
	s_cbranch_execz .LBB47_22
.LBB47_25:                              ;   Parent Loop BB47_20 Depth=1
                                        ;     Parent Loop BB47_23 Depth=2
                                        ; =>    This Inner Loop Header: Depth=3
	v_lshl_add_u32 v20, v19, 2, v9
	ds_read_b32 v21, v20
                                        ; implicit-def: $sgpr46_sgpr47
	s_waitcnt lgkmcnt(0)
	v_cmp_ne_u32_e32 vcc, v21, v5
	s_and_saveexec_b64 s[42:43], vcc
	s_xor_b64 s[42:43], exec, s[42:43]
	s_cbranch_execz .LBB47_33
; %bb.26:                               ;   in Loop: Header=BB47_25 Depth=3
	v_cmp_ne_u32_e32 vcc, s1, v21
                                        ; implicit-def: $sgpr46_sgpr47
	s_and_saveexec_b64 s[48:49], vcc
	s_xor_b64 s[48:49], exec, s[48:49]
; %bb.27:                               ;   in Loop: Header=BB47_25 Depth=3
	v_add_u32_e32 v19, 1, v19
	v_and_b32_e32 v19, 31, v19
	s_mov_b64 s[46:47], -1
                                        ; implicit-def: $vgpr20
; %bb.28:                               ;   in Loop: Header=BB47_25 Depth=3
	s_andn2_saveexec_b64 s[48:49], s[48:49]
	s_cbranch_execz .LBB47_32
; %bb.29:                               ;   in Loop: Header=BB47_25 Depth=3
	v_mov_b32_e32 v21, s1
	ds_cmpst_rtn_b32 v20, v20, v21, v5
	s_mov_b64 s[50:51], -1
	s_waitcnt lgkmcnt(0)
	v_cmp_eq_u32_e32 vcc, s1, v20
	s_and_saveexec_b64 s[52:53], vcc
	s_cbranch_execz .LBB47_31
; %bb.30:                               ;   in Loop: Header=BB47_25 Depth=3
	v_lshl_add_u32 v20, v19, 3, v10
	ds_add_f32 v20, v17
	ds_add_f32 v20, v18 offset:4
	s_xor_b64 s[50:51], exec, -1
.LBB47_31:                              ;   in Loop: Header=BB47_25 Depth=3
	s_or_b64 exec, exec, s[52:53]
	s_andn2_b64 s[46:47], s[46:47], exec
	s_and_b64 s[50:51], s[50:51], exec
	s_or_b64 s[46:47], s[46:47], s[50:51]
.LBB47_32:                              ;   in Loop: Header=BB47_25 Depth=3
	s_or_b64 exec, exec, s[48:49]
	s_and_b64 s[46:47], s[46:47], exec
.LBB47_33:                              ;   in Loop: Header=BB47_25 Depth=3
	s_andn2_saveexec_b64 s[42:43], s[42:43]
	s_cbranch_execz .LBB47_24
; %bb.34:                               ;   in Loop: Header=BB47_25 Depth=3
	v_lshl_add_u32 v20, v19, 3, v10
	ds_add_f32 v20, v17
	ds_add_f32 v20, v18 offset:4
	s_andn2_b64 s[46:47], s[46:47], exec
	s_branch .LBB47_24
.LBB47_35:
	s_or_b64 exec, exec, s[4:5]
.LBB47_36:
	s_andn2_b64 vcc, exec, s[44:45]
	s_cbranch_vccnz .LBB47_53
; %bb.37:
	v_mov_b32_e32 v3, s23
	v_add_co_u32_e32 v2, vcc, s22, v0
	v_addc_co_u32_e32 v3, vcc, v3, v1, vcc
	global_load_dwordx2 v[2:3], v[2:3], off
	v_subrev_u32_e32 v5, s39, v11
	s_waitcnt vmcnt(0)
	v_subrev_u32_e32 v4, s39, v3
	v_add_u32_e32 v2, v2, v5
	v_cmp_lt_i32_e32 vcc, v2, v4
	s_and_saveexec_b64 s[4:5], vcc
	s_cbranch_execz .LBB47_52
; %bb.38:
	s_mov_b64 s[6:7], 0
	v_mov_b32_e32 v5, s9
	v_mov_b32_e32 v11, s11
	s_branch .LBB47_40
.LBB47_39:                              ;   in Loop: Header=BB47_40 Depth=1
	s_or_b64 exec, exec, s[16:17]
	v_add_u32_e32 v2, 16, v2
	v_cmp_ge_i32_e32 vcc, v2, v4
	s_or_b64 s[6:7], vcc, s[6:7]
	s_andn2_b64 exec, exec, s[6:7]
	s_cbranch_execz .LBB47_52
.LBB47_40:                              ; =>This Loop Header: Depth=1
                                        ;     Child Loop BB47_42 Depth 2
	v_ashrrev_i32_e32 v3, 31, v2
	v_lshlrev_b64 v[12:13], 2, v[2:3]
	v_add_co_u32_e32 v12, vcc, s8, v12
	v_addc_co_u32_e32 v13, vcc, v5, v13, vcc
	global_load_dword v16, v[12:13], off
	v_lshlrev_b64 v[12:13], 3, v[2:3]
	v_add_co_u32_e32 v12, vcc, s10, v12
	v_addc_co_u32_e32 v13, vcc, v11, v13, vcc
	global_load_dwordx2 v[14:15], v[12:13], off
	s_mov_b64 s[16:17], 0
	s_waitcnt vmcnt(1)
	v_subrev_u32_e32 v3, s39, v16
	s_waitcnt vmcnt(0)
	v_mul_f32_e64 v12, v15, -s34
	v_mul_f32_e32 v13, s33, v15
	v_fmac_f32_e32 v12, s33, v14
	v_fmac_f32_e32 v13, s34, v14
	v_lshl_add_u32 v14, v3, 3, v3
	v_and_b32_e32 v14, 31, v14
	s_branch .LBB47_42
.LBB47_41:                              ;   in Loop: Header=BB47_42 Depth=2
	s_or_b64 exec, exec, s[18:19]
	s_xor_b64 s[18:19], s[20:21], -1
	s_and_b64 s[18:19], exec, s[18:19]
	s_or_b64 s[16:17], s[18:19], s[16:17]
	s_andn2_b64 exec, exec, s[16:17]
	s_cbranch_execz .LBB47_39
.LBB47_42:                              ;   Parent Loop BB47_40 Depth=1
                                        ; =>  This Inner Loop Header: Depth=2
	v_lshl_add_u32 v15, v14, 2, v9
	ds_read_b32 v16, v15
                                        ; implicit-def: $sgpr20_sgpr21
	s_waitcnt lgkmcnt(0)
	v_cmp_ne_u32_e32 vcc, v16, v3
	s_and_saveexec_b64 s[18:19], vcc
	s_xor_b64 s[18:19], exec, s[18:19]
	s_cbranch_execz .LBB47_50
; %bb.43:                               ;   in Loop: Header=BB47_42 Depth=2
	v_cmp_ne_u32_e32 vcc, s1, v16
                                        ; implicit-def: $sgpr20_sgpr21
	s_and_saveexec_b64 s[22:23], vcc
	s_xor_b64 s[22:23], exec, s[22:23]
; %bb.44:                               ;   in Loop: Header=BB47_42 Depth=2
	v_add_u32_e32 v14, 1, v14
	v_and_b32_e32 v14, 31, v14
	s_mov_b64 s[20:21], -1
                                        ; implicit-def: $vgpr15
; %bb.45:                               ;   in Loop: Header=BB47_42 Depth=2
	s_andn2_saveexec_b64 s[22:23], s[22:23]
	s_cbranch_execz .LBB47_49
; %bb.46:                               ;   in Loop: Header=BB47_42 Depth=2
	v_mov_b32_e32 v16, s1
	ds_cmpst_rtn_b32 v15, v15, v16, v3
	s_mov_b64 s[24:25], -1
	s_waitcnt lgkmcnt(0)
	v_cmp_eq_u32_e32 vcc, s1, v15
	s_and_saveexec_b64 s[26:27], vcc
	s_cbranch_execz .LBB47_48
; %bb.47:                               ;   in Loop: Header=BB47_42 Depth=2
	v_lshl_add_u32 v15, v14, 3, v10
	ds_add_f32 v15, v12
	ds_add_f32 v15, v13 offset:4
	s_xor_b64 s[24:25], exec, -1
.LBB47_48:                              ;   in Loop: Header=BB47_42 Depth=2
	s_or_b64 exec, exec, s[26:27]
	s_andn2_b64 s[20:21], s[20:21], exec
	s_and_b64 s[24:25], s[24:25], exec
	s_or_b64 s[20:21], s[20:21], s[24:25]
.LBB47_49:                              ;   in Loop: Header=BB47_42 Depth=2
	s_or_b64 exec, exec, s[22:23]
	s_and_b64 s[20:21], s[20:21], exec
.LBB47_50:                              ;   in Loop: Header=BB47_42 Depth=2
	s_andn2_saveexec_b64 s[18:19], s[18:19]
	s_cbranch_execz .LBB47_41
; %bb.51:                               ;   in Loop: Header=BB47_42 Depth=2
	v_lshl_add_u32 v15, v14, 3, v10
	ds_add_f32 v15, v12
	ds_add_f32 v15, v13 offset:4
	s_andn2_b64 s[20:21], s[20:21], exec
	s_branch .LBB47_41
.LBB47_52:
	s_or_b64 exec, exec, s[4:5]
.LBB47_53:
	v_mov_b32_e32 v2, s13
	v_add_co_u32_e32 v0, vcc, s12, v0
	v_addc_co_u32_e32 v1, vcc, v2, v1, vcc
	s_waitcnt lgkmcnt(0)
	global_load_dword v0, v[0:1], off
	s_mov_b64 s[4:5], 0
	s_waitcnt vmcnt(0)
	v_subrev_u32_e32 v0, s38, v0
	s_branch .LBB47_55
.LBB47_54:                              ;   in Loop: Header=BB47_55 Depth=1
	s_or_b64 exec, exec, s[6:7]
	v_add_co_u32_e32 v6, vcc, 16, v6
	s_xor_b64 s[6:7], vcc, -1
	s_and_b64 s[6:7], exec, s[6:7]
	v_add_u32_e32 v7, 0x80, v7
	s_or_b64 s[4:5], s[6:7], s[4:5]
	v_add_u32_e32 v8, 64, v8
	s_andn2_b64 exec, exec, s[4:5]
	s_cbranch_execz .LBB47_57
.LBB47_55:                              ; =>This Inner Loop Header: Depth=1
	ds_read_b32 v1, v8
	s_waitcnt lgkmcnt(0)
	v_cmp_gt_i32_e32 vcc, s1, v1
	s_and_saveexec_b64 s[6:7], vcc
	s_cbranch_execz .LBB47_54
; %bb.56:                               ;   in Loop: Header=BB47_55 Depth=1
	ds_read_b128 v[2:5], v9
	ds_read_b128 v[10:13], v9 offset:16
	ds_read_b128 v[14:17], v9 offset:32
	;; [unrolled: 1-line block ×3, first 2 shown]
	s_waitcnt lgkmcnt(3)
	v_cmp_gt_i32_e32 vcc, v1, v2
	v_cndmask_b32_e64 v2, 0, 1, vcc
	v_cmp_gt_i32_e32 vcc, v1, v3
	v_addc_co_u32_e32 v2, vcc, v0, v2, vcc
	v_cmp_gt_i32_e32 vcc, v1, v4
	v_cndmask_b32_e64 v3, 0, 1, vcc
	v_cmp_gt_i32_e32 vcc, v1, v5
	v_addc_co_u32_e32 v2, vcc, v2, v3, vcc
	s_waitcnt lgkmcnt(2)
	v_cmp_gt_i32_e32 vcc, v1, v10
	v_cndmask_b32_e64 v3, 0, 1, vcc
	v_cmp_gt_i32_e32 vcc, v1, v11
	v_addc_co_u32_e32 v2, vcc, v2, v3, vcc
	v_cmp_gt_i32_e32 vcc, v1, v12
	v_cndmask_b32_e64 v3, 0, 1, vcc
	v_cmp_gt_i32_e32 vcc, v1, v13
	v_addc_co_u32_e32 v2, vcc, v2, v3, vcc
	;; [unrolled: 9-line block ×3, first 2 shown]
	s_waitcnt lgkmcnt(0)
	v_cmp_gt_i32_e32 vcc, v1, v18
	v_cndmask_b32_e64 v3, 0, 1, vcc
	v_cmp_gt_i32_e32 vcc, v1, v19
	v_addc_co_u32_e32 v10, vcc, v2, v3, vcc
	ds_read_b128 v[2:5], v9 offset:64
	v_cmp_gt_i32_e32 vcc, v1, v20
	v_cndmask_b32_e64 v11, 0, 1, vcc
	v_cmp_gt_i32_e32 vcc, v1, v21
	v_addc_co_u32_e32 v14, vcc, v10, v11, vcc
	ds_read_b128 v[10:13], v9 offset:80
	s_waitcnt lgkmcnt(1)
	v_cmp_gt_i32_e32 vcc, v1, v2
	v_cndmask_b32_e64 v2, 0, 1, vcc
	v_cmp_gt_i32_e32 vcc, v1, v3
	v_addc_co_u32_e32 v2, vcc, v14, v2, vcc
	v_cmp_gt_i32_e32 vcc, v1, v4
	v_cndmask_b32_e64 v3, 0, 1, vcc
	v_cmp_gt_i32_e32 vcc, v1, v5
	v_addc_co_u32_e32 v2, vcc, v2, v3, vcc
	s_waitcnt lgkmcnt(0)
	v_cmp_gt_i32_e32 vcc, v1, v10
	v_cndmask_b32_e64 v3, 0, 1, vcc
	v_cmp_gt_i32_e32 vcc, v1, v11
	v_addc_co_u32_e32 v10, vcc, v2, v3, vcc
	ds_read_b128 v[2:5], v9 offset:96
	v_cmp_gt_i32_e32 vcc, v1, v12
	v_cndmask_b32_e64 v11, 0, 1, vcc
	v_cmp_gt_i32_e32 vcc, v1, v13
	v_addc_co_u32_e32 v14, vcc, v10, v11, vcc
	ds_read_b128 v[10:13], v9 offset:112
	s_waitcnt lgkmcnt(1)
	v_cmp_gt_i32_e32 vcc, v1, v2
	v_cndmask_b32_e64 v2, 0, 1, vcc
	v_cmp_gt_i32_e32 vcc, v1, v3
	v_addc_co_u32_e32 v2, vcc, v14, v2, vcc
	v_cmp_gt_i32_e32 vcc, v1, v4
	v_cndmask_b32_e64 v3, 0, 1, vcc
	v_cmp_gt_i32_e32 vcc, v1, v5
	v_addc_co_u32_e32 v2, vcc, v2, v3, vcc
	s_waitcnt lgkmcnt(0)
	v_cmp_gt_i32_e32 vcc, v1, v10
	v_cndmask_b32_e64 v3, 0, 1, vcc
	v_cmp_gt_i32_e32 vcc, v1, v11
	v_addc_co_u32_e32 v2, vcc, v2, v3, vcc
	v_cmp_gt_i32_e32 vcc, v1, v12
	v_cndmask_b32_e64 v3, 0, 1, vcc
	v_cmp_gt_i32_e32 vcc, v1, v13
	v_addc_co_u32_e32 v2, vcc, v2, v3, vcc
	v_ashrrev_i32_e32 v3, 31, v2
	v_lshlrev_b64 v[4:5], 2, v[2:3]
	v_mov_b32_e32 v10, s15
	v_add_co_u32_e32 v4, vcc, s14, v4
	v_add_u32_e32 v1, s38, v1
	v_addc_co_u32_e32 v5, vcc, v10, v5, vcc
	global_store_dword v[4:5], v1, off
	ds_read_b64 v[4:5], v7
	v_lshlrev_b64 v[2:3], 3, v[2:3]
	v_mov_b32_e32 v1, s3
	v_add_co_u32_e32 v2, vcc, s2, v2
	v_addc_co_u32_e32 v3, vcc, v1, v3, vcc
	s_waitcnt lgkmcnt(0)
	global_store_dwordx2 v[2:3], v[4:5], off
	s_branch .LBB47_54
.LBB47_57:
	s_endpgm
	.section	.rodata,"a",@progbits
	.p2align	6, 0x0
	.amdhsa_kernel _ZN9rocsparseL23csrgemm_fill_wf_per_rowILj256ELj16ELj32ELj137Eii21rocsparse_complex_numIfEEEvT4_S3_PKS3_S5_NS_24const_host_device_scalarIT5_EEPKT3_S5_PKS7_SB_S5_SD_S8_SB_S5_SD_SB_PS3_PS7_21rocsparse_index_base_SG_SG_SG_bbb
		.amdhsa_group_segment_fixed_size 6144
		.amdhsa_private_segment_fixed_size 0
		.amdhsa_kernarg_size 156
		.amdhsa_user_sgpr_count 6
		.amdhsa_user_sgpr_private_segment_buffer 1
		.amdhsa_user_sgpr_dispatch_ptr 0
		.amdhsa_user_sgpr_queue_ptr 0
		.amdhsa_user_sgpr_kernarg_segment_ptr 1
		.amdhsa_user_sgpr_dispatch_id 0
		.amdhsa_user_sgpr_flat_scratch_init 0
		.amdhsa_user_sgpr_kernarg_preload_length 0
		.amdhsa_user_sgpr_kernarg_preload_offset 0
		.amdhsa_user_sgpr_private_segment_size 0
		.amdhsa_uses_dynamic_stack 0
		.amdhsa_system_sgpr_private_segment_wavefront_offset 0
		.amdhsa_system_sgpr_workgroup_id_x 1
		.amdhsa_system_sgpr_workgroup_id_y 0
		.amdhsa_system_sgpr_workgroup_id_z 0
		.amdhsa_system_sgpr_workgroup_info 0
		.amdhsa_system_vgpr_workitem_id 0
		.amdhsa_next_free_vgpr 22
		.amdhsa_next_free_sgpr 55
		.amdhsa_accum_offset 24
		.amdhsa_reserve_vcc 1
		.amdhsa_reserve_flat_scratch 0
		.amdhsa_float_round_mode_32 0
		.amdhsa_float_round_mode_16_64 0
		.amdhsa_float_denorm_mode_32 3
		.amdhsa_float_denorm_mode_16_64 3
		.amdhsa_dx10_clamp 1
		.amdhsa_ieee_mode 1
		.amdhsa_fp16_overflow 0
		.amdhsa_tg_split 0
		.amdhsa_exception_fp_ieee_invalid_op 0
		.amdhsa_exception_fp_denorm_src 0
		.amdhsa_exception_fp_ieee_div_zero 0
		.amdhsa_exception_fp_ieee_overflow 0
		.amdhsa_exception_fp_ieee_underflow 0
		.amdhsa_exception_fp_ieee_inexact 0
		.amdhsa_exception_int_div_zero 0
	.end_amdhsa_kernel
	.section	.text._ZN9rocsparseL23csrgemm_fill_wf_per_rowILj256ELj16ELj32ELj137Eii21rocsparse_complex_numIfEEEvT4_S3_PKS3_S5_NS_24const_host_device_scalarIT5_EEPKT3_S5_PKS7_SB_S5_SD_S8_SB_S5_SD_SB_PS3_PS7_21rocsparse_index_base_SG_SG_SG_bbb,"axG",@progbits,_ZN9rocsparseL23csrgemm_fill_wf_per_rowILj256ELj16ELj32ELj137Eii21rocsparse_complex_numIfEEEvT4_S3_PKS3_S5_NS_24const_host_device_scalarIT5_EEPKT3_S5_PKS7_SB_S5_SD_S8_SB_S5_SD_SB_PS3_PS7_21rocsparse_index_base_SG_SG_SG_bbb,comdat
.Lfunc_end47:
	.size	_ZN9rocsparseL23csrgemm_fill_wf_per_rowILj256ELj16ELj32ELj137Eii21rocsparse_complex_numIfEEEvT4_S3_PKS3_S5_NS_24const_host_device_scalarIT5_EEPKT3_S5_PKS7_SB_S5_SD_S8_SB_S5_SD_SB_PS3_PS7_21rocsparse_index_base_SG_SG_SG_bbb, .Lfunc_end47-_ZN9rocsparseL23csrgemm_fill_wf_per_rowILj256ELj16ELj32ELj137Eii21rocsparse_complex_numIfEEEvT4_S3_PKS3_S5_NS_24const_host_device_scalarIT5_EEPKT3_S5_PKS7_SB_S5_SD_S8_SB_S5_SD_SB_PS3_PS7_21rocsparse_index_base_SG_SG_SG_bbb
                                        ; -- End function
	.section	.AMDGPU.csdata,"",@progbits
; Kernel info:
; codeLenInByte = 2124
; NumSgprs: 59
; NumVgprs: 22
; NumAgprs: 0
; TotalNumVgprs: 22
; ScratchSize: 0
; MemoryBound: 0
; FloatMode: 240
; IeeeMode: 1
; LDSByteSize: 6144 bytes/workgroup (compile time only)
; SGPRBlocks: 7
; VGPRBlocks: 2
; NumSGPRsForWavesPerEU: 59
; NumVGPRsForWavesPerEU: 22
; AccumOffset: 24
; Occupancy: 8
; WaveLimiterHint : 1
; COMPUTE_PGM_RSRC2:SCRATCH_EN: 0
; COMPUTE_PGM_RSRC2:USER_SGPR: 6
; COMPUTE_PGM_RSRC2:TRAP_HANDLER: 0
; COMPUTE_PGM_RSRC2:TGID_X_EN: 1
; COMPUTE_PGM_RSRC2:TGID_Y_EN: 0
; COMPUTE_PGM_RSRC2:TGID_Z_EN: 0
; COMPUTE_PGM_RSRC2:TIDIG_COMP_CNT: 0
; COMPUTE_PGM_RSRC3_GFX90A:ACCUM_OFFSET: 5
; COMPUTE_PGM_RSRC3_GFX90A:TG_SPLIT: 0
	.section	.text._ZN9rocsparseL26csrgemm_fill_block_per_rowILj128ELj16ELj256ELj137ELj32Eii21rocsparse_complex_numIfEEEvT5_PKS3_S5_NS_24const_host_device_scalarIT6_EEPKT4_S5_PKS7_SB_S5_SD_S8_SB_S5_SD_SB_PS3_PS7_21rocsparse_index_base_SG_SG_SG_bbb,"axG",@progbits,_ZN9rocsparseL26csrgemm_fill_block_per_rowILj128ELj16ELj256ELj137ELj32Eii21rocsparse_complex_numIfEEEvT5_PKS3_S5_NS_24const_host_device_scalarIT6_EEPKT4_S5_PKS7_SB_S5_SD_S8_SB_S5_SD_SB_PS3_PS7_21rocsparse_index_base_SG_SG_SG_bbb,comdat
	.globl	_ZN9rocsparseL26csrgemm_fill_block_per_rowILj128ELj16ELj256ELj137ELj32Eii21rocsparse_complex_numIfEEEvT5_PKS3_S5_NS_24const_host_device_scalarIT6_EEPKT4_S5_PKS7_SB_S5_SD_S8_SB_S5_SD_SB_PS3_PS7_21rocsparse_index_base_SG_SG_SG_bbb ; -- Begin function _ZN9rocsparseL26csrgemm_fill_block_per_rowILj128ELj16ELj256ELj137ELj32Eii21rocsparse_complex_numIfEEEvT5_PKS3_S5_NS_24const_host_device_scalarIT6_EEPKT4_S5_PKS7_SB_S5_SD_S8_SB_S5_SD_SB_PS3_PS7_21rocsparse_index_base_SG_SG_SG_bbb
	.p2align	8
	.type	_ZN9rocsparseL26csrgemm_fill_block_per_rowILj128ELj16ELj256ELj137ELj32Eii21rocsparse_complex_numIfEEEvT5_PKS3_S5_NS_24const_host_device_scalarIT6_EEPKT4_S5_PKS7_SB_S5_SD_S8_SB_S5_SD_SB_PS3_PS7_21rocsparse_index_base_SG_SG_SG_bbb,@function
_ZN9rocsparseL26csrgemm_fill_block_per_rowILj128ELj16ELj256ELj137ELj32Eii21rocsparse_complex_numIfEEEvT5_PKS3_S5_NS_24const_host_device_scalarIT6_EEPKT4_S5_PKS7_SB_S5_SD_S8_SB_S5_SD_SB_PS3_PS7_21rocsparse_index_base_SG_SG_SG_bbb: ; @_ZN9rocsparseL26csrgemm_fill_block_per_rowILj128ELj16ELj256ELj137ELj32Eii21rocsparse_complex_numIfEEEvT5_PKS3_S5_NS_24const_host_device_scalarIT6_EEPKT4_S5_PKS7_SB_S5_SD_S8_SB_S5_SD_SB_PS3_PS7_21rocsparse_index_base_SG_SG_SG_bbb
; %bb.0:
	s_load_dwordx8 s[8:15], s[4:5], 0x60
	s_load_dwordx8 s[16:23], s[4:5], 0x40
	s_load_dword s7, s[4:5], 0x98
	s_load_dwordx4 s[40:43], s[4:5], 0x8
	s_load_dwordx8 s[24:31], s[4:5], 0x20
	s_load_dwordx2 s[34:35], s[4:5], 0x80
	s_load_dwordx4 s[36:39], s[4:5], 0x88
	s_waitcnt lgkmcnt(0)
	s_bitcmp1_b32 s7, 0
	s_cselect_b64 s[46:47], -1, 0
	s_bitcmp1_b32 s7, 16
	s_cselect_b64 s[0:1], -1, 0
	s_xor_b64 s[0:1], s[0:1], -1
	v_cndmask_b32_e64 v1, 0, 1, s[0:1]
	s_mov_b32 s3, 0
	s_bitcmp0_b32 s7, 0
	v_cmp_ne_u32_e64 s[0:1], 1, v1
	s_mov_b32 s58, 0
	s_cbranch_scc1 .LBB48_5
; %bb.1:
	s_load_dwordx2 s[2:3], s[4:5], 0x18
	s_and_b64 vcc, exec, s[0:1]
	s_waitcnt lgkmcnt(0)
	s_mov_b32 s58, s2
	s_cbranch_vccnz .LBB48_3
; %bb.2:
	s_load_dword s58, s[2:3], 0x0
.LBB48_3:
	s_and_b64 vcc, exec, s[0:1]
	s_cbranch_vccnz .LBB48_5
; %bb.4:
	s_load_dword s3, s[2:3], 0x4
.LBB48_5:
	s_bitcmp1_b32 s7, 8
	s_cselect_b64 s[44:45], -1, 0
	s_bfe_u32 s2, s7, 0x10008
	s_mov_b32 s57, 0
	s_cmp_eq_u32 s2, 0
	s_mov_b32 s56, 0
	s_cbranch_scc1 .LBB48_11
; %bb.6:
	s_and_b64 vcc, exec, s[0:1]
	s_mov_b32 s56, s20
	s_cbranch_vccnz .LBB48_8
; %bb.7:
	s_load_dword s56, s[20:21], 0x0
.LBB48_8:
	s_and_b64 vcc, exec, s[0:1]
	s_cbranch_vccnz .LBB48_10
; %bb.9:
	s_load_dword s21, s[20:21], 0x4
.LBB48_10:
	s_waitcnt lgkmcnt(0)
	s_mov_b32 s57, s21
.LBB48_11:
	s_load_dword s33, s[4:5], 0x0
	s_movk_i32 s0, 0x100
	v_cmp_gt_u32_e64 s[0:1], s0, v0
	v_lshl_add_u32 v6, v0, 3, 0
	v_lshl_add_u32 v1, v0, 2, 0
	s_and_saveexec_b64 s[4:5], s[0:1]
	s_cbranch_execz .LBB48_14
; %bb.12:
	v_add_u32_e32 v2, 0x400, v6
	v_or_b32_e32 v3, 0xffffff80, v0
	v_lshl_add_u32 v4, v0, 2, 0
	s_mov_b64 s[20:21], 0
	s_waitcnt lgkmcnt(0)
	v_mov_b32_e32 v5, s33
	v_mov_b32_e32 v7, 0
.LBB48_13:                              ; =>This Inner Loop Header: Depth=1
	v_add_co_u32_e32 v3, vcc, 0x80, v3
	s_xor_b64 s[48:49], vcc, -1
	s_and_b64 s[48:49], exec, s[48:49]
	ds_write_b32 v4, v5
	ds_write2_b32 v2, v7, v7 offset1:1
	v_add_u32_e32 v2, 0x400, v2
	s_or_b64 s[20:21], s[48:49], s[20:21]
	v_add_u32_e32 v4, 0x200, v4
	s_andn2_b64 exec, exec, s[20:21]
	s_cbranch_execnz .LBB48_13
.LBB48_14:
	s_or_b64 exec, exec, s[4:5]
	s_waitcnt lgkmcnt(0)
	s_barrier
	s_load_dword s2, s[40:41], 0x0
	s_mov_b32 s5, 0
	s_waitcnt lgkmcnt(0)
	s_add_i32 s4, s2, s6
	s_lshl_b64 s[4:5], s[4:5], 2
	s_add_u32 s4, s42, s4
	s_addc_u32 s5, s43, s5
	s_load_dword s20, s[4:5], 0x0
	s_and_b64 vcc, exec, s[46:47]
	s_cbranch_vccz .LBB48_34
; %bb.15:
	s_waitcnt lgkmcnt(0)
	s_ashr_i32 s21, s20, 31
	s_lshl_b64 s[4:5], s[20:21], 2
	s_add_u32 s4, s24, s4
	s_addc_u32 s5, s25, s5
	s_load_dwordx2 s[4:5], s[4:5], 0x0
	v_lshrrev_b32_e32 v2, 4, v0
	v_subrev_u32_e32 v2, s36, v2
	s_waitcnt lgkmcnt(0)
	s_sub_i32 s2, s5, s36
	v_add_u32_e32 v2, s4, v2
	v_cmp_gt_i32_e32 vcc, s2, v2
	s_and_saveexec_b64 s[4:5], vcc
	s_cbranch_execz .LBB48_33
; %bb.16:
	v_and_b32_e32 v3, 15, v0
	v_subrev_u32_e32 v7, s37, v3
	s_mov_b64 s[6:7], 0
	v_mov_b32_e32 v8, s27
	v_mov_b32_e32 v9, s31
	s_movk_i32 s21, 0x89
	s_branch .LBB48_18
.LBB48_17:                              ;   in Loop: Header=BB48_18 Depth=1
	s_or_b64 exec, exec, s[24:25]
	v_add_u32_e32 v2, 8, v2
	v_cmp_le_i32_e32 vcc, s2, v2
	s_or_b64 s[6:7], vcc, s[6:7]
	s_andn2_b64 exec, exec, s[6:7]
	s_cbranch_execz .LBB48_33
.LBB48_18:                              ; =>This Loop Header: Depth=1
                                        ;     Child Loop BB48_21 Depth 2
                                        ;       Child Loop BB48_23 Depth 3
	v_ashrrev_i32_e32 v3, 31, v2
	v_lshlrev_b64 v[4:5], 2, v[2:3]
	v_add_co_u32_e32 v4, vcc, s26, v4
	v_addc_co_u32_e32 v5, vcc, v8, v5, vcc
	global_load_dword v4, v[4:5], off
	s_waitcnt vmcnt(0)
	v_subrev_u32_e32 v4, s36, v4
	v_ashrrev_i32_e32 v5, 31, v4
	v_lshlrev_b64 v[4:5], 2, v[4:5]
	v_add_co_u32_e32 v4, vcc, s30, v4
	v_addc_co_u32_e32 v5, vcc, v9, v5, vcc
	global_load_dwordx2 v[4:5], v[4:5], off
	s_waitcnt vmcnt(0)
	v_subrev_u32_e32 v10, s37, v5
	v_add_u32_e32 v4, v4, v7
	v_cmp_lt_i32_e32 vcc, v4, v10
	s_and_saveexec_b64 s[24:25], vcc
	s_cbranch_execz .LBB48_17
; %bb.19:                               ;   in Loop: Header=BB48_18 Depth=1
	v_lshlrev_b64 v[12:13], 3, v[2:3]
	v_mov_b32_e32 v3, s29
	v_add_co_u32_e32 v12, vcc, s28, v12
	v_addc_co_u32_e32 v13, vcc, v3, v13, vcc
	global_load_dwordx2 v[12:13], v[12:13], off
	s_mov_b64 s[40:41], 0
	s_waitcnt vmcnt(0)
	v_mul_f32_e64 v3, v13, -s3
	v_mul_f32_e32 v11, s58, v13
	v_fmac_f32_e32 v3, s58, v12
	v_fmac_f32_e32 v11, s3, v12
	s_branch .LBB48_21
.LBB48_20:                              ;   in Loop: Header=BB48_21 Depth=2
	s_or_b64 exec, exec, s[42:43]
	v_add_u32_e32 v4, 16, v4
	v_cmp_ge_i32_e32 vcc, v4, v10
	s_or_b64 s[40:41], vcc, s[40:41]
	s_andn2_b64 exec, exec, s[40:41]
	s_cbranch_execz .LBB48_17
.LBB48_21:                              ;   Parent Loop BB48_18 Depth=1
                                        ; =>  This Loop Header: Depth=2
                                        ;       Child Loop BB48_23 Depth 3
	v_ashrrev_i32_e32 v5, 31, v4
	v_lshlrev_b64 v[12:13], 2, v[4:5]
	v_mov_b32_e32 v14, s17
	v_add_co_u32_e32 v12, vcc, s16, v12
	v_addc_co_u32_e32 v13, vcc, v14, v13, vcc
	global_load_dword v16, v[12:13], off
	v_lshlrev_b64 v[12:13], 3, v[4:5]
	v_mov_b32_e32 v5, s19
	v_add_co_u32_e32 v12, vcc, s18, v12
	v_addc_co_u32_e32 v13, vcc, v5, v13, vcc
	global_load_dwordx2 v[14:15], v[12:13], off
	s_mov_b64 s[42:43], 0
	s_waitcnt vmcnt(1)
	v_subrev_u32_e32 v5, s37, v16
	s_waitcnt vmcnt(0)
	v_mul_f32_e64 v12, v15, -v11
	v_mul_f32_e32 v13, v3, v15
	v_fmac_f32_e32 v12, v3, v14
	v_fmac_f32_e32 v13, v11, v14
	v_mul_lo_u32 v14, v5, s21
	v_and_b32_e32 v14, 0xff, v14
	s_branch .LBB48_23
.LBB48_22:                              ;   in Loop: Header=BB48_23 Depth=3
	s_or_b64 exec, exec, s[46:47]
	s_xor_b64 s[46:47], s[48:49], -1
	s_and_b64 s[46:47], exec, s[46:47]
	s_or_b64 s[42:43], s[46:47], s[42:43]
	s_andn2_b64 exec, exec, s[42:43]
	s_cbranch_execz .LBB48_20
.LBB48_23:                              ;   Parent Loop BB48_18 Depth=1
                                        ;     Parent Loop BB48_21 Depth=2
                                        ; =>    This Inner Loop Header: Depth=3
	v_lshl_add_u32 v15, v14, 2, 0
	ds_read_b32 v16, v15
                                        ; implicit-def: $sgpr48_sgpr49
	s_waitcnt lgkmcnt(0)
	v_cmp_ne_u32_e32 vcc, v16, v5
	s_and_saveexec_b64 s[46:47], vcc
	s_xor_b64 s[46:47], exec, s[46:47]
	s_cbranch_execz .LBB48_31
; %bb.24:                               ;   in Loop: Header=BB48_23 Depth=3
	v_cmp_ne_u32_e32 vcc, s33, v16
                                        ; implicit-def: $sgpr48_sgpr49
	s_and_saveexec_b64 s[50:51], vcc
	s_xor_b64 s[50:51], exec, s[50:51]
; %bb.25:                               ;   in Loop: Header=BB48_23 Depth=3
	v_add_u32_e32 v14, 1, v14
	v_and_b32_e32 v14, 0xff, v14
	s_mov_b64 s[48:49], -1
                                        ; implicit-def: $vgpr15
; %bb.26:                               ;   in Loop: Header=BB48_23 Depth=3
	s_andn2_saveexec_b64 s[50:51], s[50:51]
	s_cbranch_execz .LBB48_30
; %bb.27:                               ;   in Loop: Header=BB48_23 Depth=3
	v_mov_b32_e32 v16, s33
	ds_cmpst_rtn_b32 v16, v15, v16, v5
	s_mov_b64 s[52:53], -1
	s_waitcnt lgkmcnt(0)
	v_cmp_eq_u32_e32 vcc, s33, v16
	s_and_saveexec_b64 s[54:55], vcc
	s_cbranch_execz .LBB48_29
; %bb.28:                               ;   in Loop: Header=BB48_23 Depth=3
	v_lshl_add_u32 v15, v14, 2, v15
	ds_add_f32 v15, v12 offset:1024
	ds_add_f32 v15, v13 offset:1028
	s_xor_b64 s[52:53], exec, -1
.LBB48_29:                              ;   in Loop: Header=BB48_23 Depth=3
	s_or_b64 exec, exec, s[54:55]
	s_andn2_b64 s[48:49], s[48:49], exec
	s_and_b64 s[52:53], s[52:53], exec
	s_or_b64 s[48:49], s[48:49], s[52:53]
.LBB48_30:                              ;   in Loop: Header=BB48_23 Depth=3
	s_or_b64 exec, exec, s[50:51]
	s_and_b64 s[48:49], s[48:49], exec
                                        ; implicit-def: $vgpr15
.LBB48_31:                              ;   in Loop: Header=BB48_23 Depth=3
	s_andn2_saveexec_b64 s[46:47], s[46:47]
	s_cbranch_execz .LBB48_22
; %bb.32:                               ;   in Loop: Header=BB48_23 Depth=3
	v_lshl_add_u32 v15, v14, 2, v15
	ds_add_f32 v15, v12 offset:1024
	ds_add_f32 v15, v13 offset:1028
	s_andn2_b64 s[48:49], s[48:49], exec
	s_branch .LBB48_22
.LBB48_33:
	s_or_b64 exec, exec, s[4:5]
.LBB48_34:
	s_andn2_b64 vcc, exec, s[44:45]
	s_cbranch_vccnz .LBB48_51
; %bb.35:
	s_waitcnt lgkmcnt(0)
	s_ashr_i32 s21, s20, 31
	s_lshl_b64 s[2:3], s[20:21], 2
	s_add_u32 s2, s22, s2
	s_addc_u32 s3, s23, s3
	s_load_dwordx2 s[2:3], s[2:3], 0x0
	v_subrev_u32_e32 v2, s39, v0
	s_waitcnt lgkmcnt(0)
	s_sub_i32 s21, s3, s39
	v_add_u32_e32 v2, s2, v2
	v_cmp_gt_i32_e32 vcc, s21, v2
	s_and_saveexec_b64 s[2:3], vcc
	s_cbranch_execz .LBB48_50
; %bb.36:
	s_mov_b64 s[4:5], 0
	v_mov_b32_e32 v4, s9
	v_mov_b32_e32 v5, s11
	s_movk_i32 s9, 0x89
	s_branch .LBB48_38
.LBB48_37:                              ;   in Loop: Header=BB48_38 Depth=1
	s_or_b64 exec, exec, s[6:7]
	v_add_u32_e32 v2, 0x80, v2
	v_cmp_le_i32_e32 vcc, s21, v2
	s_or_b64 s[4:5], vcc, s[4:5]
	s_andn2_b64 exec, exec, s[4:5]
	s_cbranch_execz .LBB48_50
.LBB48_38:                              ; =>This Loop Header: Depth=1
                                        ;     Child Loop BB48_40 Depth 2
	v_ashrrev_i32_e32 v3, 31, v2
	v_lshlrev_b64 v[8:9], 2, v[2:3]
	v_add_co_u32_e32 v8, vcc, s8, v8
	v_addc_co_u32_e32 v9, vcc, v4, v9, vcc
	global_load_dword v7, v[8:9], off
	v_lshlrev_b64 v[8:9], 3, v[2:3]
	v_add_co_u32_e32 v8, vcc, s10, v8
	v_addc_co_u32_e32 v9, vcc, v5, v9, vcc
	global_load_dwordx2 v[10:11], v[8:9], off
	s_mov_b64 s[6:7], 0
	s_waitcnt vmcnt(1)
	v_subrev_u32_e32 v3, s39, v7
	v_mul_lo_u32 v9, v3, s9
	v_and_b32_e32 v9, 0xff, v9
	s_waitcnt vmcnt(0)
	v_mul_f32_e64 v7, v11, -s57
	v_mul_f32_e32 v8, s56, v11
	v_fmac_f32_e32 v7, s56, v10
	v_fmac_f32_e32 v8, s57, v10
	s_branch .LBB48_40
.LBB48_39:                              ;   in Loop: Header=BB48_40 Depth=2
	s_or_b64 exec, exec, s[16:17]
	s_xor_b64 s[16:17], s[18:19], -1
	s_and_b64 s[16:17], exec, s[16:17]
	s_or_b64 s[6:7], s[16:17], s[6:7]
	s_andn2_b64 exec, exec, s[6:7]
	s_cbranch_execz .LBB48_37
.LBB48_40:                              ;   Parent Loop BB48_38 Depth=1
                                        ; =>  This Inner Loop Header: Depth=2
	v_lshl_add_u32 v10, v9, 2, 0
	ds_read_b32 v11, v10
                                        ; implicit-def: $sgpr18_sgpr19
	s_waitcnt lgkmcnt(0)
	v_cmp_ne_u32_e32 vcc, v11, v3
	s_and_saveexec_b64 s[16:17], vcc
	s_xor_b64 s[16:17], exec, s[16:17]
	s_cbranch_execz .LBB48_48
; %bb.41:                               ;   in Loop: Header=BB48_40 Depth=2
	v_cmp_ne_u32_e32 vcc, s33, v11
                                        ; implicit-def: $sgpr18_sgpr19
	s_and_saveexec_b64 s[22:23], vcc
	s_xor_b64 s[22:23], exec, s[22:23]
; %bb.42:                               ;   in Loop: Header=BB48_40 Depth=2
	v_add_u32_e32 v9, 1, v9
	v_and_b32_e32 v9, 0xff, v9
	s_mov_b64 s[18:19], -1
                                        ; implicit-def: $vgpr10
; %bb.43:                               ;   in Loop: Header=BB48_40 Depth=2
	s_andn2_saveexec_b64 s[22:23], s[22:23]
	s_cbranch_execz .LBB48_47
; %bb.44:                               ;   in Loop: Header=BB48_40 Depth=2
	v_mov_b32_e32 v11, s33
	ds_cmpst_rtn_b32 v11, v10, v11, v3
	s_mov_b64 s[24:25], -1
	s_waitcnt lgkmcnt(0)
	v_cmp_eq_u32_e32 vcc, s33, v11
	s_and_saveexec_b64 s[26:27], vcc
	s_cbranch_execz .LBB48_46
; %bb.45:                               ;   in Loop: Header=BB48_40 Depth=2
	v_lshl_add_u32 v10, v9, 2, v10
	ds_add_f32 v10, v7 offset:1024
	ds_add_f32 v10, v8 offset:1028
	s_xor_b64 s[24:25], exec, -1
.LBB48_46:                              ;   in Loop: Header=BB48_40 Depth=2
	s_or_b64 exec, exec, s[26:27]
	s_andn2_b64 s[18:19], s[18:19], exec
	s_and_b64 s[24:25], s[24:25], exec
	s_or_b64 s[18:19], s[18:19], s[24:25]
.LBB48_47:                              ;   in Loop: Header=BB48_40 Depth=2
	s_or_b64 exec, exec, s[22:23]
	s_and_b64 s[18:19], s[18:19], exec
                                        ; implicit-def: $vgpr10
.LBB48_48:                              ;   in Loop: Header=BB48_40 Depth=2
	s_andn2_saveexec_b64 s[16:17], s[16:17]
	s_cbranch_execz .LBB48_39
; %bb.49:                               ;   in Loop: Header=BB48_40 Depth=2
	v_lshl_add_u32 v10, v9, 2, v10
	ds_add_f32 v10, v7 offset:1024
	ds_add_f32 v10, v8 offset:1028
	s_andn2_b64 s[18:19], s[18:19], exec
	s_branch .LBB48_39
.LBB48_50:
	s_or_b64 exec, exec, s[2:3]
.LBB48_51:
	s_waitcnt lgkmcnt(0)
	s_barrier
	s_and_saveexec_b64 s[8:9], s[0:1]
	s_cbranch_execz .LBB48_64
; %bb.52:
	v_mbcnt_lo_u32_b32 v2, -1, 0
	v_mbcnt_hi_u32_b32 v2, -1, v2
	v_lshrrev_b32_e32 v4, 3, v0
	v_sub_u32_e32 v2, 63, v2
	v_and_b32_e32 v4, 12, v4
	s_movk_i32 s0, 0x7f
	s_movk_i32 s6, 0x5f
	v_mov_b32_e32 v7, 0
	v_lshrrev_b64 v[2:3], v2, -1
	v_add_u32_e32 v8, 0, v4
	v_cmp_eq_u32_e64 s[0:1], s0, v0
	v_cmp_lt_u32_e64 s[2:3], 31, v0
	v_cmp_lt_u32_e64 s[4:5], 63, v0
	v_cmp_lt_u32_e64 s[6:7], s6, v0
	v_add_u32_e32 v6, 0x400, v6
	v_or_b32_e32 v9, 0xffffff80, v0
	s_mov_b64 s[10:11], 0
	v_mov_b32_e32 v10, 0
	s_branch .LBB48_54
.LBB48_53:                              ;   in Loop: Header=BB48_54 Depth=1
	s_or_b64 exec, exec, s[16:17]
	s_waitcnt lgkmcnt(0)
	s_barrier
	ds_read_b32 v4, v7 offset:3084
	v_add_co_u32_e32 v9, vcc, 0x80, v9
	s_xor_b64 s[16:17], vcc, -1
	s_and_b64 s[16:17], exec, s[16:17]
	v_add_u32_e32 v6, 0x400, v6
	s_waitcnt lgkmcnt(0)
	v_add_u32_e32 v10, v4, v10
	s_or_b64 s[10:11], s[16:17], s[10:11]
	v_add_u32_e32 v1, 0x200, v1
	s_andn2_b64 exec, exec, s[10:11]
	s_cbranch_execz .LBB48_64
.LBB48_54:                              ; =>This Inner Loop Header: Depth=1
	ds_read_b32 v11, v1
	ds_read2_b32 v[4:5], v6 offset1:1
	s_waitcnt lgkmcnt(0)
	s_barrier
	v_cmp_gt_i32_e32 vcc, s33, v11
	v_and_b32_e32 v13, vcc_lo, v2
	s_bcnt1_i32_b64 s16, vcc
	v_and_b32_e32 v12, vcc_hi, v3
	v_bcnt_u32_b32 v13, v13, 0
	v_bcnt_u32_b32 v12, v12, v13
	v_mov_b32_e32 v13, s16
	ds_write_b32 v8, v13 offset:3072
	s_waitcnt lgkmcnt(0)
	s_barrier
	s_and_saveexec_b64 s[16:17], s[2:3]
	s_cbranch_execnz .LBB48_59
; %bb.55:                               ;   in Loop: Header=BB48_54 Depth=1
	s_or_b64 exec, exec, s[16:17]
	s_and_saveexec_b64 s[16:17], s[4:5]
	s_cbranch_execnz .LBB48_60
.LBB48_56:                              ;   in Loop: Header=BB48_54 Depth=1
	s_or_b64 exec, exec, s[16:17]
	s_and_saveexec_b64 s[16:17], s[6:7]
	s_cbranch_execnz .LBB48_61
.LBB48_57:                              ;   in Loop: Header=BB48_54 Depth=1
	s_or_b64 exec, exec, s[16:17]
	s_and_saveexec_b64 s[16:17], vcc
	s_cbranch_execnz .LBB48_62
.LBB48_58:                              ;   in Loop: Header=BB48_54 Depth=1
	s_or_b64 exec, exec, s[16:17]
	s_and_saveexec_b64 s[16:17], s[0:1]
	s_cbranch_execz .LBB48_53
	s_branch .LBB48_63
.LBB48_59:                              ;   in Loop: Header=BB48_54 Depth=1
	ds_read_b32 v13, v7 offset:3072
	s_waitcnt lgkmcnt(0)
	v_add_u32_e32 v12, v13, v12
	s_or_b64 exec, exec, s[16:17]
	s_and_saveexec_b64 s[16:17], s[4:5]
	s_cbranch_execz .LBB48_56
.LBB48_60:                              ;   in Loop: Header=BB48_54 Depth=1
	ds_read_b32 v13, v7 offset:3076
	s_waitcnt lgkmcnt(0)
	v_add_u32_e32 v12, v13, v12
	s_or_b64 exec, exec, s[16:17]
	s_and_saveexec_b64 s[16:17], s[6:7]
	s_cbranch_execz .LBB48_57
.LBB48_61:                              ;   in Loop: Header=BB48_54 Depth=1
	ds_read_b32 v13, v7 offset:3080
	s_waitcnt lgkmcnt(0)
	v_add_u32_e32 v12, v13, v12
	s_or_b64 exec, exec, s[16:17]
	s_and_saveexec_b64 s[16:17], vcc
	s_cbranch_execz .LBB48_58
.LBB48_62:                              ;   in Loop: Header=BB48_54 Depth=1
	v_add3_u32 v13, v10, -1, v12
	v_lshl_add_u32 v14, v13, 2, 0
	v_lshl_add_u32 v13, v13, 3, 0
	v_add_u32_e32 v13, 0x400, v13
	ds_write_b32 v14, v11
	ds_write2_b32 v13, v4, v5 offset1:1
	s_or_b64 exec, exec, s[16:17]
	s_and_saveexec_b64 s[16:17], s[0:1]
	s_cbranch_execz .LBB48_53
.LBB48_63:                              ;   in Loop: Header=BB48_54 Depth=1
	ds_write_b32 v7, v12 offset:3084
	s_branch .LBB48_53
.LBB48_64:
	s_or_b64 exec, exec, s[8:9]
	s_ashr_i32 s21, s20, 31
	s_lshl_b64 s[0:1], s[20:21], 2
	s_add_u32 s0, s12, s0
	s_addc_u32 s1, s13, s1
	s_load_dwordx2 s[0:1], s[0:1], 0x0
	s_waitcnt lgkmcnt(0)
	s_sub_i32 s16, s1, s0
	v_cmp_gt_i32_e32 vcc, s16, v0
	s_and_saveexec_b64 s[2:3], vcc
	s_cbranch_execz .LBB48_79
; %bb.65:
	s_sub_i32 s6, s0, s38
	s_add_i32 s0, s16, -2
	s_lshr_b32 s1, s0, 1
	s_add_i32 s2, s1, 1
	s_cmp_gt_u32 s16, 1
	s_cselect_b64 s[8:9], -1, 0
	s_and_b32 s17, s16, -2
	s_and_b32 s4, s2, 7
	s_cmp_gt_u32 s0, 13
	s_cselect_b64 s[0:1], -1, 0
	s_and_b32 s18, s2, -8
	s_cmp_lg_u32 s4, 0
	s_cselect_b64 s[2:3], -1, 0
	v_cndmask_b32_e64 v1, 0, 1, s[0:1]
	s_cmp_lg_u32 s16, s17
	v_cmp_ne_u32_e64 s[0:1], 1, v1
	v_cndmask_b32_e64 v1, 0, 1, s[2:3]
	s_mov_b32 s7, 0
	s_cselect_b64 s[10:11], -1, 0
	s_lshl_b32 s19, s4, 3
	s_mov_b64 s[12:13], 0
	s_movk_i32 s20, 0x400
	v_cmp_ne_u32_e64 s[2:3], 1, v1
	v_mov_b32_e32 v1, s15
	v_mov_b32_e32 v6, s35
	s_branch .LBB48_67
.LBB48_66:                              ;   in Loop: Header=BB48_67 Depth=1
	v_ashrrev_i32_e32 v5, 31, v4
	v_lshlrev_b64 v[8:9], 2, v[4:5]
	v_add_co_u32_e32 v8, vcc, s14, v8
	v_addc_co_u32_e32 v9, vcc, v1, v9, vcc
	v_lshlrev_b64 v[4:5], 3, v[4:5]
	v_add_co_u32_e32 v4, vcc, s34, v4
	v_addc_co_u32_e32 v5, vcc, v6, v5, vcc
	v_add_u32_e32 v0, 0x80, v0
	v_cmp_le_i32_e32 vcc, s16, v0
	s_waitcnt lgkmcnt(1)
	v_add_u32_e32 v7, s38, v7
	s_or_b64 s[12:13], vcc, s[12:13]
	global_store_dword v[8:9], v7, off
	s_waitcnt lgkmcnt(0)
	global_store_dwordx2 v[4:5], v[2:3], off
	s_andn2_b64 exec, exec, s[12:13]
	s_cbranch_execz .LBB48_79
.LBB48_67:                              ; =>This Loop Header: Depth=1
                                        ;     Child Loop BB48_70 Depth 2
                                        ;     Child Loop BB48_75 Depth 2
	;; [unrolled: 1-line block ×3, first 2 shown]
	v_lshlrev_b32_e32 v2, 2, v0
	v_add_u32_e32 v3, 0, v2
	v_add3_u32 v2, v3, v2, s20
	ds_read_b32 v7, v3
	ds_read2_b32 v[2:3], v2 offset1:1
	s_and_b64 vcc, exec, s[8:9]
	s_cbranch_vccz .LBB48_72
; %bb.68:                               ;   in Loop: Header=BB48_67 Depth=1
	s_and_b64 vcc, exec, s[0:1]
	s_cbranch_vccnz .LBB48_73
; %bb.69:                               ;   in Loop: Header=BB48_67 Depth=1
	s_mov_b32 s21, 0
	v_mov_b32_e32 v4, s6
	v_mov_b32_e32 v5, 0
	s_mov_b32 s22, s18
	s_mov_b32 s15, 0
.LBB48_70:                              ;   Parent Loop BB48_67 Depth=1
                                        ; =>  This Inner Loop Header: Depth=2
	v_mov_b32_e32 v22, s21
	ds_read2_b32 v[8:9], v22 offset1:1
	ds_read2_b32 v[10:11], v22 offset0:2 offset1:3
	ds_read2_b32 v[12:13], v22 offset0:4 offset1:5
	;; [unrolled: 1-line block ×7, first 2 shown]
	s_waitcnt lgkmcnt(7)
	v_cmp_gt_i32_e32 vcc, v7, v9
	v_cndmask_b32_e64 v9, 0, 1, vcc
	v_cmp_gt_i32_e32 vcc, v7, v8
	s_waitcnt lgkmcnt(5)
	v_cmp_gt_i32_e64 s[4:5], v7, v12
	v_cndmask_b32_e64 v8, 0, 1, vcc
	v_cmp_gt_i32_e32 vcc, v7, v11
	v_cndmask_b32_e64 v11, 0, 1, s[4:5]
	v_cmp_gt_i32_e64 s[4:5], v7, v13
	v_cndmask_b32_e64 v12, 0, 1, s[4:5]
	s_waitcnt lgkmcnt(3)
	v_cmp_gt_i32_e64 s[4:5], v7, v17
	v_cndmask_b32_e64 v13, 0, 1, s[4:5]
	v_cmp_gt_i32_e64 s[4:5], v7, v16
	v_cndmask_b32_e64 v16, 0, 1, s[4:5]
	s_waitcnt lgkmcnt(1)
	v_cmp_gt_i32_e64 s[4:5], v7, v20
	v_cndmask_b32_e64 v17, 0, 1, s[4:5]
	v_cmp_gt_i32_e64 s[4:5], v7, v21
	v_cndmask_b32_e64 v20, 0, 1, s[4:5]
	v_cmp_gt_i32_e64 s[4:5], v7, v10
	v_addc_co_u32_e64 v4, s[4:5], v4, v8, s[4:5]
	v_addc_co_u32_e32 v5, vcc, v5, v9, vcc
	v_cmp_gt_i32_e32 vcc, v7, v14
	v_cmp_gt_i32_e64 s[4:5], v7, v15
	v_addc_co_u32_e64 v5, s[4:5], v5, v12, s[4:5]
	v_addc_co_u32_e32 v4, vcc, v4, v11, vcc
	v_cmp_gt_i32_e32 vcc, v7, v19
	v_cmp_gt_i32_e64 s[4:5], v7, v18
	v_addc_co_u32_e64 v4, s[4:5], v4, v16, s[4:5]
	v_addc_co_u32_e32 v5, vcc, v5, v13, vcc
	s_add_i32 s15, s15, 16
	s_add_i32 s21, s21, 64
	s_add_i32 s22, s22, -8
	s_waitcnt lgkmcnt(0)
	v_cmp_gt_i32_e32 vcc, v7, v22
	v_cmp_gt_i32_e64 s[4:5], v7, v23
	s_cmp_lg_u32 s22, 0
	v_addc_co_u32_e64 v5, s[4:5], v5, v20, s[4:5]
	v_addc_co_u32_e32 v4, vcc, v4, v17, vcc
	s_cbranch_scc1 .LBB48_70
; %bb.71:                               ;   in Loop: Header=BB48_67 Depth=1
	s_and_b64 vcc, exec, s[2:3]
	s_cbranch_vccz .LBB48_74
	s_branch .LBB48_76
.LBB48_72:                              ;   in Loop: Header=BB48_67 Depth=1
	v_mov_b32_e32 v4, s6
	s_mov_b32 s15, 0
	s_cbranch_execz .LBB48_66
	s_branch .LBB48_77
.LBB48_73:                              ;   in Loop: Header=BB48_67 Depth=1
	v_pk_mov_b32 v[4:5], s[6:7], s[6:7] op_sel:[0,1]
	s_mov_b32 s15, 0
	s_and_b64 vcc, exec, s[2:3]
	s_cbranch_vccnz .LBB48_76
.LBB48_74:                              ;   in Loop: Header=BB48_67 Depth=1
	s_lshl_b32 s4, s15, 2
	s_add_i32 s4, s4, 0
	s_mov_b32 s5, s19
.LBB48_75:                              ;   Parent Loop BB48_67 Depth=1
                                        ; =>  This Inner Loop Header: Depth=2
	v_mov_b32_e32 v8, s4
	ds_read2_b32 v[8:9], v8 offset1:1
	s_add_i32 s4, s4, 8
	s_add_i32 s5, s5, -8
	s_cmp_lg_u32 s5, 0
	s_waitcnt lgkmcnt(0)
	v_cmp_gt_i32_e32 vcc, v7, v9
	v_addc_co_u32_e32 v5, vcc, 0, v5, vcc
	v_cmp_gt_i32_e32 vcc, v7, v8
	v_addc_co_u32_e32 v4, vcc, 0, v4, vcc
	s_cbranch_scc1 .LBB48_75
.LBB48_76:                              ;   in Loop: Header=BB48_67 Depth=1
	v_add_u32_e32 v4, v4, v5
	s_mov_b32 s15, s17
	s_mov_b64 s[4:5], s[10:11]
	s_and_b64 vcc, exec, s[4:5]
	s_cbranch_vccz .LBB48_66
.LBB48_77:                              ;   in Loop: Header=BB48_67 Depth=1
	s_lshl_b32 s4, s15, 2
	s_add_i32 s4, s4, 0
.LBB48_78:                              ;   Parent Loop BB48_67 Depth=1
                                        ; =>  This Inner Loop Header: Depth=2
	v_mov_b32_e32 v5, s4
	ds_read_b32 v5, v5
	s_add_i32 s15, s15, 1
	s_add_i32 s4, s4, 4
	s_cmp_ge_i32 s15, s16
	s_waitcnt lgkmcnt(0)
	v_cmp_gt_i32_e32 vcc, v7, v5
	v_addc_co_u32_e32 v4, vcc, 0, v4, vcc
	s_cbranch_scc0 .LBB48_78
	s_branch .LBB48_66
.LBB48_79:
	s_endpgm
	.section	.rodata,"a",@progbits
	.p2align	6, 0x0
	.amdhsa_kernel _ZN9rocsparseL26csrgemm_fill_block_per_rowILj128ELj16ELj256ELj137ELj32Eii21rocsparse_complex_numIfEEEvT5_PKS3_S5_NS_24const_host_device_scalarIT6_EEPKT4_S5_PKS7_SB_S5_SD_S8_SB_S5_SD_SB_PS3_PS7_21rocsparse_index_base_SG_SG_SG_bbb
		.amdhsa_group_segment_fixed_size 0
		.amdhsa_private_segment_fixed_size 0
		.amdhsa_kernarg_size 156
		.amdhsa_user_sgpr_count 6
		.amdhsa_user_sgpr_private_segment_buffer 1
		.amdhsa_user_sgpr_dispatch_ptr 0
		.amdhsa_user_sgpr_queue_ptr 0
		.amdhsa_user_sgpr_kernarg_segment_ptr 1
		.amdhsa_user_sgpr_dispatch_id 0
		.amdhsa_user_sgpr_flat_scratch_init 0
		.amdhsa_user_sgpr_kernarg_preload_length 0
		.amdhsa_user_sgpr_kernarg_preload_offset 0
		.amdhsa_user_sgpr_private_segment_size 0
		.amdhsa_uses_dynamic_stack 0
		.amdhsa_system_sgpr_private_segment_wavefront_offset 0
		.amdhsa_system_sgpr_workgroup_id_x 1
		.amdhsa_system_sgpr_workgroup_id_y 0
		.amdhsa_system_sgpr_workgroup_id_z 0
		.amdhsa_system_sgpr_workgroup_info 0
		.amdhsa_system_vgpr_workitem_id 0
		.amdhsa_next_free_vgpr 24
		.amdhsa_next_free_sgpr 59
		.amdhsa_accum_offset 24
		.amdhsa_reserve_vcc 1
		.amdhsa_reserve_flat_scratch 0
		.amdhsa_float_round_mode_32 0
		.amdhsa_float_round_mode_16_64 0
		.amdhsa_float_denorm_mode_32 3
		.amdhsa_float_denorm_mode_16_64 3
		.amdhsa_dx10_clamp 1
		.amdhsa_ieee_mode 1
		.amdhsa_fp16_overflow 0
		.amdhsa_tg_split 0
		.amdhsa_exception_fp_ieee_invalid_op 0
		.amdhsa_exception_fp_denorm_src 0
		.amdhsa_exception_fp_ieee_div_zero 0
		.amdhsa_exception_fp_ieee_overflow 0
		.amdhsa_exception_fp_ieee_underflow 0
		.amdhsa_exception_fp_ieee_inexact 0
		.amdhsa_exception_int_div_zero 0
	.end_amdhsa_kernel
	.section	.text._ZN9rocsparseL26csrgemm_fill_block_per_rowILj128ELj16ELj256ELj137ELj32Eii21rocsparse_complex_numIfEEEvT5_PKS3_S5_NS_24const_host_device_scalarIT6_EEPKT4_S5_PKS7_SB_S5_SD_S8_SB_S5_SD_SB_PS3_PS7_21rocsparse_index_base_SG_SG_SG_bbb,"axG",@progbits,_ZN9rocsparseL26csrgemm_fill_block_per_rowILj128ELj16ELj256ELj137ELj32Eii21rocsparse_complex_numIfEEEvT5_PKS3_S5_NS_24const_host_device_scalarIT6_EEPKT4_S5_PKS7_SB_S5_SD_S8_SB_S5_SD_SB_PS3_PS7_21rocsparse_index_base_SG_SG_SG_bbb,comdat
.Lfunc_end48:
	.size	_ZN9rocsparseL26csrgemm_fill_block_per_rowILj128ELj16ELj256ELj137ELj32Eii21rocsparse_complex_numIfEEEvT5_PKS3_S5_NS_24const_host_device_scalarIT6_EEPKT4_S5_PKS7_SB_S5_SD_S8_SB_S5_SD_SB_PS3_PS7_21rocsparse_index_base_SG_SG_SG_bbb, .Lfunc_end48-_ZN9rocsparseL26csrgemm_fill_block_per_rowILj128ELj16ELj256ELj137ELj32Eii21rocsparse_complex_numIfEEEvT5_PKS3_S5_NS_24const_host_device_scalarIT6_EEPKT4_S5_PKS7_SB_S5_SD_S8_SB_S5_SD_SB_PS3_PS7_21rocsparse_index_base_SG_SG_SG_bbb
                                        ; -- End function
	.section	.AMDGPU.csdata,"",@progbits
; Kernel info:
; codeLenInByte = 2832
; NumSgprs: 63
; NumVgprs: 24
; NumAgprs: 0
; TotalNumVgprs: 24
; ScratchSize: 0
; MemoryBound: 0
; FloatMode: 240
; IeeeMode: 1
; LDSByteSize: 0 bytes/workgroup (compile time only)
; SGPRBlocks: 7
; VGPRBlocks: 2
; NumSGPRsForWavesPerEU: 63
; NumVGPRsForWavesPerEU: 24
; AccumOffset: 24
; Occupancy: 8
; WaveLimiterHint : 1
; COMPUTE_PGM_RSRC2:SCRATCH_EN: 0
; COMPUTE_PGM_RSRC2:USER_SGPR: 6
; COMPUTE_PGM_RSRC2:TRAP_HANDLER: 0
; COMPUTE_PGM_RSRC2:TGID_X_EN: 1
; COMPUTE_PGM_RSRC2:TGID_Y_EN: 0
; COMPUTE_PGM_RSRC2:TGID_Z_EN: 0
; COMPUTE_PGM_RSRC2:TIDIG_COMP_CNT: 0
; COMPUTE_PGM_RSRC3_GFX90A:ACCUM_OFFSET: 5
; COMPUTE_PGM_RSRC3_GFX90A:TG_SPLIT: 0
	.section	.text._ZN9rocsparseL26csrgemm_fill_block_per_rowILj128ELj16ELj256ELj137ELj64Eii21rocsparse_complex_numIfEEEvT5_PKS3_S5_NS_24const_host_device_scalarIT6_EEPKT4_S5_PKS7_SB_S5_SD_S8_SB_S5_SD_SB_PS3_PS7_21rocsparse_index_base_SG_SG_SG_bbb,"axG",@progbits,_ZN9rocsparseL26csrgemm_fill_block_per_rowILj128ELj16ELj256ELj137ELj64Eii21rocsparse_complex_numIfEEEvT5_PKS3_S5_NS_24const_host_device_scalarIT6_EEPKT4_S5_PKS7_SB_S5_SD_S8_SB_S5_SD_SB_PS3_PS7_21rocsparse_index_base_SG_SG_SG_bbb,comdat
	.globl	_ZN9rocsparseL26csrgemm_fill_block_per_rowILj128ELj16ELj256ELj137ELj64Eii21rocsparse_complex_numIfEEEvT5_PKS3_S5_NS_24const_host_device_scalarIT6_EEPKT4_S5_PKS7_SB_S5_SD_S8_SB_S5_SD_SB_PS3_PS7_21rocsparse_index_base_SG_SG_SG_bbb ; -- Begin function _ZN9rocsparseL26csrgemm_fill_block_per_rowILj128ELj16ELj256ELj137ELj64Eii21rocsparse_complex_numIfEEEvT5_PKS3_S5_NS_24const_host_device_scalarIT6_EEPKT4_S5_PKS7_SB_S5_SD_S8_SB_S5_SD_SB_PS3_PS7_21rocsparse_index_base_SG_SG_SG_bbb
	.p2align	8
	.type	_ZN9rocsparseL26csrgemm_fill_block_per_rowILj128ELj16ELj256ELj137ELj64Eii21rocsparse_complex_numIfEEEvT5_PKS3_S5_NS_24const_host_device_scalarIT6_EEPKT4_S5_PKS7_SB_S5_SD_S8_SB_S5_SD_SB_PS3_PS7_21rocsparse_index_base_SG_SG_SG_bbb,@function
_ZN9rocsparseL26csrgemm_fill_block_per_rowILj128ELj16ELj256ELj137ELj64Eii21rocsparse_complex_numIfEEEvT5_PKS3_S5_NS_24const_host_device_scalarIT6_EEPKT4_S5_PKS7_SB_S5_SD_S8_SB_S5_SD_SB_PS3_PS7_21rocsparse_index_base_SG_SG_SG_bbb: ; @_ZN9rocsparseL26csrgemm_fill_block_per_rowILj128ELj16ELj256ELj137ELj64Eii21rocsparse_complex_numIfEEEvT5_PKS3_S5_NS_24const_host_device_scalarIT6_EEPKT4_S5_PKS7_SB_S5_SD_S8_SB_S5_SD_SB_PS3_PS7_21rocsparse_index_base_SG_SG_SG_bbb
; %bb.0:
	s_load_dwordx8 s[8:15], s[4:5], 0x60
	s_load_dwordx8 s[16:23], s[4:5], 0x40
	s_load_dword s7, s[4:5], 0x98
	s_load_dwordx4 s[40:43], s[4:5], 0x8
	s_load_dwordx8 s[24:31], s[4:5], 0x20
	s_load_dwordx2 s[34:35], s[4:5], 0x80
	s_load_dwordx4 s[36:39], s[4:5], 0x88
	s_waitcnt lgkmcnt(0)
	s_bitcmp1_b32 s7, 0
	s_cselect_b64 s[46:47], -1, 0
	s_bitcmp1_b32 s7, 16
	s_cselect_b64 s[0:1], -1, 0
	s_xor_b64 s[0:1], s[0:1], -1
	v_cndmask_b32_e64 v1, 0, 1, s[0:1]
	s_mov_b32 s3, 0
	s_bitcmp0_b32 s7, 0
	v_cmp_ne_u32_e64 s[0:1], 1, v1
	s_mov_b32 s58, 0
	s_cbranch_scc1 .LBB49_5
; %bb.1:
	s_load_dwordx2 s[2:3], s[4:5], 0x18
	s_and_b64 vcc, exec, s[0:1]
	s_waitcnt lgkmcnt(0)
	s_mov_b32 s58, s2
	s_cbranch_vccnz .LBB49_3
; %bb.2:
	s_load_dword s58, s[2:3], 0x0
.LBB49_3:
	s_and_b64 vcc, exec, s[0:1]
	s_cbranch_vccnz .LBB49_5
; %bb.4:
	s_load_dword s3, s[2:3], 0x4
.LBB49_5:
	s_bitcmp1_b32 s7, 8
	s_cselect_b64 s[44:45], -1, 0
	s_bfe_u32 s2, s7, 0x10008
	s_mov_b32 s57, 0
	s_cmp_eq_u32 s2, 0
	s_mov_b32 s56, 0
	s_cbranch_scc1 .LBB49_11
; %bb.6:
	s_and_b64 vcc, exec, s[0:1]
	s_mov_b32 s56, s20
	s_cbranch_vccnz .LBB49_8
; %bb.7:
	s_load_dword s56, s[20:21], 0x0
.LBB49_8:
	s_and_b64 vcc, exec, s[0:1]
	s_cbranch_vccnz .LBB49_10
; %bb.9:
	s_load_dword s21, s[20:21], 0x4
.LBB49_10:
	s_waitcnt lgkmcnt(0)
	s_mov_b32 s57, s21
.LBB49_11:
	s_load_dword s33, s[4:5], 0x0
	s_movk_i32 s0, 0x100
	v_cmp_gt_u32_e64 s[0:1], s0, v0
	v_lshl_add_u32 v6, v0, 3, 0
	v_lshl_add_u32 v1, v0, 2, 0
	s_and_saveexec_b64 s[4:5], s[0:1]
	s_cbranch_execz .LBB49_14
; %bb.12:
	v_add_u32_e32 v2, 0x400, v6
	v_or_b32_e32 v3, 0xffffff80, v0
	v_lshl_add_u32 v4, v0, 2, 0
	s_mov_b64 s[20:21], 0
	s_waitcnt lgkmcnt(0)
	v_mov_b32_e32 v5, s33
	v_mov_b32_e32 v7, 0
.LBB49_13:                              ; =>This Inner Loop Header: Depth=1
	v_add_co_u32_e32 v3, vcc, 0x80, v3
	s_xor_b64 s[48:49], vcc, -1
	s_and_b64 s[48:49], exec, s[48:49]
	ds_write_b32 v4, v5
	ds_write2_b32 v2, v7, v7 offset1:1
	v_add_u32_e32 v2, 0x400, v2
	s_or_b64 s[20:21], s[48:49], s[20:21]
	v_add_u32_e32 v4, 0x200, v4
	s_andn2_b64 exec, exec, s[20:21]
	s_cbranch_execnz .LBB49_13
.LBB49_14:
	s_or_b64 exec, exec, s[4:5]
	s_waitcnt lgkmcnt(0)
	s_barrier
	s_load_dword s2, s[40:41], 0x0
	s_mov_b32 s5, 0
	v_lshrrev_b32_e32 v7, 4, v0
	s_waitcnt lgkmcnt(0)
	s_add_i32 s4, s2, s6
	s_lshl_b64 s[4:5], s[4:5], 2
	s_add_u32 s4, s42, s4
	s_addc_u32 s5, s43, s5
	s_load_dword s4, s[4:5], 0x0
	s_and_b64 vcc, exec, s[46:47]
	s_cbranch_vccz .LBB49_34
; %bb.15:
	s_waitcnt lgkmcnt(0)
	s_ashr_i32 s5, s4, 31
	s_lshl_b64 s[6:7], s[4:5], 2
	s_add_u32 s6, s24, s6
	s_addc_u32 s7, s25, s7
	s_load_dwordx2 s[6:7], s[6:7], 0x0
	v_subrev_u32_e32 v2, s36, v7
	s_waitcnt lgkmcnt(0)
	s_sub_i32 s2, s7, s36
	v_add_u32_e32 v2, s6, v2
	v_cmp_gt_i32_e32 vcc, s2, v2
	s_and_saveexec_b64 s[6:7], vcc
	s_cbranch_execz .LBB49_33
; %bb.16:
	v_and_b32_e32 v3, 15, v0
	v_subrev_u32_e32 v8, s37, v3
	s_mov_b64 s[20:21], 0
	v_mov_b32_e32 v9, s27
	v_mov_b32_e32 v10, s31
	s_movk_i32 s5, 0x89
	s_branch .LBB49_18
.LBB49_17:                              ;   in Loop: Header=BB49_18 Depth=1
	s_or_b64 exec, exec, s[24:25]
	v_add_u32_e32 v2, 8, v2
	v_cmp_le_i32_e32 vcc, s2, v2
	s_or_b64 s[20:21], vcc, s[20:21]
	s_andn2_b64 exec, exec, s[20:21]
	s_cbranch_execz .LBB49_33
.LBB49_18:                              ; =>This Loop Header: Depth=1
                                        ;     Child Loop BB49_21 Depth 2
                                        ;       Child Loop BB49_23 Depth 3
	v_ashrrev_i32_e32 v3, 31, v2
	v_lshlrev_b64 v[4:5], 2, v[2:3]
	v_add_co_u32_e32 v4, vcc, s26, v4
	v_addc_co_u32_e32 v5, vcc, v9, v5, vcc
	global_load_dword v4, v[4:5], off
	s_waitcnt vmcnt(0)
	v_subrev_u32_e32 v4, s36, v4
	v_ashrrev_i32_e32 v5, 31, v4
	v_lshlrev_b64 v[4:5], 2, v[4:5]
	v_add_co_u32_e32 v4, vcc, s30, v4
	v_addc_co_u32_e32 v5, vcc, v10, v5, vcc
	global_load_dwordx2 v[4:5], v[4:5], off
	s_waitcnt vmcnt(0)
	v_subrev_u32_e32 v11, s37, v5
	v_add_u32_e32 v4, v4, v8
	v_cmp_lt_i32_e32 vcc, v4, v11
	s_and_saveexec_b64 s[24:25], vcc
	s_cbranch_execz .LBB49_17
; %bb.19:                               ;   in Loop: Header=BB49_18 Depth=1
	v_lshlrev_b64 v[12:13], 3, v[2:3]
	v_mov_b32_e32 v3, s29
	v_add_co_u32_e32 v12, vcc, s28, v12
	v_addc_co_u32_e32 v13, vcc, v3, v13, vcc
	global_load_dwordx2 v[14:15], v[12:13], off
	s_mov_b64 s[40:41], 0
	s_waitcnt vmcnt(0)
	v_mul_f32_e64 v3, v15, -s3
	v_mul_f32_e32 v12, s58, v15
	v_fmac_f32_e32 v3, s58, v14
	v_fmac_f32_e32 v12, s3, v14
	s_branch .LBB49_21
.LBB49_20:                              ;   in Loop: Header=BB49_21 Depth=2
	s_or_b64 exec, exec, s[42:43]
	v_add_u32_e32 v4, 16, v4
	v_cmp_ge_i32_e32 vcc, v4, v11
	s_or_b64 s[40:41], vcc, s[40:41]
	s_andn2_b64 exec, exec, s[40:41]
	s_cbranch_execz .LBB49_17
.LBB49_21:                              ;   Parent Loop BB49_18 Depth=1
                                        ; =>  This Loop Header: Depth=2
                                        ;       Child Loop BB49_23 Depth 3
	v_ashrrev_i32_e32 v5, 31, v4
	v_lshlrev_b64 v[14:15], 2, v[4:5]
	v_mov_b32_e32 v13, s17
	v_add_co_u32_e32 v14, vcc, s16, v14
	v_addc_co_u32_e32 v15, vcc, v13, v15, vcc
	global_load_dword v13, v[14:15], off
	v_lshlrev_b64 v[14:15], 3, v[4:5]
	v_mov_b32_e32 v5, s19
	v_add_co_u32_e32 v14, vcc, s18, v14
	v_addc_co_u32_e32 v15, vcc, v5, v15, vcc
	global_load_dwordx2 v[16:17], v[14:15], off
	s_mov_b64 s[42:43], 0
	s_waitcnt vmcnt(1)
	v_subrev_u32_e32 v5, s37, v13
	v_mul_lo_u32 v15, v5, s5
	v_and_b32_e32 v15, 0xff, v15
	s_waitcnt vmcnt(0)
	v_mul_f32_e64 v13, v17, -v12
	v_mul_f32_e32 v14, v3, v17
	v_fmac_f32_e32 v13, v3, v16
	v_fmac_f32_e32 v14, v12, v16
	s_branch .LBB49_23
.LBB49_22:                              ;   in Loop: Header=BB49_23 Depth=3
	s_or_b64 exec, exec, s[46:47]
	s_xor_b64 s[46:47], s[48:49], -1
	s_and_b64 s[46:47], exec, s[46:47]
	s_or_b64 s[42:43], s[46:47], s[42:43]
	s_andn2_b64 exec, exec, s[42:43]
	s_cbranch_execz .LBB49_20
.LBB49_23:                              ;   Parent Loop BB49_18 Depth=1
                                        ;     Parent Loop BB49_21 Depth=2
                                        ; =>    This Inner Loop Header: Depth=3
	v_lshl_add_u32 v16, v15, 2, 0
	ds_read_b32 v17, v16
                                        ; implicit-def: $sgpr48_sgpr49
	s_waitcnt lgkmcnt(0)
	v_cmp_ne_u32_e32 vcc, v17, v5
	s_and_saveexec_b64 s[46:47], vcc
	s_xor_b64 s[46:47], exec, s[46:47]
	s_cbranch_execz .LBB49_31
; %bb.24:                               ;   in Loop: Header=BB49_23 Depth=3
	v_cmp_ne_u32_e32 vcc, s33, v17
                                        ; implicit-def: $sgpr48_sgpr49
	s_and_saveexec_b64 s[50:51], vcc
	s_xor_b64 s[50:51], exec, s[50:51]
; %bb.25:                               ;   in Loop: Header=BB49_23 Depth=3
	v_add_u32_e32 v15, 1, v15
	v_and_b32_e32 v15, 0xff, v15
	s_mov_b64 s[48:49], -1
                                        ; implicit-def: $vgpr16
; %bb.26:                               ;   in Loop: Header=BB49_23 Depth=3
	s_andn2_saveexec_b64 s[50:51], s[50:51]
	s_cbranch_execz .LBB49_30
; %bb.27:                               ;   in Loop: Header=BB49_23 Depth=3
	v_mov_b32_e32 v17, s33
	ds_cmpst_rtn_b32 v17, v16, v17, v5
	s_mov_b64 s[52:53], -1
	s_waitcnt lgkmcnt(0)
	v_cmp_eq_u32_e32 vcc, s33, v17
	s_and_saveexec_b64 s[54:55], vcc
	s_cbranch_execz .LBB49_29
; %bb.28:                               ;   in Loop: Header=BB49_23 Depth=3
	v_lshl_add_u32 v16, v15, 2, v16
	ds_add_f32 v16, v13 offset:1024
	ds_add_f32 v16, v14 offset:1028
	s_xor_b64 s[52:53], exec, -1
.LBB49_29:                              ;   in Loop: Header=BB49_23 Depth=3
	s_or_b64 exec, exec, s[54:55]
	s_andn2_b64 s[48:49], s[48:49], exec
	s_and_b64 s[52:53], s[52:53], exec
	s_or_b64 s[48:49], s[48:49], s[52:53]
.LBB49_30:                              ;   in Loop: Header=BB49_23 Depth=3
	s_or_b64 exec, exec, s[50:51]
	s_and_b64 s[48:49], s[48:49], exec
                                        ; implicit-def: $vgpr16
.LBB49_31:                              ;   in Loop: Header=BB49_23 Depth=3
	s_andn2_saveexec_b64 s[46:47], s[46:47]
	s_cbranch_execz .LBB49_22
; %bb.32:                               ;   in Loop: Header=BB49_23 Depth=3
	v_lshl_add_u32 v16, v15, 2, v16
	ds_add_f32 v16, v13 offset:1024
	ds_add_f32 v16, v14 offset:1028
	s_andn2_b64 s[48:49], s[48:49], exec
	s_branch .LBB49_22
.LBB49_33:
	s_or_b64 exec, exec, s[6:7]
.LBB49_34:
	s_andn2_b64 vcc, exec, s[44:45]
	s_cbranch_vccnz .LBB49_51
; %bb.35:
	s_waitcnt lgkmcnt(0)
	s_ashr_i32 s5, s4, 31
	s_lshl_b64 s[2:3], s[4:5], 2
	s_add_u32 s2, s22, s2
	s_addc_u32 s3, s23, s3
	s_load_dwordx2 s[2:3], s[2:3], 0x0
	v_subrev_u32_e32 v2, s39, v0
	s_waitcnt lgkmcnt(0)
	s_sub_i32 s5, s3, s39
	v_add_u32_e32 v2, s2, v2
	v_cmp_gt_i32_e32 vcc, s5, v2
	s_and_saveexec_b64 s[2:3], vcc
	s_cbranch_execz .LBB49_50
; %bb.36:
	s_mov_b64 s[6:7], 0
	v_mov_b32_e32 v4, s9
	v_mov_b32_e32 v5, s11
	s_movk_i32 s9, 0x89
	s_branch .LBB49_38
.LBB49_37:                              ;   in Loop: Header=BB49_38 Depth=1
	s_or_b64 exec, exec, s[16:17]
	v_add_u32_e32 v2, 0x80, v2
	v_cmp_le_i32_e32 vcc, s5, v2
	s_or_b64 s[6:7], vcc, s[6:7]
	s_andn2_b64 exec, exec, s[6:7]
	s_cbranch_execz .LBB49_50
.LBB49_38:                              ; =>This Loop Header: Depth=1
                                        ;     Child Loop BB49_40 Depth 2
	v_ashrrev_i32_e32 v3, 31, v2
	v_lshlrev_b64 v[8:9], 2, v[2:3]
	v_add_co_u32_e32 v8, vcc, s8, v8
	v_addc_co_u32_e32 v9, vcc, v4, v9, vcc
	global_load_dword v12, v[8:9], off
	v_lshlrev_b64 v[8:9], 3, v[2:3]
	v_add_co_u32_e32 v8, vcc, s10, v8
	v_addc_co_u32_e32 v9, vcc, v5, v9, vcc
	global_load_dwordx2 v[10:11], v[8:9], off
	s_mov_b64 s[16:17], 0
	s_waitcnt vmcnt(1)
	v_subrev_u32_e32 v3, s39, v12
	s_waitcnt vmcnt(0)
	v_mul_f32_e64 v8, v11, -s57
	v_mul_f32_e32 v9, s56, v11
	v_fmac_f32_e32 v8, s56, v10
	v_fmac_f32_e32 v9, s57, v10
	v_mul_lo_u32 v10, v3, s9
	v_and_b32_e32 v10, 0xff, v10
	s_branch .LBB49_40
.LBB49_39:                              ;   in Loop: Header=BB49_40 Depth=2
	s_or_b64 exec, exec, s[18:19]
	s_xor_b64 s[18:19], s[20:21], -1
	s_and_b64 s[18:19], exec, s[18:19]
	s_or_b64 s[16:17], s[18:19], s[16:17]
	s_andn2_b64 exec, exec, s[16:17]
	s_cbranch_execz .LBB49_37
.LBB49_40:                              ;   Parent Loop BB49_38 Depth=1
                                        ; =>  This Inner Loop Header: Depth=2
	v_lshl_add_u32 v11, v10, 2, 0
	ds_read_b32 v12, v11
                                        ; implicit-def: $sgpr20_sgpr21
	s_waitcnt lgkmcnt(0)
	v_cmp_ne_u32_e32 vcc, v12, v3
	s_and_saveexec_b64 s[18:19], vcc
	s_xor_b64 s[18:19], exec, s[18:19]
	s_cbranch_execz .LBB49_48
; %bb.41:                               ;   in Loop: Header=BB49_40 Depth=2
	v_cmp_ne_u32_e32 vcc, s33, v12
                                        ; implicit-def: $sgpr20_sgpr21
	s_and_saveexec_b64 s[22:23], vcc
	s_xor_b64 s[22:23], exec, s[22:23]
; %bb.42:                               ;   in Loop: Header=BB49_40 Depth=2
	v_add_u32_e32 v10, 1, v10
	v_and_b32_e32 v10, 0xff, v10
	s_mov_b64 s[20:21], -1
                                        ; implicit-def: $vgpr11
; %bb.43:                               ;   in Loop: Header=BB49_40 Depth=2
	s_andn2_saveexec_b64 s[22:23], s[22:23]
	s_cbranch_execz .LBB49_47
; %bb.44:                               ;   in Loop: Header=BB49_40 Depth=2
	v_mov_b32_e32 v12, s33
	ds_cmpst_rtn_b32 v12, v11, v12, v3
	s_mov_b64 s[24:25], -1
	s_waitcnt lgkmcnt(0)
	v_cmp_eq_u32_e32 vcc, s33, v12
	s_and_saveexec_b64 s[26:27], vcc
	s_cbranch_execz .LBB49_46
; %bb.45:                               ;   in Loop: Header=BB49_40 Depth=2
	v_lshl_add_u32 v11, v10, 2, v11
	ds_add_f32 v11, v8 offset:1024
	ds_add_f32 v11, v9 offset:1028
	s_xor_b64 s[24:25], exec, -1
.LBB49_46:                              ;   in Loop: Header=BB49_40 Depth=2
	s_or_b64 exec, exec, s[26:27]
	s_andn2_b64 s[20:21], s[20:21], exec
	s_and_b64 s[24:25], s[24:25], exec
	s_or_b64 s[20:21], s[20:21], s[24:25]
.LBB49_47:                              ;   in Loop: Header=BB49_40 Depth=2
	s_or_b64 exec, exec, s[22:23]
	s_and_b64 s[20:21], s[20:21], exec
                                        ; implicit-def: $vgpr11
.LBB49_48:                              ;   in Loop: Header=BB49_40 Depth=2
	s_andn2_saveexec_b64 s[18:19], s[18:19]
	s_cbranch_execz .LBB49_39
; %bb.49:                               ;   in Loop: Header=BB49_40 Depth=2
	v_lshl_add_u32 v11, v10, 2, v11
	ds_add_f32 v11, v8 offset:1024
	ds_add_f32 v11, v9 offset:1028
	s_andn2_b64 s[20:21], s[20:21], exec
	s_branch .LBB49_39
.LBB49_50:
	s_or_b64 exec, exec, s[2:3]
.LBB49_51:
	s_waitcnt lgkmcnt(0)
	s_barrier
	s_and_saveexec_b64 s[6:7], s[0:1]
	s_cbranch_execz .LBB49_60
; %bb.52:
	v_mbcnt_lo_u32_b32 v2, -1, 0
	v_mbcnt_hi_u32_b32 v2, -1, v2
	v_sub_u32_e32 v2, 63, v2
	v_and_b32_e32 v4, 4, v7
	s_movk_i32 s2, 0x7f
	v_mov_b32_e32 v8, 0
	v_lshrrev_b64 v[2:3], v2, -1
	v_add_u32_e32 v7, 0, v4
	v_cmp_lt_u32_e64 s[0:1], 63, v0
	v_cmp_eq_u32_e64 s[2:3], s2, v0
	v_add_u32_e32 v6, 0x400, v6
	v_or_b32_e32 v9, 0xffffff80, v0
	s_mov_b64 s[8:9], 0
	v_mov_b32_e32 v10, 0
	s_branch .LBB49_54
.LBB49_53:                              ;   in Loop: Header=BB49_54 Depth=1
	s_or_b64 exec, exec, s[10:11]
	s_waitcnt lgkmcnt(0)
	s_barrier
	ds_read_b32 v4, v8 offset:3076
	v_add_co_u32_e32 v9, vcc, 0x80, v9
	s_xor_b64 s[10:11], vcc, -1
	s_and_b64 s[10:11], exec, s[10:11]
	v_add_u32_e32 v6, 0x400, v6
	s_waitcnt lgkmcnt(0)
	v_add_u32_e32 v10, v4, v10
	s_or_b64 s[8:9], s[10:11], s[8:9]
	v_add_u32_e32 v1, 0x200, v1
	s_andn2_b64 exec, exec, s[8:9]
	s_cbranch_execz .LBB49_60
.LBB49_54:                              ; =>This Inner Loop Header: Depth=1
	ds_read_b32 v11, v1
	ds_read2_b32 v[4:5], v6 offset1:1
	s_waitcnt lgkmcnt(0)
	s_barrier
	v_cmp_gt_i32_e32 vcc, s33, v11
	v_and_b32_e32 v13, vcc_lo, v2
	s_bcnt1_i32_b64 s5, vcc
	v_and_b32_e32 v12, vcc_hi, v3
	v_bcnt_u32_b32 v13, v13, 0
	v_bcnt_u32_b32 v12, v12, v13
	v_mov_b32_e32 v13, s5
	ds_write_b32 v7, v13 offset:3072
	s_waitcnt lgkmcnt(0)
	s_barrier
	s_and_saveexec_b64 s[10:11], s[0:1]
	s_cbranch_execnz .LBB49_57
; %bb.55:                               ;   in Loop: Header=BB49_54 Depth=1
	s_or_b64 exec, exec, s[10:11]
	s_and_saveexec_b64 s[10:11], vcc
	s_cbranch_execnz .LBB49_58
.LBB49_56:                              ;   in Loop: Header=BB49_54 Depth=1
	s_or_b64 exec, exec, s[10:11]
	s_and_saveexec_b64 s[10:11], s[2:3]
	s_cbranch_execz .LBB49_53
	s_branch .LBB49_59
.LBB49_57:                              ;   in Loop: Header=BB49_54 Depth=1
	ds_read_b32 v13, v8 offset:3072
	s_waitcnt lgkmcnt(0)
	v_add_u32_e32 v12, v13, v12
	s_or_b64 exec, exec, s[10:11]
	s_and_saveexec_b64 s[10:11], vcc
	s_cbranch_execz .LBB49_56
.LBB49_58:                              ;   in Loop: Header=BB49_54 Depth=1
	v_add3_u32 v13, v10, -1, v12
	v_lshl_add_u32 v14, v13, 2, 0
	v_lshl_add_u32 v13, v13, 3, 0
	v_add_u32_e32 v13, 0x400, v13
	ds_write_b32 v14, v11
	ds_write2_b32 v13, v4, v5 offset1:1
	s_or_b64 exec, exec, s[10:11]
	s_and_saveexec_b64 s[10:11], s[2:3]
	s_cbranch_execz .LBB49_53
.LBB49_59:                              ;   in Loop: Header=BB49_54 Depth=1
	ds_write_b32 v8, v12 offset:3076
	s_branch .LBB49_53
.LBB49_60:
	s_or_b64 exec, exec, s[6:7]
	s_ashr_i32 s5, s4, 31
	s_lshl_b64 s[0:1], s[4:5], 2
	s_add_u32 s0, s12, s0
	s_addc_u32 s1, s13, s1
	s_load_dwordx2 s[0:1], s[0:1], 0x0
	s_waitcnt lgkmcnt(0)
	s_sub_i32 s16, s1, s0
	v_cmp_gt_i32_e32 vcc, s16, v0
	s_and_saveexec_b64 s[2:3], vcc
	s_cbranch_execz .LBB49_75
; %bb.61:
	s_sub_i32 s6, s0, s38
	s_add_i32 s0, s16, -2
	s_lshr_b32 s1, s0, 1
	s_add_i32 s2, s1, 1
	s_cmp_gt_u32 s16, 1
	s_cselect_b64 s[8:9], -1, 0
	s_and_b32 s17, s16, -2
	s_and_b32 s4, s2, 7
	s_cmp_gt_u32 s0, 13
	s_cselect_b64 s[0:1], -1, 0
	s_and_b32 s18, s2, -8
	s_cmp_lg_u32 s4, 0
	s_cselect_b64 s[2:3], -1, 0
	v_cndmask_b32_e64 v1, 0, 1, s[0:1]
	s_cmp_lg_u32 s16, s17
	v_cmp_ne_u32_e64 s[0:1], 1, v1
	v_cndmask_b32_e64 v1, 0, 1, s[2:3]
	s_mov_b32 s7, 0
	s_cselect_b64 s[10:11], -1, 0
	s_lshl_b32 s19, s4, 3
	s_mov_b64 s[12:13], 0
	s_movk_i32 s20, 0x400
	v_cmp_ne_u32_e64 s[2:3], 1, v1
	v_mov_b32_e32 v1, s15
	v_mov_b32_e32 v6, s35
	s_branch .LBB49_63
.LBB49_62:                              ;   in Loop: Header=BB49_63 Depth=1
	v_ashrrev_i32_e32 v5, 31, v4
	v_lshlrev_b64 v[8:9], 2, v[4:5]
	v_add_co_u32_e32 v8, vcc, s14, v8
	v_addc_co_u32_e32 v9, vcc, v1, v9, vcc
	v_lshlrev_b64 v[4:5], 3, v[4:5]
	v_add_co_u32_e32 v4, vcc, s34, v4
	v_addc_co_u32_e32 v5, vcc, v6, v5, vcc
	v_add_u32_e32 v0, 0x80, v0
	v_cmp_le_i32_e32 vcc, s16, v0
	s_waitcnt lgkmcnt(1)
	v_add_u32_e32 v7, s38, v7
	s_or_b64 s[12:13], vcc, s[12:13]
	global_store_dword v[8:9], v7, off
	s_waitcnt lgkmcnt(0)
	global_store_dwordx2 v[4:5], v[2:3], off
	s_andn2_b64 exec, exec, s[12:13]
	s_cbranch_execz .LBB49_75
.LBB49_63:                              ; =>This Loop Header: Depth=1
                                        ;     Child Loop BB49_66 Depth 2
                                        ;     Child Loop BB49_71 Depth 2
	;; [unrolled: 1-line block ×3, first 2 shown]
	v_lshlrev_b32_e32 v2, 2, v0
	v_add_u32_e32 v3, 0, v2
	v_add3_u32 v2, v3, v2, s20
	ds_read_b32 v7, v3
	ds_read2_b32 v[2:3], v2 offset1:1
	s_and_b64 vcc, exec, s[8:9]
	s_cbranch_vccz .LBB49_68
; %bb.64:                               ;   in Loop: Header=BB49_63 Depth=1
	s_and_b64 vcc, exec, s[0:1]
	s_cbranch_vccnz .LBB49_69
; %bb.65:                               ;   in Loop: Header=BB49_63 Depth=1
	s_mov_b32 s21, 0
	v_mov_b32_e32 v4, s6
	v_mov_b32_e32 v5, 0
	s_mov_b32 s22, s18
	s_mov_b32 s15, 0
.LBB49_66:                              ;   Parent Loop BB49_63 Depth=1
                                        ; =>  This Inner Loop Header: Depth=2
	v_mov_b32_e32 v22, s21
	ds_read2_b32 v[8:9], v22 offset1:1
	ds_read2_b32 v[10:11], v22 offset0:2 offset1:3
	ds_read2_b32 v[12:13], v22 offset0:4 offset1:5
	;; [unrolled: 1-line block ×7, first 2 shown]
	s_waitcnt lgkmcnt(7)
	v_cmp_gt_i32_e32 vcc, v7, v9
	v_cndmask_b32_e64 v9, 0, 1, vcc
	v_cmp_gt_i32_e32 vcc, v7, v8
	s_waitcnt lgkmcnt(5)
	v_cmp_gt_i32_e64 s[4:5], v7, v12
	v_cndmask_b32_e64 v8, 0, 1, vcc
	v_cmp_gt_i32_e32 vcc, v7, v11
	v_cndmask_b32_e64 v11, 0, 1, s[4:5]
	v_cmp_gt_i32_e64 s[4:5], v7, v13
	v_cndmask_b32_e64 v12, 0, 1, s[4:5]
	s_waitcnt lgkmcnt(3)
	v_cmp_gt_i32_e64 s[4:5], v7, v17
	v_cndmask_b32_e64 v13, 0, 1, s[4:5]
	v_cmp_gt_i32_e64 s[4:5], v7, v16
	v_cndmask_b32_e64 v16, 0, 1, s[4:5]
	s_waitcnt lgkmcnt(1)
	v_cmp_gt_i32_e64 s[4:5], v7, v20
	v_cndmask_b32_e64 v17, 0, 1, s[4:5]
	v_cmp_gt_i32_e64 s[4:5], v7, v21
	v_cndmask_b32_e64 v20, 0, 1, s[4:5]
	v_cmp_gt_i32_e64 s[4:5], v7, v10
	v_addc_co_u32_e64 v4, s[4:5], v4, v8, s[4:5]
	v_addc_co_u32_e32 v5, vcc, v5, v9, vcc
	v_cmp_gt_i32_e32 vcc, v7, v14
	v_cmp_gt_i32_e64 s[4:5], v7, v15
	v_addc_co_u32_e64 v5, s[4:5], v5, v12, s[4:5]
	v_addc_co_u32_e32 v4, vcc, v4, v11, vcc
	v_cmp_gt_i32_e32 vcc, v7, v19
	v_cmp_gt_i32_e64 s[4:5], v7, v18
	v_addc_co_u32_e64 v4, s[4:5], v4, v16, s[4:5]
	v_addc_co_u32_e32 v5, vcc, v5, v13, vcc
	s_add_i32 s15, s15, 16
	s_add_i32 s21, s21, 64
	s_add_i32 s22, s22, -8
	s_waitcnt lgkmcnt(0)
	v_cmp_gt_i32_e32 vcc, v7, v22
	v_cmp_gt_i32_e64 s[4:5], v7, v23
	s_cmp_lg_u32 s22, 0
	v_addc_co_u32_e64 v5, s[4:5], v5, v20, s[4:5]
	v_addc_co_u32_e32 v4, vcc, v4, v17, vcc
	s_cbranch_scc1 .LBB49_66
; %bb.67:                               ;   in Loop: Header=BB49_63 Depth=1
	s_and_b64 vcc, exec, s[2:3]
	s_cbranch_vccz .LBB49_70
	s_branch .LBB49_72
.LBB49_68:                              ;   in Loop: Header=BB49_63 Depth=1
	v_mov_b32_e32 v4, s6
	s_mov_b32 s15, 0
	s_cbranch_execz .LBB49_62
	s_branch .LBB49_73
.LBB49_69:                              ;   in Loop: Header=BB49_63 Depth=1
	v_pk_mov_b32 v[4:5], s[6:7], s[6:7] op_sel:[0,1]
	s_mov_b32 s15, 0
	s_and_b64 vcc, exec, s[2:3]
	s_cbranch_vccnz .LBB49_72
.LBB49_70:                              ;   in Loop: Header=BB49_63 Depth=1
	s_lshl_b32 s4, s15, 2
	s_add_i32 s4, s4, 0
	s_mov_b32 s5, s19
.LBB49_71:                              ;   Parent Loop BB49_63 Depth=1
                                        ; =>  This Inner Loop Header: Depth=2
	v_mov_b32_e32 v8, s4
	ds_read2_b32 v[8:9], v8 offset1:1
	s_add_i32 s4, s4, 8
	s_add_i32 s5, s5, -8
	s_cmp_lg_u32 s5, 0
	s_waitcnt lgkmcnt(0)
	v_cmp_gt_i32_e32 vcc, v7, v9
	v_addc_co_u32_e32 v5, vcc, 0, v5, vcc
	v_cmp_gt_i32_e32 vcc, v7, v8
	v_addc_co_u32_e32 v4, vcc, 0, v4, vcc
	s_cbranch_scc1 .LBB49_71
.LBB49_72:                              ;   in Loop: Header=BB49_63 Depth=1
	v_add_u32_e32 v4, v4, v5
	s_mov_b32 s15, s17
	s_mov_b64 s[4:5], s[10:11]
	s_and_b64 vcc, exec, s[4:5]
	s_cbranch_vccz .LBB49_62
.LBB49_73:                              ;   in Loop: Header=BB49_63 Depth=1
	s_lshl_b32 s4, s15, 2
	s_add_i32 s4, s4, 0
.LBB49_74:                              ;   Parent Loop BB49_63 Depth=1
                                        ; =>  This Inner Loop Header: Depth=2
	v_mov_b32_e32 v5, s4
	ds_read_b32 v5, v5
	s_add_i32 s15, s15, 1
	s_add_i32 s4, s4, 4
	s_cmp_ge_i32 s15, s16
	s_waitcnt lgkmcnt(0)
	v_cmp_gt_i32_e32 vcc, v7, v5
	v_addc_co_u32_e32 v4, vcc, 0, v4, vcc
	s_cbranch_scc0 .LBB49_74
	s_branch .LBB49_62
.LBB49_75:
	s_endpgm
	.section	.rodata,"a",@progbits
	.p2align	6, 0x0
	.amdhsa_kernel _ZN9rocsparseL26csrgemm_fill_block_per_rowILj128ELj16ELj256ELj137ELj64Eii21rocsparse_complex_numIfEEEvT5_PKS3_S5_NS_24const_host_device_scalarIT6_EEPKT4_S5_PKS7_SB_S5_SD_S8_SB_S5_SD_SB_PS3_PS7_21rocsparse_index_base_SG_SG_SG_bbb
		.amdhsa_group_segment_fixed_size 0
		.amdhsa_private_segment_fixed_size 0
		.amdhsa_kernarg_size 156
		.amdhsa_user_sgpr_count 6
		.amdhsa_user_sgpr_private_segment_buffer 1
		.amdhsa_user_sgpr_dispatch_ptr 0
		.amdhsa_user_sgpr_queue_ptr 0
		.amdhsa_user_sgpr_kernarg_segment_ptr 1
		.amdhsa_user_sgpr_dispatch_id 0
		.amdhsa_user_sgpr_flat_scratch_init 0
		.amdhsa_user_sgpr_kernarg_preload_length 0
		.amdhsa_user_sgpr_kernarg_preload_offset 0
		.amdhsa_user_sgpr_private_segment_size 0
		.amdhsa_uses_dynamic_stack 0
		.amdhsa_system_sgpr_private_segment_wavefront_offset 0
		.amdhsa_system_sgpr_workgroup_id_x 1
		.amdhsa_system_sgpr_workgroup_id_y 0
		.amdhsa_system_sgpr_workgroup_id_z 0
		.amdhsa_system_sgpr_workgroup_info 0
		.amdhsa_system_vgpr_workitem_id 0
		.amdhsa_next_free_vgpr 24
		.amdhsa_next_free_sgpr 59
		.amdhsa_accum_offset 24
		.amdhsa_reserve_vcc 1
		.amdhsa_reserve_flat_scratch 0
		.amdhsa_float_round_mode_32 0
		.amdhsa_float_round_mode_16_64 0
		.amdhsa_float_denorm_mode_32 3
		.amdhsa_float_denorm_mode_16_64 3
		.amdhsa_dx10_clamp 1
		.amdhsa_ieee_mode 1
		.amdhsa_fp16_overflow 0
		.amdhsa_tg_split 0
		.amdhsa_exception_fp_ieee_invalid_op 0
		.amdhsa_exception_fp_denorm_src 0
		.amdhsa_exception_fp_ieee_div_zero 0
		.amdhsa_exception_fp_ieee_overflow 0
		.amdhsa_exception_fp_ieee_underflow 0
		.amdhsa_exception_fp_ieee_inexact 0
		.amdhsa_exception_int_div_zero 0
	.end_amdhsa_kernel
	.section	.text._ZN9rocsparseL26csrgemm_fill_block_per_rowILj128ELj16ELj256ELj137ELj64Eii21rocsparse_complex_numIfEEEvT5_PKS3_S5_NS_24const_host_device_scalarIT6_EEPKT4_S5_PKS7_SB_S5_SD_S8_SB_S5_SD_SB_PS3_PS7_21rocsparse_index_base_SG_SG_SG_bbb,"axG",@progbits,_ZN9rocsparseL26csrgemm_fill_block_per_rowILj128ELj16ELj256ELj137ELj64Eii21rocsparse_complex_numIfEEEvT5_PKS3_S5_NS_24const_host_device_scalarIT6_EEPKT4_S5_PKS7_SB_S5_SD_S8_SB_S5_SD_SB_PS3_PS7_21rocsparse_index_base_SG_SG_SG_bbb,comdat
.Lfunc_end49:
	.size	_ZN9rocsparseL26csrgemm_fill_block_per_rowILj128ELj16ELj256ELj137ELj64Eii21rocsparse_complex_numIfEEEvT5_PKS3_S5_NS_24const_host_device_scalarIT6_EEPKT4_S5_PKS7_SB_S5_SD_S8_SB_S5_SD_SB_PS3_PS7_21rocsparse_index_base_SG_SG_SG_bbb, .Lfunc_end49-_ZN9rocsparseL26csrgemm_fill_block_per_rowILj128ELj16ELj256ELj137ELj64Eii21rocsparse_complex_numIfEEEvT5_PKS3_S5_NS_24const_host_device_scalarIT6_EEPKT4_S5_PKS7_SB_S5_SD_S8_SB_S5_SD_SB_PS3_PS7_21rocsparse_index_base_SG_SG_SG_bbb
                                        ; -- End function
	.section	.AMDGPU.csdata,"",@progbits
; Kernel info:
; codeLenInByte = 2728
; NumSgprs: 63
; NumVgprs: 24
; NumAgprs: 0
; TotalNumVgprs: 24
; ScratchSize: 0
; MemoryBound: 0
; FloatMode: 240
; IeeeMode: 1
; LDSByteSize: 0 bytes/workgroup (compile time only)
; SGPRBlocks: 7
; VGPRBlocks: 2
; NumSGPRsForWavesPerEU: 63
; NumVGPRsForWavesPerEU: 24
; AccumOffset: 24
; Occupancy: 8
; WaveLimiterHint : 1
; COMPUTE_PGM_RSRC2:SCRATCH_EN: 0
; COMPUTE_PGM_RSRC2:USER_SGPR: 6
; COMPUTE_PGM_RSRC2:TRAP_HANDLER: 0
; COMPUTE_PGM_RSRC2:TGID_X_EN: 1
; COMPUTE_PGM_RSRC2:TGID_Y_EN: 0
; COMPUTE_PGM_RSRC2:TGID_Z_EN: 0
; COMPUTE_PGM_RSRC2:TIDIG_COMP_CNT: 0
; COMPUTE_PGM_RSRC3_GFX90A:ACCUM_OFFSET: 5
; COMPUTE_PGM_RSRC3_GFX90A:TG_SPLIT: 0
	.section	.text._ZN9rocsparseL26csrgemm_fill_block_per_rowILj256ELj32ELj512ELj137ELj32Eii21rocsparse_complex_numIfEEEvT5_PKS3_S5_NS_24const_host_device_scalarIT6_EEPKT4_S5_PKS7_SB_S5_SD_S8_SB_S5_SD_SB_PS3_PS7_21rocsparse_index_base_SG_SG_SG_bbb,"axG",@progbits,_ZN9rocsparseL26csrgemm_fill_block_per_rowILj256ELj32ELj512ELj137ELj32Eii21rocsparse_complex_numIfEEEvT5_PKS3_S5_NS_24const_host_device_scalarIT6_EEPKT4_S5_PKS7_SB_S5_SD_S8_SB_S5_SD_SB_PS3_PS7_21rocsparse_index_base_SG_SG_SG_bbb,comdat
	.globl	_ZN9rocsparseL26csrgemm_fill_block_per_rowILj256ELj32ELj512ELj137ELj32Eii21rocsparse_complex_numIfEEEvT5_PKS3_S5_NS_24const_host_device_scalarIT6_EEPKT4_S5_PKS7_SB_S5_SD_S8_SB_S5_SD_SB_PS3_PS7_21rocsparse_index_base_SG_SG_SG_bbb ; -- Begin function _ZN9rocsparseL26csrgemm_fill_block_per_rowILj256ELj32ELj512ELj137ELj32Eii21rocsparse_complex_numIfEEEvT5_PKS3_S5_NS_24const_host_device_scalarIT6_EEPKT4_S5_PKS7_SB_S5_SD_S8_SB_S5_SD_SB_PS3_PS7_21rocsparse_index_base_SG_SG_SG_bbb
	.p2align	8
	.type	_ZN9rocsparseL26csrgemm_fill_block_per_rowILj256ELj32ELj512ELj137ELj32Eii21rocsparse_complex_numIfEEEvT5_PKS3_S5_NS_24const_host_device_scalarIT6_EEPKT4_S5_PKS7_SB_S5_SD_S8_SB_S5_SD_SB_PS3_PS7_21rocsparse_index_base_SG_SG_SG_bbb,@function
_ZN9rocsparseL26csrgemm_fill_block_per_rowILj256ELj32ELj512ELj137ELj32Eii21rocsparse_complex_numIfEEEvT5_PKS3_S5_NS_24const_host_device_scalarIT6_EEPKT4_S5_PKS7_SB_S5_SD_S8_SB_S5_SD_SB_PS3_PS7_21rocsparse_index_base_SG_SG_SG_bbb: ; @_ZN9rocsparseL26csrgemm_fill_block_per_rowILj256ELj32ELj512ELj137ELj32Eii21rocsparse_complex_numIfEEEvT5_PKS3_S5_NS_24const_host_device_scalarIT6_EEPKT4_S5_PKS7_SB_S5_SD_S8_SB_S5_SD_SB_PS3_PS7_21rocsparse_index_base_SG_SG_SG_bbb
; %bb.0:
	s_load_dwordx8 s[12:19], s[4:5], 0x60
	s_load_dwordx8 s[20:27], s[4:5], 0x40
	s_load_dword s7, s[4:5], 0x98
	s_load_dwordx4 s[8:11], s[4:5], 0x8
	s_load_dwordx8 s[36:43], s[4:5], 0x20
	s_load_dwordx2 s[34:35], s[4:5], 0x80
	s_load_dwordx4 s[28:31], s[4:5], 0x88
	s_waitcnt lgkmcnt(0)
	s_bitcmp1_b32 s7, 0
	s_cselect_b64 s[46:47], -1, 0
	s_bitcmp1_b32 s7, 16
	s_cselect_b64 s[0:1], -1, 0
	s_xor_b64 s[0:1], s[0:1], -1
	v_cndmask_b32_e64 v1, 0, 1, s[0:1]
	s_mov_b32 s3, 0
	s_bitcmp0_b32 s7, 0
	v_cmp_ne_u32_e64 s[0:1], 1, v1
	s_mov_b32 s58, 0
	s_cbranch_scc1 .LBB50_5
; %bb.1:
	s_load_dwordx2 s[2:3], s[4:5], 0x18
	s_and_b64 vcc, exec, s[0:1]
	s_waitcnt lgkmcnt(0)
	s_mov_b32 s58, s2
	s_cbranch_vccnz .LBB50_3
; %bb.2:
	s_load_dword s58, s[2:3], 0x0
.LBB50_3:
	s_and_b64 vcc, exec, s[0:1]
	s_cbranch_vccnz .LBB50_5
; %bb.4:
	s_load_dword s3, s[2:3], 0x4
.LBB50_5:
	s_bitcmp1_b32 s7, 8
	s_cselect_b64 s[44:45], -1, 0
	s_bfe_u32 s2, s7, 0x10008
	s_mov_b32 s57, 0
	s_cmp_eq_u32 s2, 0
	s_mov_b32 s56, 0
	s_cbranch_scc1 .LBB50_11
; %bb.6:
	s_and_b64 vcc, exec, s[0:1]
	s_mov_b32 s56, s24
	s_cbranch_vccnz .LBB50_8
; %bb.7:
	s_load_dword s56, s[24:25], 0x0
.LBB50_8:
	s_and_b64 vcc, exec, s[0:1]
	s_cbranch_vccnz .LBB50_10
; %bb.9:
	s_load_dword s25, s[24:25], 0x4
.LBB50_10:
	s_waitcnt lgkmcnt(0)
	s_mov_b32 s57, s25
.LBB50_11:
	s_load_dword s33, s[4:5], 0x0
	s_movk_i32 s0, 0x200
	v_cmp_gt_u32_e64 s[0:1], s0, v0
	v_lshl_add_u32 v6, v0, 3, 0
	v_lshl_add_u32 v1, v0, 2, 0
	s_and_saveexec_b64 s[4:5], s[0:1]
	s_cbranch_execz .LBB50_14
; %bb.12:
	v_add_u32_e32 v2, 0x800, v6
	v_or_b32_e32 v3, 0xffffff00, v0
	v_lshl_add_u32 v4, v0, 2, 0
	s_mov_b64 s[24:25], 0
	s_waitcnt lgkmcnt(0)
	v_mov_b32_e32 v5, s33
	v_mov_b32_e32 v7, 0
.LBB50_13:                              ; =>This Inner Loop Header: Depth=1
	v_add_co_u32_e32 v3, vcc, 0x100, v3
	s_xor_b64 s[48:49], vcc, -1
	s_and_b64 s[48:49], exec, s[48:49]
	ds_write_b32 v4, v5
	ds_write2_b32 v2, v7, v7 offset1:1
	v_add_u32_e32 v2, 0x800, v2
	s_or_b64 s[24:25], s[48:49], s[24:25]
	v_add_u32_e32 v4, 0x400, v4
	s_andn2_b64 exec, exec, s[24:25]
	s_cbranch_execnz .LBB50_13
.LBB50_14:
	s_or_b64 exec, exec, s[4:5]
	s_waitcnt lgkmcnt(0)
	s_barrier
	s_load_dword s2, s[8:9], 0x0
	s_mov_b32 s5, 0
	v_lshrrev_b32_e32 v7, 5, v0
	s_waitcnt lgkmcnt(0)
	s_add_i32 s4, s2, s6
	s_lshl_b64 s[4:5], s[4:5], 2
	s_add_u32 s4, s10, s4
	s_addc_u32 s5, s11, s5
	s_load_dword s24, s[4:5], 0x0
	s_and_b64 vcc, exec, s[46:47]
	s_cbranch_vccz .LBB50_34
; %bb.15:
	s_waitcnt lgkmcnt(0)
	s_ashr_i32 s25, s24, 31
	s_lshl_b64 s[4:5], s[24:25], 2
	s_add_u32 s4, s36, s4
	s_addc_u32 s5, s37, s5
	s_load_dwordx2 s[4:5], s[4:5], 0x0
	v_subrev_u32_e32 v2, s28, v7
	s_waitcnt lgkmcnt(0)
	s_sub_i32 s2, s5, s28
	v_add_u32_e32 v2, s4, v2
	v_cmp_gt_i32_e32 vcc, s2, v2
	s_and_saveexec_b64 s[4:5], vcc
	s_cbranch_execz .LBB50_33
; %bb.16:
	v_and_b32_e32 v3, 31, v0
	v_subrev_u32_e32 v8, s29, v3
	s_mov_b64 s[6:7], 0
	v_mov_b32_e32 v9, s39
	v_mov_b32_e32 v10, s43
	s_movk_i32 s25, 0x89
	s_branch .LBB50_18
.LBB50_17:                              ;   in Loop: Header=BB50_18 Depth=1
	s_or_b64 exec, exec, s[8:9]
	v_add_u32_e32 v2, 8, v2
	v_cmp_le_i32_e32 vcc, s2, v2
	s_or_b64 s[6:7], vcc, s[6:7]
	s_andn2_b64 exec, exec, s[6:7]
	s_cbranch_execz .LBB50_33
.LBB50_18:                              ; =>This Loop Header: Depth=1
                                        ;     Child Loop BB50_21 Depth 2
                                        ;       Child Loop BB50_23 Depth 3
	v_ashrrev_i32_e32 v3, 31, v2
	v_lshlrev_b64 v[4:5], 2, v[2:3]
	v_add_co_u32_e32 v4, vcc, s38, v4
	v_addc_co_u32_e32 v5, vcc, v9, v5, vcc
	global_load_dword v4, v[4:5], off
	s_waitcnt vmcnt(0)
	v_subrev_u32_e32 v4, s28, v4
	v_ashrrev_i32_e32 v5, 31, v4
	v_lshlrev_b64 v[4:5], 2, v[4:5]
	v_add_co_u32_e32 v4, vcc, s42, v4
	v_addc_co_u32_e32 v5, vcc, v10, v5, vcc
	global_load_dwordx2 v[4:5], v[4:5], off
	s_waitcnt vmcnt(0)
	v_subrev_u32_e32 v11, s29, v5
	v_add_u32_e32 v4, v4, v8
	v_cmp_lt_i32_e32 vcc, v4, v11
	s_and_saveexec_b64 s[8:9], vcc
	s_cbranch_execz .LBB50_17
; %bb.19:                               ;   in Loop: Header=BB50_18 Depth=1
	v_lshlrev_b64 v[12:13], 3, v[2:3]
	v_mov_b32_e32 v3, s41
	v_add_co_u32_e32 v12, vcc, s40, v12
	v_addc_co_u32_e32 v13, vcc, v3, v13, vcc
	global_load_dwordx2 v[14:15], v[12:13], off
	s_mov_b64 s[10:11], 0
	s_waitcnt vmcnt(0)
	v_mul_f32_e64 v3, v15, -s3
	v_mul_f32_e32 v12, s58, v15
	v_fmac_f32_e32 v3, s58, v14
	v_fmac_f32_e32 v12, s3, v14
	s_branch .LBB50_21
.LBB50_20:                              ;   in Loop: Header=BB50_21 Depth=2
	s_or_b64 exec, exec, s[36:37]
	v_add_u32_e32 v4, 32, v4
	v_cmp_ge_i32_e32 vcc, v4, v11
	s_or_b64 s[10:11], vcc, s[10:11]
	s_andn2_b64 exec, exec, s[10:11]
	s_cbranch_execz .LBB50_17
.LBB50_21:                              ;   Parent Loop BB50_18 Depth=1
                                        ; =>  This Loop Header: Depth=2
                                        ;       Child Loop BB50_23 Depth 3
	v_ashrrev_i32_e32 v5, 31, v4
	v_lshlrev_b64 v[14:15], 2, v[4:5]
	v_mov_b32_e32 v13, s21
	v_add_co_u32_e32 v14, vcc, s20, v14
	v_addc_co_u32_e32 v15, vcc, v13, v15, vcc
	global_load_dword v13, v[14:15], off
	v_lshlrev_b64 v[14:15], 3, v[4:5]
	v_mov_b32_e32 v5, s23
	v_add_co_u32_e32 v14, vcc, s22, v14
	v_addc_co_u32_e32 v15, vcc, v5, v15, vcc
	global_load_dwordx2 v[16:17], v[14:15], off
	s_mov_b64 s[36:37], 0
	s_waitcnt vmcnt(1)
	v_subrev_u32_e32 v5, s29, v13
	v_mul_lo_u32 v15, v5, s25
	v_and_b32_e32 v15, 0x1ff, v15
	s_waitcnt vmcnt(0)
	v_mul_f32_e64 v13, v17, -v12
	v_mul_f32_e32 v14, v3, v17
	v_fmac_f32_e32 v13, v3, v16
	v_fmac_f32_e32 v14, v12, v16
	s_branch .LBB50_23
.LBB50_22:                              ;   in Loop: Header=BB50_23 Depth=3
	s_or_b64 exec, exec, s[46:47]
	s_xor_b64 s[46:47], s[48:49], -1
	s_and_b64 s[46:47], exec, s[46:47]
	s_or_b64 s[36:37], s[46:47], s[36:37]
	s_andn2_b64 exec, exec, s[36:37]
	s_cbranch_execz .LBB50_20
.LBB50_23:                              ;   Parent Loop BB50_18 Depth=1
                                        ;     Parent Loop BB50_21 Depth=2
                                        ; =>    This Inner Loop Header: Depth=3
	v_lshl_add_u32 v16, v15, 2, 0
	ds_read_b32 v17, v16
                                        ; implicit-def: $sgpr48_sgpr49
	s_waitcnt lgkmcnt(0)
	v_cmp_ne_u32_e32 vcc, v17, v5
	s_and_saveexec_b64 s[46:47], vcc
	s_xor_b64 s[46:47], exec, s[46:47]
	s_cbranch_execz .LBB50_31
; %bb.24:                               ;   in Loop: Header=BB50_23 Depth=3
	v_cmp_ne_u32_e32 vcc, s33, v17
                                        ; implicit-def: $sgpr48_sgpr49
	s_and_saveexec_b64 s[50:51], vcc
	s_xor_b64 s[50:51], exec, s[50:51]
; %bb.25:                               ;   in Loop: Header=BB50_23 Depth=3
	v_add_u32_e32 v15, 1, v15
	v_and_b32_e32 v15, 0x1ff, v15
	s_mov_b64 s[48:49], -1
                                        ; implicit-def: $vgpr16
; %bb.26:                               ;   in Loop: Header=BB50_23 Depth=3
	s_andn2_saveexec_b64 s[50:51], s[50:51]
	s_cbranch_execz .LBB50_30
; %bb.27:                               ;   in Loop: Header=BB50_23 Depth=3
	v_mov_b32_e32 v17, s33
	ds_cmpst_rtn_b32 v17, v16, v17, v5
	s_mov_b64 s[52:53], -1
	s_waitcnt lgkmcnt(0)
	v_cmp_eq_u32_e32 vcc, s33, v17
	s_and_saveexec_b64 s[54:55], vcc
	s_cbranch_execz .LBB50_29
; %bb.28:                               ;   in Loop: Header=BB50_23 Depth=3
	v_lshl_add_u32 v16, v15, 2, v16
	ds_add_f32 v16, v13 offset:2048
	ds_add_f32 v16, v14 offset:2052
	s_xor_b64 s[52:53], exec, -1
.LBB50_29:                              ;   in Loop: Header=BB50_23 Depth=3
	s_or_b64 exec, exec, s[54:55]
	s_andn2_b64 s[48:49], s[48:49], exec
	s_and_b64 s[52:53], s[52:53], exec
	s_or_b64 s[48:49], s[48:49], s[52:53]
.LBB50_30:                              ;   in Loop: Header=BB50_23 Depth=3
	s_or_b64 exec, exec, s[50:51]
	s_and_b64 s[48:49], s[48:49], exec
                                        ; implicit-def: $vgpr16
.LBB50_31:                              ;   in Loop: Header=BB50_23 Depth=3
	s_andn2_saveexec_b64 s[46:47], s[46:47]
	s_cbranch_execz .LBB50_22
; %bb.32:                               ;   in Loop: Header=BB50_23 Depth=3
	v_lshl_add_u32 v16, v15, 2, v16
	ds_add_f32 v16, v13 offset:2048
	ds_add_f32 v16, v14 offset:2052
	s_andn2_b64 s[48:49], s[48:49], exec
	s_branch .LBB50_22
.LBB50_33:
	s_or_b64 exec, exec, s[4:5]
.LBB50_34:
	s_andn2_b64 vcc, exec, s[44:45]
	s_cbranch_vccnz .LBB50_51
; %bb.35:
	s_waitcnt lgkmcnt(0)
	s_ashr_i32 s25, s24, 31
	s_lshl_b64 s[2:3], s[24:25], 2
	s_add_u32 s2, s26, s2
	s_addc_u32 s3, s27, s3
	s_load_dwordx2 s[2:3], s[2:3], 0x0
	v_subrev_u32_e32 v2, s31, v0
	s_waitcnt lgkmcnt(0)
	s_sub_i32 s25, s3, s31
	v_add_u32_e32 v2, s2, v2
	v_cmp_gt_i32_e32 vcc, s25, v2
	s_and_saveexec_b64 s[2:3], vcc
	s_cbranch_execz .LBB50_50
; %bb.36:
	s_mov_b64 s[4:5], 0
	v_mov_b32_e32 v4, s13
	v_mov_b32_e32 v5, s15
	s_movk_i32 s13, 0x89
	s_branch .LBB50_38
.LBB50_37:                              ;   in Loop: Header=BB50_38 Depth=1
	s_or_b64 exec, exec, s[6:7]
	v_add_u32_e32 v2, 0x100, v2
	v_cmp_le_i32_e32 vcc, s25, v2
	s_or_b64 s[4:5], vcc, s[4:5]
	s_andn2_b64 exec, exec, s[4:5]
	s_cbranch_execz .LBB50_50
.LBB50_38:                              ; =>This Loop Header: Depth=1
                                        ;     Child Loop BB50_40 Depth 2
	v_ashrrev_i32_e32 v3, 31, v2
	v_lshlrev_b64 v[8:9], 2, v[2:3]
	v_add_co_u32_e32 v8, vcc, s12, v8
	v_addc_co_u32_e32 v9, vcc, v4, v9, vcc
	global_load_dword v12, v[8:9], off
	v_lshlrev_b64 v[8:9], 3, v[2:3]
	v_add_co_u32_e32 v8, vcc, s14, v8
	v_addc_co_u32_e32 v9, vcc, v5, v9, vcc
	global_load_dwordx2 v[10:11], v[8:9], off
	s_mov_b64 s[6:7], 0
	s_waitcnt vmcnt(1)
	v_subrev_u32_e32 v3, s31, v12
	s_waitcnt vmcnt(0)
	v_mul_f32_e64 v8, v11, -s57
	v_mul_f32_e32 v9, s56, v11
	v_fmac_f32_e32 v8, s56, v10
	v_fmac_f32_e32 v9, s57, v10
	v_mul_lo_u32 v10, v3, s13
	v_and_b32_e32 v10, 0x1ff, v10
	s_branch .LBB50_40
.LBB50_39:                              ;   in Loop: Header=BB50_40 Depth=2
	s_or_b64 exec, exec, s[8:9]
	s_xor_b64 s[8:9], s[10:11], -1
	s_and_b64 s[8:9], exec, s[8:9]
	s_or_b64 s[6:7], s[8:9], s[6:7]
	s_andn2_b64 exec, exec, s[6:7]
	s_cbranch_execz .LBB50_37
.LBB50_40:                              ;   Parent Loop BB50_38 Depth=1
                                        ; =>  This Inner Loop Header: Depth=2
	v_lshl_add_u32 v11, v10, 2, 0
	ds_read_b32 v12, v11
                                        ; implicit-def: $sgpr10_sgpr11
	s_waitcnt lgkmcnt(0)
	v_cmp_ne_u32_e32 vcc, v12, v3
	s_and_saveexec_b64 s[8:9], vcc
	s_xor_b64 s[8:9], exec, s[8:9]
	s_cbranch_execz .LBB50_48
; %bb.41:                               ;   in Loop: Header=BB50_40 Depth=2
	v_cmp_ne_u32_e32 vcc, s33, v12
                                        ; implicit-def: $sgpr10_sgpr11
	s_and_saveexec_b64 s[20:21], vcc
	s_xor_b64 s[20:21], exec, s[20:21]
; %bb.42:                               ;   in Loop: Header=BB50_40 Depth=2
	v_add_u32_e32 v10, 1, v10
	v_and_b32_e32 v10, 0x1ff, v10
	s_mov_b64 s[10:11], -1
                                        ; implicit-def: $vgpr11
; %bb.43:                               ;   in Loop: Header=BB50_40 Depth=2
	s_andn2_saveexec_b64 s[20:21], s[20:21]
	s_cbranch_execz .LBB50_47
; %bb.44:                               ;   in Loop: Header=BB50_40 Depth=2
	v_mov_b32_e32 v12, s33
	ds_cmpst_rtn_b32 v12, v11, v12, v3
	s_mov_b64 s[22:23], -1
	s_waitcnt lgkmcnt(0)
	v_cmp_eq_u32_e32 vcc, s33, v12
	s_and_saveexec_b64 s[26:27], vcc
	s_cbranch_execz .LBB50_46
; %bb.45:                               ;   in Loop: Header=BB50_40 Depth=2
	v_lshl_add_u32 v11, v10, 2, v11
	ds_add_f32 v11, v8 offset:2048
	ds_add_f32 v11, v9 offset:2052
	s_xor_b64 s[22:23], exec, -1
.LBB50_46:                              ;   in Loop: Header=BB50_40 Depth=2
	s_or_b64 exec, exec, s[26:27]
	s_andn2_b64 s[10:11], s[10:11], exec
	s_and_b64 s[22:23], s[22:23], exec
	s_or_b64 s[10:11], s[10:11], s[22:23]
.LBB50_47:                              ;   in Loop: Header=BB50_40 Depth=2
	s_or_b64 exec, exec, s[20:21]
	s_and_b64 s[10:11], s[10:11], exec
                                        ; implicit-def: $vgpr11
.LBB50_48:                              ;   in Loop: Header=BB50_40 Depth=2
	s_andn2_saveexec_b64 s[8:9], s[8:9]
	s_cbranch_execz .LBB50_39
; %bb.49:                               ;   in Loop: Header=BB50_40 Depth=2
	v_lshl_add_u32 v11, v10, 2, v11
	ds_add_f32 v11, v8 offset:2048
	ds_add_f32 v11, v9 offset:2052
	s_andn2_b64 s[10:11], s[10:11], exec
	s_branch .LBB50_39
.LBB50_50:
	s_or_b64 exec, exec, s[2:3]
.LBB50_51:
	s_waitcnt lgkmcnt(0)
	s_barrier
	s_and_saveexec_b64 s[20:21], s[0:1]
	s_cbranch_execz .LBB50_72
; %bb.52:
	v_mbcnt_lo_u32_b32 v2, -1, 0
	v_mbcnt_hi_u32_b32 v2, -1, v2
	v_sub_u32_e32 v2, 63, v2
	s_movk_i32 s0, 0xff
	s_movk_i32 s6, 0x5f
	;; [unrolled: 1-line block ×6, first 2 shown]
	v_mov_b32_e32 v8, 0
	v_lshrrev_b64 v[2:3], v2, -1
	v_lshl_add_u32 v7, v7, 2, 0
	v_cmp_eq_u32_e64 s[0:1], s0, v0
	v_cmp_lt_u32_e64 s[2:3], 31, v0
	v_cmp_lt_u32_e64 s[4:5], 63, v0
	;; [unrolled: 1-line block ×7, first 2 shown]
	v_add_u32_e32 v6, 0x800, v6
	v_or_b32_e32 v9, 0xffffff00, v0
	s_mov_b64 s[22:23], 0
	v_mov_b32_e32 v10, 0
	s_branch .LBB50_54
.LBB50_53:                              ;   in Loop: Header=BB50_54 Depth=1
	s_or_b64 exec, exec, s[26:27]
	s_waitcnt lgkmcnt(0)
	s_barrier
	ds_read_b32 v4, v8 offset:6172
	v_add_co_u32_e32 v9, vcc, 0x100, v9
	s_xor_b64 s[26:27], vcc, -1
	s_and_b64 s[26:27], exec, s[26:27]
	v_add_u32_e32 v6, 0x800, v6
	s_waitcnt lgkmcnt(0)
	v_add_u32_e32 v10, v4, v10
	s_or_b64 s[22:23], s[26:27], s[22:23]
	v_add_u32_e32 v1, 0x400, v1
	s_andn2_b64 exec, exec, s[22:23]
	s_cbranch_execz .LBB50_72
.LBB50_54:                              ; =>This Inner Loop Header: Depth=1
	ds_read_b32 v11, v1
	ds_read2_b32 v[4:5], v6 offset1:1
	s_waitcnt lgkmcnt(0)
	s_barrier
	v_cmp_gt_i32_e32 vcc, s33, v11
	v_and_b32_e32 v13, vcc_lo, v2
	s_bcnt1_i32_b64 s25, vcc
	v_and_b32_e32 v12, vcc_hi, v3
	v_bcnt_u32_b32 v13, v13, 0
	v_bcnt_u32_b32 v12, v12, v13
	v_mov_b32_e32 v13, s25
	ds_write_b32 v7, v13 offset:6144
	s_waitcnt lgkmcnt(0)
	s_barrier
	s_and_saveexec_b64 s[26:27], s[2:3]
	s_cbranch_execnz .LBB50_63
; %bb.55:                               ;   in Loop: Header=BB50_54 Depth=1
	s_or_b64 exec, exec, s[26:27]
	s_and_saveexec_b64 s[26:27], s[4:5]
	s_cbranch_execnz .LBB50_64
.LBB50_56:                              ;   in Loop: Header=BB50_54 Depth=1
	s_or_b64 exec, exec, s[26:27]
	s_and_saveexec_b64 s[26:27], s[6:7]
	s_cbranch_execnz .LBB50_65
.LBB50_57:                              ;   in Loop: Header=BB50_54 Depth=1
	s_or_b64 exec, exec, s[26:27]
	s_and_saveexec_b64 s[26:27], s[8:9]
	s_cbranch_execnz .LBB50_66
.LBB50_58:                              ;   in Loop: Header=BB50_54 Depth=1
	s_or_b64 exec, exec, s[26:27]
	s_and_saveexec_b64 s[26:27], s[10:11]
	s_cbranch_execnz .LBB50_67
.LBB50_59:                              ;   in Loop: Header=BB50_54 Depth=1
	s_or_b64 exec, exec, s[26:27]
	s_and_saveexec_b64 s[26:27], s[12:13]
	s_cbranch_execnz .LBB50_68
.LBB50_60:                              ;   in Loop: Header=BB50_54 Depth=1
	s_or_b64 exec, exec, s[26:27]
	s_and_saveexec_b64 s[26:27], s[14:15]
	s_cbranch_execnz .LBB50_69
.LBB50_61:                              ;   in Loop: Header=BB50_54 Depth=1
	s_or_b64 exec, exec, s[26:27]
	s_and_saveexec_b64 s[26:27], vcc
	s_cbranch_execnz .LBB50_70
.LBB50_62:                              ;   in Loop: Header=BB50_54 Depth=1
	s_or_b64 exec, exec, s[26:27]
	s_and_saveexec_b64 s[26:27], s[0:1]
	s_cbranch_execz .LBB50_53
	s_branch .LBB50_71
.LBB50_63:                              ;   in Loop: Header=BB50_54 Depth=1
	ds_read_b32 v13, v8 offset:6144
	s_waitcnt lgkmcnt(0)
	v_add_u32_e32 v12, v13, v12
	s_or_b64 exec, exec, s[26:27]
	s_and_saveexec_b64 s[26:27], s[4:5]
	s_cbranch_execz .LBB50_56
.LBB50_64:                              ;   in Loop: Header=BB50_54 Depth=1
	ds_read_b32 v13, v8 offset:6148
	s_waitcnt lgkmcnt(0)
	v_add_u32_e32 v12, v13, v12
	s_or_b64 exec, exec, s[26:27]
	s_and_saveexec_b64 s[26:27], s[6:7]
	s_cbranch_execz .LBB50_57
.LBB50_65:                              ;   in Loop: Header=BB50_54 Depth=1
	ds_read_b32 v13, v8 offset:6152
	s_waitcnt lgkmcnt(0)
	v_add_u32_e32 v12, v13, v12
	s_or_b64 exec, exec, s[26:27]
	s_and_saveexec_b64 s[26:27], s[8:9]
	s_cbranch_execz .LBB50_58
.LBB50_66:                              ;   in Loop: Header=BB50_54 Depth=1
	ds_read_b32 v13, v8 offset:6156
	s_waitcnt lgkmcnt(0)
	v_add_u32_e32 v12, v13, v12
	s_or_b64 exec, exec, s[26:27]
	s_and_saveexec_b64 s[26:27], s[10:11]
	s_cbranch_execz .LBB50_59
.LBB50_67:                              ;   in Loop: Header=BB50_54 Depth=1
	ds_read_b32 v13, v8 offset:6160
	s_waitcnt lgkmcnt(0)
	v_add_u32_e32 v12, v13, v12
	s_or_b64 exec, exec, s[26:27]
	s_and_saveexec_b64 s[26:27], s[12:13]
	s_cbranch_execz .LBB50_60
.LBB50_68:                              ;   in Loop: Header=BB50_54 Depth=1
	ds_read_b32 v13, v8 offset:6164
	s_waitcnt lgkmcnt(0)
	v_add_u32_e32 v12, v13, v12
	s_or_b64 exec, exec, s[26:27]
	s_and_saveexec_b64 s[26:27], s[14:15]
	s_cbranch_execz .LBB50_61
.LBB50_69:                              ;   in Loop: Header=BB50_54 Depth=1
	ds_read_b32 v13, v8 offset:6168
	s_waitcnt lgkmcnt(0)
	v_add_u32_e32 v12, v13, v12
	s_or_b64 exec, exec, s[26:27]
	s_and_saveexec_b64 s[26:27], vcc
	s_cbranch_execz .LBB50_62
.LBB50_70:                              ;   in Loop: Header=BB50_54 Depth=1
	v_add3_u32 v13, v10, -1, v12
	v_lshl_add_u32 v14, v13, 2, 0
	v_lshl_add_u32 v13, v13, 3, 0
	v_add_u32_e32 v13, 0x800, v13
	ds_write_b32 v14, v11
	ds_write2_b32 v13, v4, v5 offset1:1
	s_or_b64 exec, exec, s[26:27]
	s_and_saveexec_b64 s[26:27], s[0:1]
	s_cbranch_execz .LBB50_53
.LBB50_71:                              ;   in Loop: Header=BB50_54 Depth=1
	ds_write_b32 v8, v12 offset:6172
	s_branch .LBB50_53
.LBB50_72:
	s_or_b64 exec, exec, s[20:21]
	s_ashr_i32 s25, s24, 31
	s_lshl_b64 s[0:1], s[24:25], 2
	s_add_u32 s0, s16, s0
	s_addc_u32 s1, s17, s1
	s_load_dwordx2 s[0:1], s[0:1], 0x0
	s_waitcnt lgkmcnt(0)
	s_sub_i32 s14, s1, s0
	v_cmp_gt_i32_e32 vcc, s14, v0
	s_and_saveexec_b64 s[2:3], vcc
	s_cbranch_execz .LBB50_87
; %bb.73:
	s_sub_i32 s6, s0, s30
	s_add_i32 s0, s14, -2
	s_lshr_b32 s1, s0, 1
	s_add_i32 s2, s1, 1
	s_cmp_gt_u32 s14, 1
	s_cselect_b64 s[8:9], -1, 0
	s_and_b32 s15, s14, -2
	s_and_b32 s4, s2, 7
	s_cmp_gt_u32 s0, 13
	s_cselect_b64 s[0:1], -1, 0
	s_and_b32 s16, s2, -8
	s_cmp_lg_u32 s4, 0
	s_cselect_b64 s[2:3], -1, 0
	v_cndmask_b32_e64 v1, 0, 1, s[0:1]
	s_cmp_lg_u32 s14, s15
	v_cmp_ne_u32_e64 s[0:1], 1, v1
	v_cndmask_b32_e64 v1, 0, 1, s[2:3]
	s_mov_b32 s7, 0
	s_cselect_b64 s[10:11], -1, 0
	s_lshl_b32 s17, s4, 3
	s_mov_b64 s[12:13], 0
	s_movk_i32 s20, 0x800
	v_cmp_ne_u32_e64 s[2:3], 1, v1
	v_mov_b32_e32 v1, s19
	v_mov_b32_e32 v6, s35
	s_branch .LBB50_75
.LBB50_74:                              ;   in Loop: Header=BB50_75 Depth=1
	v_ashrrev_i32_e32 v5, 31, v4
	v_lshlrev_b64 v[8:9], 2, v[4:5]
	v_add_co_u32_e32 v8, vcc, s18, v8
	v_addc_co_u32_e32 v9, vcc, v1, v9, vcc
	v_lshlrev_b64 v[4:5], 3, v[4:5]
	v_add_co_u32_e32 v4, vcc, s34, v4
	v_addc_co_u32_e32 v5, vcc, v6, v5, vcc
	v_add_u32_e32 v0, 0x100, v0
	v_cmp_le_i32_e32 vcc, s14, v0
	s_waitcnt lgkmcnt(1)
	v_add_u32_e32 v7, s30, v7
	s_or_b64 s[12:13], vcc, s[12:13]
	global_store_dword v[8:9], v7, off
	s_waitcnt lgkmcnt(0)
	global_store_dwordx2 v[4:5], v[2:3], off
	s_andn2_b64 exec, exec, s[12:13]
	s_cbranch_execz .LBB50_87
.LBB50_75:                              ; =>This Loop Header: Depth=1
                                        ;     Child Loop BB50_78 Depth 2
                                        ;     Child Loop BB50_83 Depth 2
                                        ;     Child Loop BB50_86 Depth 2
	v_lshlrev_b32_e32 v2, 2, v0
	v_add_u32_e32 v3, 0, v2
	v_add3_u32 v2, v3, v2, s20
	ds_read_b32 v7, v3
	ds_read2_b32 v[2:3], v2 offset1:1
	s_and_b64 vcc, exec, s[8:9]
	s_cbranch_vccz .LBB50_80
; %bb.76:                               ;   in Loop: Header=BB50_75 Depth=1
	s_and_b64 vcc, exec, s[0:1]
	s_cbranch_vccnz .LBB50_81
; %bb.77:                               ;   in Loop: Header=BB50_75 Depth=1
	s_mov_b32 s21, 0
	v_mov_b32_e32 v4, s6
	v_mov_b32_e32 v5, 0
	s_mov_b32 s22, s16
	s_mov_b32 s19, 0
.LBB50_78:                              ;   Parent Loop BB50_75 Depth=1
                                        ; =>  This Inner Loop Header: Depth=2
	v_mov_b32_e32 v22, s21
	ds_read2_b32 v[8:9], v22 offset1:1
	ds_read2_b32 v[10:11], v22 offset0:2 offset1:3
	ds_read2_b32 v[12:13], v22 offset0:4 offset1:5
	;; [unrolled: 1-line block ×7, first 2 shown]
	s_waitcnt lgkmcnt(7)
	v_cmp_gt_i32_e32 vcc, v7, v9
	v_cndmask_b32_e64 v9, 0, 1, vcc
	v_cmp_gt_i32_e32 vcc, v7, v8
	s_waitcnt lgkmcnt(5)
	v_cmp_gt_i32_e64 s[4:5], v7, v12
	v_cndmask_b32_e64 v8, 0, 1, vcc
	v_cmp_gt_i32_e32 vcc, v7, v11
	v_cndmask_b32_e64 v11, 0, 1, s[4:5]
	v_cmp_gt_i32_e64 s[4:5], v7, v13
	v_cndmask_b32_e64 v12, 0, 1, s[4:5]
	s_waitcnt lgkmcnt(3)
	v_cmp_gt_i32_e64 s[4:5], v7, v17
	v_cndmask_b32_e64 v13, 0, 1, s[4:5]
	v_cmp_gt_i32_e64 s[4:5], v7, v16
	v_cndmask_b32_e64 v16, 0, 1, s[4:5]
	s_waitcnt lgkmcnt(1)
	v_cmp_gt_i32_e64 s[4:5], v7, v20
	v_cndmask_b32_e64 v17, 0, 1, s[4:5]
	v_cmp_gt_i32_e64 s[4:5], v7, v21
	v_cndmask_b32_e64 v20, 0, 1, s[4:5]
	v_cmp_gt_i32_e64 s[4:5], v7, v10
	v_addc_co_u32_e64 v4, s[4:5], v4, v8, s[4:5]
	v_addc_co_u32_e32 v5, vcc, v5, v9, vcc
	v_cmp_gt_i32_e32 vcc, v7, v14
	v_cmp_gt_i32_e64 s[4:5], v7, v15
	v_addc_co_u32_e64 v5, s[4:5], v5, v12, s[4:5]
	v_addc_co_u32_e32 v4, vcc, v4, v11, vcc
	v_cmp_gt_i32_e32 vcc, v7, v19
	v_cmp_gt_i32_e64 s[4:5], v7, v18
	v_addc_co_u32_e64 v4, s[4:5], v4, v16, s[4:5]
	v_addc_co_u32_e32 v5, vcc, v5, v13, vcc
	s_add_i32 s19, s19, 16
	s_add_i32 s21, s21, 64
	s_add_i32 s22, s22, -8
	s_waitcnt lgkmcnt(0)
	v_cmp_gt_i32_e32 vcc, v7, v22
	v_cmp_gt_i32_e64 s[4:5], v7, v23
	s_cmp_lg_u32 s22, 0
	v_addc_co_u32_e64 v5, s[4:5], v5, v20, s[4:5]
	v_addc_co_u32_e32 v4, vcc, v4, v17, vcc
	s_cbranch_scc1 .LBB50_78
; %bb.79:                               ;   in Loop: Header=BB50_75 Depth=1
	s_and_b64 vcc, exec, s[2:3]
	s_cbranch_vccz .LBB50_82
	s_branch .LBB50_84
.LBB50_80:                              ;   in Loop: Header=BB50_75 Depth=1
	v_mov_b32_e32 v4, s6
	s_mov_b32 s19, 0
	s_cbranch_execz .LBB50_74
	s_branch .LBB50_85
.LBB50_81:                              ;   in Loop: Header=BB50_75 Depth=1
	v_pk_mov_b32 v[4:5], s[6:7], s[6:7] op_sel:[0,1]
	s_mov_b32 s19, 0
	s_and_b64 vcc, exec, s[2:3]
	s_cbranch_vccnz .LBB50_84
.LBB50_82:                              ;   in Loop: Header=BB50_75 Depth=1
	s_lshl_b32 s4, s19, 2
	s_add_i32 s4, s4, 0
	s_mov_b32 s5, s17
.LBB50_83:                              ;   Parent Loop BB50_75 Depth=1
                                        ; =>  This Inner Loop Header: Depth=2
	v_mov_b32_e32 v8, s4
	ds_read2_b32 v[8:9], v8 offset1:1
	s_add_i32 s4, s4, 8
	s_add_i32 s5, s5, -8
	s_cmp_lg_u32 s5, 0
	s_waitcnt lgkmcnt(0)
	v_cmp_gt_i32_e32 vcc, v7, v9
	v_addc_co_u32_e32 v5, vcc, 0, v5, vcc
	v_cmp_gt_i32_e32 vcc, v7, v8
	v_addc_co_u32_e32 v4, vcc, 0, v4, vcc
	s_cbranch_scc1 .LBB50_83
.LBB50_84:                              ;   in Loop: Header=BB50_75 Depth=1
	v_add_u32_e32 v4, v4, v5
	s_mov_b32 s19, s15
	s_mov_b64 s[4:5], s[10:11]
	s_and_b64 vcc, exec, s[4:5]
	s_cbranch_vccz .LBB50_74
.LBB50_85:                              ;   in Loop: Header=BB50_75 Depth=1
	s_lshl_b32 s4, s19, 2
	s_add_i32 s4, s4, 0
.LBB50_86:                              ;   Parent Loop BB50_75 Depth=1
                                        ; =>  This Inner Loop Header: Depth=2
	v_mov_b32_e32 v5, s4
	ds_read_b32 v5, v5
	s_add_i32 s19, s19, 1
	s_add_i32 s4, s4, 4
	s_cmp_ge_i32 s19, s14
	s_waitcnt lgkmcnt(0)
	v_cmp_gt_i32_e32 vcc, v7, v5
	v_addc_co_u32_e32 v4, vcc, 0, v4, vcc
	s_cbranch_scc0 .LBB50_86
	s_branch .LBB50_74
.LBB50_87:
	s_endpgm
	.section	.rodata,"a",@progbits
	.p2align	6, 0x0
	.amdhsa_kernel _ZN9rocsparseL26csrgemm_fill_block_per_rowILj256ELj32ELj512ELj137ELj32Eii21rocsparse_complex_numIfEEEvT5_PKS3_S5_NS_24const_host_device_scalarIT6_EEPKT4_S5_PKS7_SB_S5_SD_S8_SB_S5_SD_SB_PS3_PS7_21rocsparse_index_base_SG_SG_SG_bbb
		.amdhsa_group_segment_fixed_size 0
		.amdhsa_private_segment_fixed_size 0
		.amdhsa_kernarg_size 156
		.amdhsa_user_sgpr_count 6
		.amdhsa_user_sgpr_private_segment_buffer 1
		.amdhsa_user_sgpr_dispatch_ptr 0
		.amdhsa_user_sgpr_queue_ptr 0
		.amdhsa_user_sgpr_kernarg_segment_ptr 1
		.amdhsa_user_sgpr_dispatch_id 0
		.amdhsa_user_sgpr_flat_scratch_init 0
		.amdhsa_user_sgpr_kernarg_preload_length 0
		.amdhsa_user_sgpr_kernarg_preload_offset 0
		.amdhsa_user_sgpr_private_segment_size 0
		.amdhsa_uses_dynamic_stack 0
		.amdhsa_system_sgpr_private_segment_wavefront_offset 0
		.amdhsa_system_sgpr_workgroup_id_x 1
		.amdhsa_system_sgpr_workgroup_id_y 0
		.amdhsa_system_sgpr_workgroup_id_z 0
		.amdhsa_system_sgpr_workgroup_info 0
		.amdhsa_system_vgpr_workitem_id 0
		.amdhsa_next_free_vgpr 24
		.amdhsa_next_free_sgpr 59
		.amdhsa_accum_offset 24
		.amdhsa_reserve_vcc 1
		.amdhsa_reserve_flat_scratch 0
		.amdhsa_float_round_mode_32 0
		.amdhsa_float_round_mode_16_64 0
		.amdhsa_float_denorm_mode_32 3
		.amdhsa_float_denorm_mode_16_64 3
		.amdhsa_dx10_clamp 1
		.amdhsa_ieee_mode 1
		.amdhsa_fp16_overflow 0
		.amdhsa_tg_split 0
		.amdhsa_exception_fp_ieee_invalid_op 0
		.amdhsa_exception_fp_denorm_src 0
		.amdhsa_exception_fp_ieee_div_zero 0
		.amdhsa_exception_fp_ieee_overflow 0
		.amdhsa_exception_fp_ieee_underflow 0
		.amdhsa_exception_fp_ieee_inexact 0
		.amdhsa_exception_int_div_zero 0
	.end_amdhsa_kernel
	.section	.text._ZN9rocsparseL26csrgemm_fill_block_per_rowILj256ELj32ELj512ELj137ELj32Eii21rocsparse_complex_numIfEEEvT5_PKS3_S5_NS_24const_host_device_scalarIT6_EEPKT4_S5_PKS7_SB_S5_SD_S8_SB_S5_SD_SB_PS3_PS7_21rocsparse_index_base_SG_SG_SG_bbb,"axG",@progbits,_ZN9rocsparseL26csrgemm_fill_block_per_rowILj256ELj32ELj512ELj137ELj32Eii21rocsparse_complex_numIfEEEvT5_PKS3_S5_NS_24const_host_device_scalarIT6_EEPKT4_S5_PKS7_SB_S5_SD_S8_SB_S5_SD_SB_PS3_PS7_21rocsparse_index_base_SG_SG_SG_bbb,comdat
.Lfunc_end50:
	.size	_ZN9rocsparseL26csrgemm_fill_block_per_rowILj256ELj32ELj512ELj137ELj32Eii21rocsparse_complex_numIfEEEvT5_PKS3_S5_NS_24const_host_device_scalarIT6_EEPKT4_S5_PKS7_SB_S5_SD_S8_SB_S5_SD_SB_PS3_PS7_21rocsparse_index_base_SG_SG_SG_bbb, .Lfunc_end50-_ZN9rocsparseL26csrgemm_fill_block_per_rowILj256ELj32ELj512ELj137ELj32Eii21rocsparse_complex_numIfEEEvT5_PKS3_S5_NS_24const_host_device_scalarIT6_EEPKT4_S5_PKS7_SB_S5_SD_S8_SB_S5_SD_SB_PS3_PS7_21rocsparse_index_base_SG_SG_SG_bbb
                                        ; -- End function
	.section	.AMDGPU.csdata,"",@progbits
; Kernel info:
; codeLenInByte = 3036
; NumSgprs: 63
; NumVgprs: 24
; NumAgprs: 0
; TotalNumVgprs: 24
; ScratchSize: 0
; MemoryBound: 0
; FloatMode: 240
; IeeeMode: 1
; LDSByteSize: 0 bytes/workgroup (compile time only)
; SGPRBlocks: 7
; VGPRBlocks: 2
; NumSGPRsForWavesPerEU: 63
; NumVGPRsForWavesPerEU: 24
; AccumOffset: 24
; Occupancy: 8
; WaveLimiterHint : 1
; COMPUTE_PGM_RSRC2:SCRATCH_EN: 0
; COMPUTE_PGM_RSRC2:USER_SGPR: 6
; COMPUTE_PGM_RSRC2:TRAP_HANDLER: 0
; COMPUTE_PGM_RSRC2:TGID_X_EN: 1
; COMPUTE_PGM_RSRC2:TGID_Y_EN: 0
; COMPUTE_PGM_RSRC2:TGID_Z_EN: 0
; COMPUTE_PGM_RSRC2:TIDIG_COMP_CNT: 0
; COMPUTE_PGM_RSRC3_GFX90A:ACCUM_OFFSET: 5
; COMPUTE_PGM_RSRC3_GFX90A:TG_SPLIT: 0
	.section	.text._ZN9rocsparseL26csrgemm_fill_block_per_rowILj256ELj32ELj512ELj137ELj64Eii21rocsparse_complex_numIfEEEvT5_PKS3_S5_NS_24const_host_device_scalarIT6_EEPKT4_S5_PKS7_SB_S5_SD_S8_SB_S5_SD_SB_PS3_PS7_21rocsparse_index_base_SG_SG_SG_bbb,"axG",@progbits,_ZN9rocsparseL26csrgemm_fill_block_per_rowILj256ELj32ELj512ELj137ELj64Eii21rocsparse_complex_numIfEEEvT5_PKS3_S5_NS_24const_host_device_scalarIT6_EEPKT4_S5_PKS7_SB_S5_SD_S8_SB_S5_SD_SB_PS3_PS7_21rocsparse_index_base_SG_SG_SG_bbb,comdat
	.globl	_ZN9rocsparseL26csrgemm_fill_block_per_rowILj256ELj32ELj512ELj137ELj64Eii21rocsparse_complex_numIfEEEvT5_PKS3_S5_NS_24const_host_device_scalarIT6_EEPKT4_S5_PKS7_SB_S5_SD_S8_SB_S5_SD_SB_PS3_PS7_21rocsparse_index_base_SG_SG_SG_bbb ; -- Begin function _ZN9rocsparseL26csrgemm_fill_block_per_rowILj256ELj32ELj512ELj137ELj64Eii21rocsparse_complex_numIfEEEvT5_PKS3_S5_NS_24const_host_device_scalarIT6_EEPKT4_S5_PKS7_SB_S5_SD_S8_SB_S5_SD_SB_PS3_PS7_21rocsparse_index_base_SG_SG_SG_bbb
	.p2align	8
	.type	_ZN9rocsparseL26csrgemm_fill_block_per_rowILj256ELj32ELj512ELj137ELj64Eii21rocsparse_complex_numIfEEEvT5_PKS3_S5_NS_24const_host_device_scalarIT6_EEPKT4_S5_PKS7_SB_S5_SD_S8_SB_S5_SD_SB_PS3_PS7_21rocsparse_index_base_SG_SG_SG_bbb,@function
_ZN9rocsparseL26csrgemm_fill_block_per_rowILj256ELj32ELj512ELj137ELj64Eii21rocsparse_complex_numIfEEEvT5_PKS3_S5_NS_24const_host_device_scalarIT6_EEPKT4_S5_PKS7_SB_S5_SD_S8_SB_S5_SD_SB_PS3_PS7_21rocsparse_index_base_SG_SG_SG_bbb: ; @_ZN9rocsparseL26csrgemm_fill_block_per_rowILj256ELj32ELj512ELj137ELj64Eii21rocsparse_complex_numIfEEEvT5_PKS3_S5_NS_24const_host_device_scalarIT6_EEPKT4_S5_PKS7_SB_S5_SD_S8_SB_S5_SD_SB_PS3_PS7_21rocsparse_index_base_SG_SG_SG_bbb
; %bb.0:
	s_load_dwordx8 s[8:15], s[4:5], 0x60
	s_load_dwordx8 s[16:23], s[4:5], 0x40
	s_load_dword s7, s[4:5], 0x98
	s_load_dwordx4 s[40:43], s[4:5], 0x8
	s_load_dwordx8 s[24:31], s[4:5], 0x20
	s_load_dwordx2 s[34:35], s[4:5], 0x80
	s_load_dwordx4 s[36:39], s[4:5], 0x88
	s_waitcnt lgkmcnt(0)
	s_bitcmp1_b32 s7, 0
	s_cselect_b64 s[46:47], -1, 0
	s_bitcmp1_b32 s7, 16
	s_cselect_b64 s[0:1], -1, 0
	s_xor_b64 s[0:1], s[0:1], -1
	v_cndmask_b32_e64 v1, 0, 1, s[0:1]
	s_mov_b32 s3, 0
	s_bitcmp0_b32 s7, 0
	v_cmp_ne_u32_e64 s[0:1], 1, v1
	s_mov_b32 s58, 0
	s_cbranch_scc1 .LBB51_5
; %bb.1:
	s_load_dwordx2 s[2:3], s[4:5], 0x18
	s_and_b64 vcc, exec, s[0:1]
	s_waitcnt lgkmcnt(0)
	s_mov_b32 s58, s2
	s_cbranch_vccnz .LBB51_3
; %bb.2:
	s_load_dword s58, s[2:3], 0x0
.LBB51_3:
	s_and_b64 vcc, exec, s[0:1]
	s_cbranch_vccnz .LBB51_5
; %bb.4:
	s_load_dword s3, s[2:3], 0x4
.LBB51_5:
	s_bitcmp1_b32 s7, 8
	s_cselect_b64 s[44:45], -1, 0
	s_bfe_u32 s2, s7, 0x10008
	s_mov_b32 s57, 0
	s_cmp_eq_u32 s2, 0
	s_mov_b32 s56, 0
	s_cbranch_scc1 .LBB51_11
; %bb.6:
	s_and_b64 vcc, exec, s[0:1]
	s_mov_b32 s56, s20
	s_cbranch_vccnz .LBB51_8
; %bb.7:
	s_load_dword s56, s[20:21], 0x0
.LBB51_8:
	s_and_b64 vcc, exec, s[0:1]
	s_cbranch_vccnz .LBB51_10
; %bb.9:
	s_load_dword s21, s[20:21], 0x4
.LBB51_10:
	s_waitcnt lgkmcnt(0)
	s_mov_b32 s57, s21
.LBB51_11:
	s_load_dword s33, s[4:5], 0x0
	s_movk_i32 s0, 0x200
	v_cmp_gt_u32_e64 s[0:1], s0, v0
	v_lshl_add_u32 v6, v0, 3, 0
	v_lshl_add_u32 v1, v0, 2, 0
	s_and_saveexec_b64 s[4:5], s[0:1]
	s_cbranch_execz .LBB51_14
; %bb.12:
	v_add_u32_e32 v2, 0x800, v6
	v_or_b32_e32 v3, 0xffffff00, v0
	v_lshl_add_u32 v4, v0, 2, 0
	s_mov_b64 s[20:21], 0
	s_waitcnt lgkmcnt(0)
	v_mov_b32_e32 v5, s33
	v_mov_b32_e32 v7, 0
.LBB51_13:                              ; =>This Inner Loop Header: Depth=1
	v_add_co_u32_e32 v3, vcc, 0x100, v3
	s_xor_b64 s[48:49], vcc, -1
	s_and_b64 s[48:49], exec, s[48:49]
	ds_write_b32 v4, v5
	ds_write2_b32 v2, v7, v7 offset1:1
	v_add_u32_e32 v2, 0x800, v2
	s_or_b64 s[20:21], s[48:49], s[20:21]
	v_add_u32_e32 v4, 0x400, v4
	s_andn2_b64 exec, exec, s[20:21]
	s_cbranch_execnz .LBB51_13
.LBB51_14:
	s_or_b64 exec, exec, s[4:5]
	s_waitcnt lgkmcnt(0)
	s_barrier
	s_load_dword s2, s[40:41], 0x0
	s_mov_b32 s5, 0
	s_waitcnt lgkmcnt(0)
	s_add_i32 s4, s2, s6
	s_lshl_b64 s[4:5], s[4:5], 2
	s_add_u32 s4, s42, s4
	s_addc_u32 s5, s43, s5
	s_load_dword s20, s[4:5], 0x0
	s_and_b64 vcc, exec, s[46:47]
	s_cbranch_vccz .LBB51_34
; %bb.15:
	s_waitcnt lgkmcnt(0)
	s_ashr_i32 s21, s20, 31
	s_lshl_b64 s[4:5], s[20:21], 2
	s_add_u32 s4, s24, s4
	s_addc_u32 s5, s25, s5
	s_load_dwordx2 s[4:5], s[4:5], 0x0
	v_lshrrev_b32_e32 v2, 5, v0
	v_subrev_u32_e32 v2, s36, v2
	s_waitcnt lgkmcnt(0)
	s_sub_i32 s2, s5, s36
	v_add_u32_e32 v2, s4, v2
	v_cmp_gt_i32_e32 vcc, s2, v2
	s_and_saveexec_b64 s[4:5], vcc
	s_cbranch_execz .LBB51_33
; %bb.16:
	v_and_b32_e32 v3, 31, v0
	v_subrev_u32_e32 v7, s37, v3
	s_mov_b64 s[6:7], 0
	v_mov_b32_e32 v8, s27
	v_mov_b32_e32 v9, s31
	s_movk_i32 s21, 0x89
	s_branch .LBB51_18
.LBB51_17:                              ;   in Loop: Header=BB51_18 Depth=1
	s_or_b64 exec, exec, s[24:25]
	v_add_u32_e32 v2, 8, v2
	v_cmp_le_i32_e32 vcc, s2, v2
	s_or_b64 s[6:7], vcc, s[6:7]
	s_andn2_b64 exec, exec, s[6:7]
	s_cbranch_execz .LBB51_33
.LBB51_18:                              ; =>This Loop Header: Depth=1
                                        ;     Child Loop BB51_21 Depth 2
                                        ;       Child Loop BB51_23 Depth 3
	v_ashrrev_i32_e32 v3, 31, v2
	v_lshlrev_b64 v[4:5], 2, v[2:3]
	v_add_co_u32_e32 v4, vcc, s26, v4
	v_addc_co_u32_e32 v5, vcc, v8, v5, vcc
	global_load_dword v4, v[4:5], off
	s_waitcnt vmcnt(0)
	v_subrev_u32_e32 v4, s36, v4
	v_ashrrev_i32_e32 v5, 31, v4
	v_lshlrev_b64 v[4:5], 2, v[4:5]
	v_add_co_u32_e32 v4, vcc, s30, v4
	v_addc_co_u32_e32 v5, vcc, v9, v5, vcc
	global_load_dwordx2 v[4:5], v[4:5], off
	s_waitcnt vmcnt(0)
	v_subrev_u32_e32 v10, s37, v5
	v_add_u32_e32 v4, v4, v7
	v_cmp_lt_i32_e32 vcc, v4, v10
	s_and_saveexec_b64 s[24:25], vcc
	s_cbranch_execz .LBB51_17
; %bb.19:                               ;   in Loop: Header=BB51_18 Depth=1
	v_lshlrev_b64 v[12:13], 3, v[2:3]
	v_mov_b32_e32 v3, s29
	v_add_co_u32_e32 v12, vcc, s28, v12
	v_addc_co_u32_e32 v13, vcc, v3, v13, vcc
	global_load_dwordx2 v[12:13], v[12:13], off
	s_mov_b64 s[40:41], 0
	s_waitcnt vmcnt(0)
	v_mul_f32_e64 v3, v13, -s3
	v_mul_f32_e32 v11, s58, v13
	v_fmac_f32_e32 v3, s58, v12
	v_fmac_f32_e32 v11, s3, v12
	s_branch .LBB51_21
.LBB51_20:                              ;   in Loop: Header=BB51_21 Depth=2
	s_or_b64 exec, exec, s[42:43]
	v_add_u32_e32 v4, 32, v4
	v_cmp_ge_i32_e32 vcc, v4, v10
	s_or_b64 s[40:41], vcc, s[40:41]
	s_andn2_b64 exec, exec, s[40:41]
	s_cbranch_execz .LBB51_17
.LBB51_21:                              ;   Parent Loop BB51_18 Depth=1
                                        ; =>  This Loop Header: Depth=2
                                        ;       Child Loop BB51_23 Depth 3
	v_ashrrev_i32_e32 v5, 31, v4
	v_lshlrev_b64 v[12:13], 2, v[4:5]
	v_mov_b32_e32 v14, s17
	v_add_co_u32_e32 v12, vcc, s16, v12
	v_addc_co_u32_e32 v13, vcc, v14, v13, vcc
	global_load_dword v16, v[12:13], off
	v_lshlrev_b64 v[12:13], 3, v[4:5]
	v_mov_b32_e32 v5, s19
	v_add_co_u32_e32 v12, vcc, s18, v12
	v_addc_co_u32_e32 v13, vcc, v5, v13, vcc
	global_load_dwordx2 v[14:15], v[12:13], off
	s_mov_b64 s[42:43], 0
	s_waitcnt vmcnt(1)
	v_subrev_u32_e32 v5, s37, v16
	s_waitcnt vmcnt(0)
	v_mul_f32_e64 v12, v15, -v11
	v_mul_f32_e32 v13, v3, v15
	v_fmac_f32_e32 v12, v3, v14
	v_fmac_f32_e32 v13, v11, v14
	v_mul_lo_u32 v14, v5, s21
	v_and_b32_e32 v14, 0x1ff, v14
	s_branch .LBB51_23
.LBB51_22:                              ;   in Loop: Header=BB51_23 Depth=3
	s_or_b64 exec, exec, s[46:47]
	s_xor_b64 s[46:47], s[48:49], -1
	s_and_b64 s[46:47], exec, s[46:47]
	s_or_b64 s[42:43], s[46:47], s[42:43]
	s_andn2_b64 exec, exec, s[42:43]
	s_cbranch_execz .LBB51_20
.LBB51_23:                              ;   Parent Loop BB51_18 Depth=1
                                        ;     Parent Loop BB51_21 Depth=2
                                        ; =>    This Inner Loop Header: Depth=3
	v_lshl_add_u32 v15, v14, 2, 0
	ds_read_b32 v16, v15
                                        ; implicit-def: $sgpr48_sgpr49
	s_waitcnt lgkmcnt(0)
	v_cmp_ne_u32_e32 vcc, v16, v5
	s_and_saveexec_b64 s[46:47], vcc
	s_xor_b64 s[46:47], exec, s[46:47]
	s_cbranch_execz .LBB51_31
; %bb.24:                               ;   in Loop: Header=BB51_23 Depth=3
	v_cmp_ne_u32_e32 vcc, s33, v16
                                        ; implicit-def: $sgpr48_sgpr49
	s_and_saveexec_b64 s[50:51], vcc
	s_xor_b64 s[50:51], exec, s[50:51]
; %bb.25:                               ;   in Loop: Header=BB51_23 Depth=3
	v_add_u32_e32 v14, 1, v14
	v_and_b32_e32 v14, 0x1ff, v14
	s_mov_b64 s[48:49], -1
                                        ; implicit-def: $vgpr15
; %bb.26:                               ;   in Loop: Header=BB51_23 Depth=3
	s_andn2_saveexec_b64 s[50:51], s[50:51]
	s_cbranch_execz .LBB51_30
; %bb.27:                               ;   in Loop: Header=BB51_23 Depth=3
	v_mov_b32_e32 v16, s33
	ds_cmpst_rtn_b32 v16, v15, v16, v5
	s_mov_b64 s[52:53], -1
	s_waitcnt lgkmcnt(0)
	v_cmp_eq_u32_e32 vcc, s33, v16
	s_and_saveexec_b64 s[54:55], vcc
	s_cbranch_execz .LBB51_29
; %bb.28:                               ;   in Loop: Header=BB51_23 Depth=3
	v_lshl_add_u32 v15, v14, 2, v15
	ds_add_f32 v15, v12 offset:2048
	ds_add_f32 v15, v13 offset:2052
	s_xor_b64 s[52:53], exec, -1
.LBB51_29:                              ;   in Loop: Header=BB51_23 Depth=3
	s_or_b64 exec, exec, s[54:55]
	s_andn2_b64 s[48:49], s[48:49], exec
	s_and_b64 s[52:53], s[52:53], exec
	s_or_b64 s[48:49], s[48:49], s[52:53]
.LBB51_30:                              ;   in Loop: Header=BB51_23 Depth=3
	s_or_b64 exec, exec, s[50:51]
	s_and_b64 s[48:49], s[48:49], exec
                                        ; implicit-def: $vgpr15
.LBB51_31:                              ;   in Loop: Header=BB51_23 Depth=3
	s_andn2_saveexec_b64 s[46:47], s[46:47]
	s_cbranch_execz .LBB51_22
; %bb.32:                               ;   in Loop: Header=BB51_23 Depth=3
	v_lshl_add_u32 v15, v14, 2, v15
	ds_add_f32 v15, v12 offset:2048
	ds_add_f32 v15, v13 offset:2052
	s_andn2_b64 s[48:49], s[48:49], exec
	s_branch .LBB51_22
.LBB51_33:
	s_or_b64 exec, exec, s[4:5]
.LBB51_34:
	s_andn2_b64 vcc, exec, s[44:45]
	s_cbranch_vccnz .LBB51_51
; %bb.35:
	s_waitcnt lgkmcnt(0)
	s_ashr_i32 s21, s20, 31
	s_lshl_b64 s[2:3], s[20:21], 2
	s_add_u32 s2, s22, s2
	s_addc_u32 s3, s23, s3
	s_load_dwordx2 s[2:3], s[2:3], 0x0
	v_subrev_u32_e32 v2, s39, v0
	s_waitcnt lgkmcnt(0)
	s_sub_i32 s21, s3, s39
	v_add_u32_e32 v2, s2, v2
	v_cmp_gt_i32_e32 vcc, s21, v2
	s_and_saveexec_b64 s[2:3], vcc
	s_cbranch_execz .LBB51_50
; %bb.36:
	s_mov_b64 s[4:5], 0
	v_mov_b32_e32 v4, s9
	v_mov_b32_e32 v5, s11
	s_movk_i32 s9, 0x89
	s_branch .LBB51_38
.LBB51_37:                              ;   in Loop: Header=BB51_38 Depth=1
	s_or_b64 exec, exec, s[6:7]
	v_add_u32_e32 v2, 0x100, v2
	v_cmp_le_i32_e32 vcc, s21, v2
	s_or_b64 s[4:5], vcc, s[4:5]
	s_andn2_b64 exec, exec, s[4:5]
	s_cbranch_execz .LBB51_50
.LBB51_38:                              ; =>This Loop Header: Depth=1
                                        ;     Child Loop BB51_40 Depth 2
	v_ashrrev_i32_e32 v3, 31, v2
	v_lshlrev_b64 v[8:9], 2, v[2:3]
	v_add_co_u32_e32 v8, vcc, s8, v8
	v_addc_co_u32_e32 v9, vcc, v4, v9, vcc
	global_load_dword v7, v[8:9], off
	v_lshlrev_b64 v[8:9], 3, v[2:3]
	v_add_co_u32_e32 v8, vcc, s10, v8
	v_addc_co_u32_e32 v9, vcc, v5, v9, vcc
	global_load_dwordx2 v[10:11], v[8:9], off
	s_mov_b64 s[6:7], 0
	s_waitcnt vmcnt(1)
	v_subrev_u32_e32 v3, s39, v7
	v_mul_lo_u32 v9, v3, s9
	v_and_b32_e32 v9, 0x1ff, v9
	s_waitcnt vmcnt(0)
	v_mul_f32_e64 v7, v11, -s57
	v_mul_f32_e32 v8, s56, v11
	v_fmac_f32_e32 v7, s56, v10
	v_fmac_f32_e32 v8, s57, v10
	s_branch .LBB51_40
.LBB51_39:                              ;   in Loop: Header=BB51_40 Depth=2
	s_or_b64 exec, exec, s[16:17]
	s_xor_b64 s[16:17], s[18:19], -1
	s_and_b64 s[16:17], exec, s[16:17]
	s_or_b64 s[6:7], s[16:17], s[6:7]
	s_andn2_b64 exec, exec, s[6:7]
	s_cbranch_execz .LBB51_37
.LBB51_40:                              ;   Parent Loop BB51_38 Depth=1
                                        ; =>  This Inner Loop Header: Depth=2
	v_lshl_add_u32 v10, v9, 2, 0
	ds_read_b32 v11, v10
                                        ; implicit-def: $sgpr18_sgpr19
	s_waitcnt lgkmcnt(0)
	v_cmp_ne_u32_e32 vcc, v11, v3
	s_and_saveexec_b64 s[16:17], vcc
	s_xor_b64 s[16:17], exec, s[16:17]
	s_cbranch_execz .LBB51_48
; %bb.41:                               ;   in Loop: Header=BB51_40 Depth=2
	v_cmp_ne_u32_e32 vcc, s33, v11
                                        ; implicit-def: $sgpr18_sgpr19
	s_and_saveexec_b64 s[22:23], vcc
	s_xor_b64 s[22:23], exec, s[22:23]
; %bb.42:                               ;   in Loop: Header=BB51_40 Depth=2
	v_add_u32_e32 v9, 1, v9
	v_and_b32_e32 v9, 0x1ff, v9
	s_mov_b64 s[18:19], -1
                                        ; implicit-def: $vgpr10
; %bb.43:                               ;   in Loop: Header=BB51_40 Depth=2
	s_andn2_saveexec_b64 s[22:23], s[22:23]
	s_cbranch_execz .LBB51_47
; %bb.44:                               ;   in Loop: Header=BB51_40 Depth=2
	v_mov_b32_e32 v11, s33
	ds_cmpst_rtn_b32 v11, v10, v11, v3
	s_mov_b64 s[24:25], -1
	s_waitcnt lgkmcnt(0)
	v_cmp_eq_u32_e32 vcc, s33, v11
	s_and_saveexec_b64 s[26:27], vcc
	s_cbranch_execz .LBB51_46
; %bb.45:                               ;   in Loop: Header=BB51_40 Depth=2
	v_lshl_add_u32 v10, v9, 2, v10
	ds_add_f32 v10, v7 offset:2048
	ds_add_f32 v10, v8 offset:2052
	s_xor_b64 s[24:25], exec, -1
.LBB51_46:                              ;   in Loop: Header=BB51_40 Depth=2
	s_or_b64 exec, exec, s[26:27]
	s_andn2_b64 s[18:19], s[18:19], exec
	s_and_b64 s[24:25], s[24:25], exec
	s_or_b64 s[18:19], s[18:19], s[24:25]
.LBB51_47:                              ;   in Loop: Header=BB51_40 Depth=2
	s_or_b64 exec, exec, s[22:23]
	s_and_b64 s[18:19], s[18:19], exec
                                        ; implicit-def: $vgpr10
.LBB51_48:                              ;   in Loop: Header=BB51_40 Depth=2
	s_andn2_saveexec_b64 s[16:17], s[16:17]
	s_cbranch_execz .LBB51_39
; %bb.49:                               ;   in Loop: Header=BB51_40 Depth=2
	v_lshl_add_u32 v10, v9, 2, v10
	ds_add_f32 v10, v7 offset:2048
	ds_add_f32 v10, v8 offset:2052
	s_andn2_b64 s[18:19], s[18:19], exec
	s_branch .LBB51_39
.LBB51_50:
	s_or_b64 exec, exec, s[2:3]
.LBB51_51:
	s_waitcnt lgkmcnt(0)
	s_barrier
	s_and_saveexec_b64 s[8:9], s[0:1]
	s_cbranch_execz .LBB51_64
; %bb.52:
	v_mbcnt_lo_u32_b32 v2, -1, 0
	v_mbcnt_hi_u32_b32 v2, -1, v2
	v_lshrrev_b32_e32 v4, 4, v0
	v_sub_u32_e32 v2, 63, v2
	v_and_b32_e32 v4, 12, v4
	s_movk_i32 s0, 0xff
	s_movk_i32 s4, 0x7f
	;; [unrolled: 1-line block ×3, first 2 shown]
	v_mov_b32_e32 v7, 0
	v_lshrrev_b64 v[2:3], v2, -1
	v_add_u32_e32 v8, 0, v4
	v_cmp_eq_u32_e64 s[0:1], s0, v0
	v_cmp_lt_u32_e64 s[2:3], 63, v0
	v_cmp_lt_u32_e64 s[4:5], s4, v0
	;; [unrolled: 1-line block ×3, first 2 shown]
	v_add_u32_e32 v6, 0x800, v6
	v_or_b32_e32 v9, 0xffffff00, v0
	s_mov_b64 s[10:11], 0
	v_mov_b32_e32 v10, 0
	s_branch .LBB51_54
.LBB51_53:                              ;   in Loop: Header=BB51_54 Depth=1
	s_or_b64 exec, exec, s[16:17]
	s_waitcnt lgkmcnt(0)
	s_barrier
	ds_read_b32 v4, v7 offset:6156
	v_add_co_u32_e32 v9, vcc, 0x100, v9
	s_xor_b64 s[16:17], vcc, -1
	s_and_b64 s[16:17], exec, s[16:17]
	v_add_u32_e32 v6, 0x800, v6
	s_waitcnt lgkmcnt(0)
	v_add_u32_e32 v10, v4, v10
	s_or_b64 s[10:11], s[16:17], s[10:11]
	v_add_u32_e32 v1, 0x400, v1
	s_andn2_b64 exec, exec, s[10:11]
	s_cbranch_execz .LBB51_64
.LBB51_54:                              ; =>This Inner Loop Header: Depth=1
	ds_read_b32 v11, v1
	ds_read2_b32 v[4:5], v6 offset1:1
	s_waitcnt lgkmcnt(0)
	s_barrier
	v_cmp_gt_i32_e32 vcc, s33, v11
	v_and_b32_e32 v13, vcc_lo, v2
	s_bcnt1_i32_b64 s16, vcc
	v_and_b32_e32 v12, vcc_hi, v3
	v_bcnt_u32_b32 v13, v13, 0
	v_bcnt_u32_b32 v12, v12, v13
	v_mov_b32_e32 v13, s16
	ds_write_b32 v8, v13 offset:6144
	s_waitcnt lgkmcnt(0)
	s_barrier
	s_and_saveexec_b64 s[16:17], s[2:3]
	s_cbranch_execnz .LBB51_59
; %bb.55:                               ;   in Loop: Header=BB51_54 Depth=1
	s_or_b64 exec, exec, s[16:17]
	s_and_saveexec_b64 s[16:17], s[4:5]
	s_cbranch_execnz .LBB51_60
.LBB51_56:                              ;   in Loop: Header=BB51_54 Depth=1
	s_or_b64 exec, exec, s[16:17]
	s_and_saveexec_b64 s[16:17], s[6:7]
	s_cbranch_execnz .LBB51_61
.LBB51_57:                              ;   in Loop: Header=BB51_54 Depth=1
	s_or_b64 exec, exec, s[16:17]
	s_and_saveexec_b64 s[16:17], vcc
	s_cbranch_execnz .LBB51_62
.LBB51_58:                              ;   in Loop: Header=BB51_54 Depth=1
	s_or_b64 exec, exec, s[16:17]
	s_and_saveexec_b64 s[16:17], s[0:1]
	s_cbranch_execz .LBB51_53
	s_branch .LBB51_63
.LBB51_59:                              ;   in Loop: Header=BB51_54 Depth=1
	ds_read_b32 v13, v7 offset:6144
	s_waitcnt lgkmcnt(0)
	v_add_u32_e32 v12, v13, v12
	s_or_b64 exec, exec, s[16:17]
	s_and_saveexec_b64 s[16:17], s[4:5]
	s_cbranch_execz .LBB51_56
.LBB51_60:                              ;   in Loop: Header=BB51_54 Depth=1
	ds_read_b32 v13, v7 offset:6148
	s_waitcnt lgkmcnt(0)
	v_add_u32_e32 v12, v13, v12
	s_or_b64 exec, exec, s[16:17]
	s_and_saveexec_b64 s[16:17], s[6:7]
	s_cbranch_execz .LBB51_57
.LBB51_61:                              ;   in Loop: Header=BB51_54 Depth=1
	ds_read_b32 v13, v7 offset:6152
	s_waitcnt lgkmcnt(0)
	v_add_u32_e32 v12, v13, v12
	s_or_b64 exec, exec, s[16:17]
	s_and_saveexec_b64 s[16:17], vcc
	s_cbranch_execz .LBB51_58
.LBB51_62:                              ;   in Loop: Header=BB51_54 Depth=1
	v_add3_u32 v13, v10, -1, v12
	v_lshl_add_u32 v14, v13, 2, 0
	v_lshl_add_u32 v13, v13, 3, 0
	v_add_u32_e32 v13, 0x800, v13
	ds_write_b32 v14, v11
	ds_write2_b32 v13, v4, v5 offset1:1
	s_or_b64 exec, exec, s[16:17]
	s_and_saveexec_b64 s[16:17], s[0:1]
	s_cbranch_execz .LBB51_53
.LBB51_63:                              ;   in Loop: Header=BB51_54 Depth=1
	ds_write_b32 v7, v12 offset:6156
	s_branch .LBB51_53
.LBB51_64:
	s_or_b64 exec, exec, s[8:9]
	s_ashr_i32 s21, s20, 31
	s_lshl_b64 s[0:1], s[20:21], 2
	s_add_u32 s0, s12, s0
	s_addc_u32 s1, s13, s1
	s_load_dwordx2 s[0:1], s[0:1], 0x0
	s_waitcnt lgkmcnt(0)
	s_sub_i32 s16, s1, s0
	v_cmp_gt_i32_e32 vcc, s16, v0
	s_and_saveexec_b64 s[2:3], vcc
	s_cbranch_execz .LBB51_79
; %bb.65:
	s_sub_i32 s6, s0, s38
	s_add_i32 s0, s16, -2
	s_lshr_b32 s1, s0, 1
	s_add_i32 s2, s1, 1
	s_cmp_gt_u32 s16, 1
	s_cselect_b64 s[8:9], -1, 0
	s_and_b32 s17, s16, -2
	s_and_b32 s4, s2, 7
	s_cmp_gt_u32 s0, 13
	s_cselect_b64 s[0:1], -1, 0
	s_and_b32 s18, s2, -8
	s_cmp_lg_u32 s4, 0
	s_cselect_b64 s[2:3], -1, 0
	v_cndmask_b32_e64 v1, 0, 1, s[0:1]
	s_cmp_lg_u32 s16, s17
	v_cmp_ne_u32_e64 s[0:1], 1, v1
	v_cndmask_b32_e64 v1, 0, 1, s[2:3]
	s_mov_b32 s7, 0
	s_cselect_b64 s[10:11], -1, 0
	s_lshl_b32 s19, s4, 3
	s_mov_b64 s[12:13], 0
	s_movk_i32 s20, 0x800
	v_cmp_ne_u32_e64 s[2:3], 1, v1
	v_mov_b32_e32 v1, s15
	v_mov_b32_e32 v6, s35
	s_branch .LBB51_67
.LBB51_66:                              ;   in Loop: Header=BB51_67 Depth=1
	v_ashrrev_i32_e32 v5, 31, v4
	v_lshlrev_b64 v[8:9], 2, v[4:5]
	v_add_co_u32_e32 v8, vcc, s14, v8
	v_addc_co_u32_e32 v9, vcc, v1, v9, vcc
	v_lshlrev_b64 v[4:5], 3, v[4:5]
	v_add_co_u32_e32 v4, vcc, s34, v4
	v_addc_co_u32_e32 v5, vcc, v6, v5, vcc
	v_add_u32_e32 v0, 0x100, v0
	v_cmp_le_i32_e32 vcc, s16, v0
	s_waitcnt lgkmcnt(1)
	v_add_u32_e32 v7, s38, v7
	s_or_b64 s[12:13], vcc, s[12:13]
	global_store_dword v[8:9], v7, off
	s_waitcnt lgkmcnt(0)
	global_store_dwordx2 v[4:5], v[2:3], off
	s_andn2_b64 exec, exec, s[12:13]
	s_cbranch_execz .LBB51_79
.LBB51_67:                              ; =>This Loop Header: Depth=1
                                        ;     Child Loop BB51_70 Depth 2
                                        ;     Child Loop BB51_75 Depth 2
	;; [unrolled: 1-line block ×3, first 2 shown]
	v_lshlrev_b32_e32 v2, 2, v0
	v_add_u32_e32 v3, 0, v2
	v_add3_u32 v2, v3, v2, s20
	ds_read_b32 v7, v3
	ds_read2_b32 v[2:3], v2 offset1:1
	s_and_b64 vcc, exec, s[8:9]
	s_cbranch_vccz .LBB51_72
; %bb.68:                               ;   in Loop: Header=BB51_67 Depth=1
	s_and_b64 vcc, exec, s[0:1]
	s_cbranch_vccnz .LBB51_73
; %bb.69:                               ;   in Loop: Header=BB51_67 Depth=1
	s_mov_b32 s21, 0
	v_mov_b32_e32 v4, s6
	v_mov_b32_e32 v5, 0
	s_mov_b32 s22, s18
	s_mov_b32 s15, 0
.LBB51_70:                              ;   Parent Loop BB51_67 Depth=1
                                        ; =>  This Inner Loop Header: Depth=2
	v_mov_b32_e32 v22, s21
	ds_read2_b32 v[8:9], v22 offset1:1
	ds_read2_b32 v[10:11], v22 offset0:2 offset1:3
	ds_read2_b32 v[12:13], v22 offset0:4 offset1:5
	;; [unrolled: 1-line block ×7, first 2 shown]
	s_waitcnt lgkmcnt(7)
	v_cmp_gt_i32_e32 vcc, v7, v9
	v_cndmask_b32_e64 v9, 0, 1, vcc
	v_cmp_gt_i32_e32 vcc, v7, v8
	s_waitcnt lgkmcnt(5)
	v_cmp_gt_i32_e64 s[4:5], v7, v12
	v_cndmask_b32_e64 v8, 0, 1, vcc
	v_cmp_gt_i32_e32 vcc, v7, v11
	v_cndmask_b32_e64 v11, 0, 1, s[4:5]
	v_cmp_gt_i32_e64 s[4:5], v7, v13
	v_cndmask_b32_e64 v12, 0, 1, s[4:5]
	s_waitcnt lgkmcnt(3)
	v_cmp_gt_i32_e64 s[4:5], v7, v17
	v_cndmask_b32_e64 v13, 0, 1, s[4:5]
	v_cmp_gt_i32_e64 s[4:5], v7, v16
	v_cndmask_b32_e64 v16, 0, 1, s[4:5]
	s_waitcnt lgkmcnt(1)
	v_cmp_gt_i32_e64 s[4:5], v7, v20
	v_cndmask_b32_e64 v17, 0, 1, s[4:5]
	v_cmp_gt_i32_e64 s[4:5], v7, v21
	v_cndmask_b32_e64 v20, 0, 1, s[4:5]
	v_cmp_gt_i32_e64 s[4:5], v7, v10
	v_addc_co_u32_e64 v4, s[4:5], v4, v8, s[4:5]
	v_addc_co_u32_e32 v5, vcc, v5, v9, vcc
	v_cmp_gt_i32_e32 vcc, v7, v14
	v_cmp_gt_i32_e64 s[4:5], v7, v15
	v_addc_co_u32_e64 v5, s[4:5], v5, v12, s[4:5]
	v_addc_co_u32_e32 v4, vcc, v4, v11, vcc
	v_cmp_gt_i32_e32 vcc, v7, v19
	v_cmp_gt_i32_e64 s[4:5], v7, v18
	v_addc_co_u32_e64 v4, s[4:5], v4, v16, s[4:5]
	v_addc_co_u32_e32 v5, vcc, v5, v13, vcc
	s_add_i32 s15, s15, 16
	s_add_i32 s21, s21, 64
	s_add_i32 s22, s22, -8
	s_waitcnt lgkmcnt(0)
	v_cmp_gt_i32_e32 vcc, v7, v22
	v_cmp_gt_i32_e64 s[4:5], v7, v23
	s_cmp_lg_u32 s22, 0
	v_addc_co_u32_e64 v5, s[4:5], v5, v20, s[4:5]
	v_addc_co_u32_e32 v4, vcc, v4, v17, vcc
	s_cbranch_scc1 .LBB51_70
; %bb.71:                               ;   in Loop: Header=BB51_67 Depth=1
	s_and_b64 vcc, exec, s[2:3]
	s_cbranch_vccz .LBB51_74
	s_branch .LBB51_76
.LBB51_72:                              ;   in Loop: Header=BB51_67 Depth=1
	v_mov_b32_e32 v4, s6
	s_mov_b32 s15, 0
	s_cbranch_execz .LBB51_66
	s_branch .LBB51_77
.LBB51_73:                              ;   in Loop: Header=BB51_67 Depth=1
	v_pk_mov_b32 v[4:5], s[6:7], s[6:7] op_sel:[0,1]
	s_mov_b32 s15, 0
	s_and_b64 vcc, exec, s[2:3]
	s_cbranch_vccnz .LBB51_76
.LBB51_74:                              ;   in Loop: Header=BB51_67 Depth=1
	s_lshl_b32 s4, s15, 2
	s_add_i32 s4, s4, 0
	s_mov_b32 s5, s19
.LBB51_75:                              ;   Parent Loop BB51_67 Depth=1
                                        ; =>  This Inner Loop Header: Depth=2
	v_mov_b32_e32 v8, s4
	ds_read2_b32 v[8:9], v8 offset1:1
	s_add_i32 s4, s4, 8
	s_add_i32 s5, s5, -8
	s_cmp_lg_u32 s5, 0
	s_waitcnt lgkmcnt(0)
	v_cmp_gt_i32_e32 vcc, v7, v9
	v_addc_co_u32_e32 v5, vcc, 0, v5, vcc
	v_cmp_gt_i32_e32 vcc, v7, v8
	v_addc_co_u32_e32 v4, vcc, 0, v4, vcc
	s_cbranch_scc1 .LBB51_75
.LBB51_76:                              ;   in Loop: Header=BB51_67 Depth=1
	v_add_u32_e32 v4, v4, v5
	s_mov_b32 s15, s17
	s_mov_b64 s[4:5], s[10:11]
	s_and_b64 vcc, exec, s[4:5]
	s_cbranch_vccz .LBB51_66
.LBB51_77:                              ;   in Loop: Header=BB51_67 Depth=1
	s_lshl_b32 s4, s15, 2
	s_add_i32 s4, s4, 0
.LBB51_78:                              ;   Parent Loop BB51_67 Depth=1
                                        ; =>  This Inner Loop Header: Depth=2
	v_mov_b32_e32 v5, s4
	ds_read_b32 v5, v5
	s_add_i32 s15, s15, 1
	s_add_i32 s4, s4, 4
	s_cmp_ge_i32 s15, s16
	s_waitcnt lgkmcnt(0)
	v_cmp_gt_i32_e32 vcc, v7, v5
	v_addc_co_u32_e32 v4, vcc, 0, v4, vcc
	s_cbranch_scc0 .LBB51_78
	s_branch .LBB51_66
.LBB51_79:
	s_endpgm
	.section	.rodata,"a",@progbits
	.p2align	6, 0x0
	.amdhsa_kernel _ZN9rocsparseL26csrgemm_fill_block_per_rowILj256ELj32ELj512ELj137ELj64Eii21rocsparse_complex_numIfEEEvT5_PKS3_S5_NS_24const_host_device_scalarIT6_EEPKT4_S5_PKS7_SB_S5_SD_S8_SB_S5_SD_SB_PS3_PS7_21rocsparse_index_base_SG_SG_SG_bbb
		.amdhsa_group_segment_fixed_size 0
		.amdhsa_private_segment_fixed_size 0
		.amdhsa_kernarg_size 156
		.amdhsa_user_sgpr_count 6
		.amdhsa_user_sgpr_private_segment_buffer 1
		.amdhsa_user_sgpr_dispatch_ptr 0
		.amdhsa_user_sgpr_queue_ptr 0
		.amdhsa_user_sgpr_kernarg_segment_ptr 1
		.amdhsa_user_sgpr_dispatch_id 0
		.amdhsa_user_sgpr_flat_scratch_init 0
		.amdhsa_user_sgpr_kernarg_preload_length 0
		.amdhsa_user_sgpr_kernarg_preload_offset 0
		.amdhsa_user_sgpr_private_segment_size 0
		.amdhsa_uses_dynamic_stack 0
		.amdhsa_system_sgpr_private_segment_wavefront_offset 0
		.amdhsa_system_sgpr_workgroup_id_x 1
		.amdhsa_system_sgpr_workgroup_id_y 0
		.amdhsa_system_sgpr_workgroup_id_z 0
		.amdhsa_system_sgpr_workgroup_info 0
		.amdhsa_system_vgpr_workitem_id 0
		.amdhsa_next_free_vgpr 24
		.amdhsa_next_free_sgpr 59
		.amdhsa_accum_offset 24
		.amdhsa_reserve_vcc 1
		.amdhsa_reserve_flat_scratch 0
		.amdhsa_float_round_mode_32 0
		.amdhsa_float_round_mode_16_64 0
		.amdhsa_float_denorm_mode_32 3
		.amdhsa_float_denorm_mode_16_64 3
		.amdhsa_dx10_clamp 1
		.amdhsa_ieee_mode 1
		.amdhsa_fp16_overflow 0
		.amdhsa_tg_split 0
		.amdhsa_exception_fp_ieee_invalid_op 0
		.amdhsa_exception_fp_denorm_src 0
		.amdhsa_exception_fp_ieee_div_zero 0
		.amdhsa_exception_fp_ieee_overflow 0
		.amdhsa_exception_fp_ieee_underflow 0
		.amdhsa_exception_fp_ieee_inexact 0
		.amdhsa_exception_int_div_zero 0
	.end_amdhsa_kernel
	.section	.text._ZN9rocsparseL26csrgemm_fill_block_per_rowILj256ELj32ELj512ELj137ELj64Eii21rocsparse_complex_numIfEEEvT5_PKS3_S5_NS_24const_host_device_scalarIT6_EEPKT4_S5_PKS7_SB_S5_SD_S8_SB_S5_SD_SB_PS3_PS7_21rocsparse_index_base_SG_SG_SG_bbb,"axG",@progbits,_ZN9rocsparseL26csrgemm_fill_block_per_rowILj256ELj32ELj512ELj137ELj64Eii21rocsparse_complex_numIfEEEvT5_PKS3_S5_NS_24const_host_device_scalarIT6_EEPKT4_S5_PKS7_SB_S5_SD_S8_SB_S5_SD_SB_PS3_PS7_21rocsparse_index_base_SG_SG_SG_bbb,comdat
.Lfunc_end51:
	.size	_ZN9rocsparseL26csrgemm_fill_block_per_rowILj256ELj32ELj512ELj137ELj64Eii21rocsparse_complex_numIfEEEvT5_PKS3_S5_NS_24const_host_device_scalarIT6_EEPKT4_S5_PKS7_SB_S5_SD_S8_SB_S5_SD_SB_PS3_PS7_21rocsparse_index_base_SG_SG_SG_bbb, .Lfunc_end51-_ZN9rocsparseL26csrgemm_fill_block_per_rowILj256ELj32ELj512ELj137ELj64Eii21rocsparse_complex_numIfEEEvT5_PKS3_S5_NS_24const_host_device_scalarIT6_EEPKT4_S5_PKS7_SB_S5_SD_S8_SB_S5_SD_SB_PS3_PS7_21rocsparse_index_base_SG_SG_SG_bbb
                                        ; -- End function
	.section	.AMDGPU.csdata,"",@progbits
; Kernel info:
; codeLenInByte = 2836
; NumSgprs: 63
; NumVgprs: 24
; NumAgprs: 0
; TotalNumVgprs: 24
; ScratchSize: 0
; MemoryBound: 0
; FloatMode: 240
; IeeeMode: 1
; LDSByteSize: 0 bytes/workgroup (compile time only)
; SGPRBlocks: 7
; VGPRBlocks: 2
; NumSGPRsForWavesPerEU: 63
; NumVGPRsForWavesPerEU: 24
; AccumOffset: 24
; Occupancy: 8
; WaveLimiterHint : 1
; COMPUTE_PGM_RSRC2:SCRATCH_EN: 0
; COMPUTE_PGM_RSRC2:USER_SGPR: 6
; COMPUTE_PGM_RSRC2:TRAP_HANDLER: 0
; COMPUTE_PGM_RSRC2:TGID_X_EN: 1
; COMPUTE_PGM_RSRC2:TGID_Y_EN: 0
; COMPUTE_PGM_RSRC2:TGID_Z_EN: 0
; COMPUTE_PGM_RSRC2:TIDIG_COMP_CNT: 0
; COMPUTE_PGM_RSRC3_GFX90A:ACCUM_OFFSET: 5
; COMPUTE_PGM_RSRC3_GFX90A:TG_SPLIT: 0
	.section	.text._ZN9rocsparseL26csrgemm_fill_block_per_rowILj512ELj32ELj1024ELj137ELj32Eii21rocsparse_complex_numIfEEEvT5_PKS3_S5_NS_24const_host_device_scalarIT6_EEPKT4_S5_PKS7_SB_S5_SD_S8_SB_S5_SD_SB_PS3_PS7_21rocsparse_index_base_SG_SG_SG_bbb,"axG",@progbits,_ZN9rocsparseL26csrgemm_fill_block_per_rowILj512ELj32ELj1024ELj137ELj32Eii21rocsparse_complex_numIfEEEvT5_PKS3_S5_NS_24const_host_device_scalarIT6_EEPKT4_S5_PKS7_SB_S5_SD_S8_SB_S5_SD_SB_PS3_PS7_21rocsparse_index_base_SG_SG_SG_bbb,comdat
	.globl	_ZN9rocsparseL26csrgemm_fill_block_per_rowILj512ELj32ELj1024ELj137ELj32Eii21rocsparse_complex_numIfEEEvT5_PKS3_S5_NS_24const_host_device_scalarIT6_EEPKT4_S5_PKS7_SB_S5_SD_S8_SB_S5_SD_SB_PS3_PS7_21rocsparse_index_base_SG_SG_SG_bbb ; -- Begin function _ZN9rocsparseL26csrgemm_fill_block_per_rowILj512ELj32ELj1024ELj137ELj32Eii21rocsparse_complex_numIfEEEvT5_PKS3_S5_NS_24const_host_device_scalarIT6_EEPKT4_S5_PKS7_SB_S5_SD_S8_SB_S5_SD_SB_PS3_PS7_21rocsparse_index_base_SG_SG_SG_bbb
	.p2align	8
	.type	_ZN9rocsparseL26csrgemm_fill_block_per_rowILj512ELj32ELj1024ELj137ELj32Eii21rocsparse_complex_numIfEEEvT5_PKS3_S5_NS_24const_host_device_scalarIT6_EEPKT4_S5_PKS7_SB_S5_SD_S8_SB_S5_SD_SB_PS3_PS7_21rocsparse_index_base_SG_SG_SG_bbb,@function
_ZN9rocsparseL26csrgemm_fill_block_per_rowILj512ELj32ELj1024ELj137ELj32Eii21rocsparse_complex_numIfEEEvT5_PKS3_S5_NS_24const_host_device_scalarIT6_EEPKT4_S5_PKS7_SB_S5_SD_S8_SB_S5_SD_SB_PS3_PS7_21rocsparse_index_base_SG_SG_SG_bbb: ; @_ZN9rocsparseL26csrgemm_fill_block_per_rowILj512ELj32ELj1024ELj137ELj32Eii21rocsparse_complex_numIfEEEvT5_PKS3_S5_NS_24const_host_device_scalarIT6_EEPKT4_S5_PKS7_SB_S5_SD_S8_SB_S5_SD_SB_PS3_PS7_21rocsparse_index_base_SG_SG_SG_bbb
; %bb.0:
	s_load_dwordx8 s[36:43], s[4:5], 0x60
	s_load_dwordx8 s[8:15], s[4:5], 0x40
	s_load_dword s7, s[4:5], 0x98
	s_load_dwordx4 s[24:27], s[4:5], 0x8
	s_load_dwordx8 s[16:23], s[4:5], 0x20
	s_load_dwordx2 s[34:35], s[4:5], 0x80
	s_load_dwordx4 s[44:47], s[4:5], 0x88
	s_waitcnt lgkmcnt(0)
	s_bitcmp1_b32 s7, 0
	s_cselect_b64 s[30:31], -1, 0
	s_bitcmp1_b32 s7, 16
	s_cselect_b64 s[0:1], -1, 0
	s_xor_b64 s[0:1], s[0:1], -1
	v_cndmask_b32_e64 v1, 0, 1, s[0:1]
	s_mov_b32 s3, 0
	s_bitcmp0_b32 s7, 0
	v_cmp_ne_u32_e64 s[0:1], 1, v1
	s_mov_b32 s56, 0
	s_cbranch_scc1 .LBB52_5
; %bb.1:
	s_load_dwordx2 s[2:3], s[4:5], 0x18
	s_and_b64 vcc, exec, s[0:1]
	s_waitcnt lgkmcnt(0)
	s_mov_b32 s56, s2
	s_cbranch_vccnz .LBB52_3
; %bb.2:
	s_load_dword s56, s[2:3], 0x0
.LBB52_3:
	s_and_b64 vcc, exec, s[0:1]
	s_cbranch_vccnz .LBB52_5
; %bb.4:
	s_load_dword s3, s[2:3], 0x4
.LBB52_5:
	s_bitcmp1_b32 s7, 8
	s_cselect_b64 s[28:29], -1, 0
	s_bfe_u32 s2, s7, 0x10008
	s_mov_b32 s55, 0
	s_cmp_eq_u32 s2, 0
	s_mov_b32 s54, 0
	s_cbranch_scc1 .LBB52_11
; %bb.6:
	s_and_b64 vcc, exec, s[0:1]
	s_mov_b32 s54, s12
	s_cbranch_vccnz .LBB52_8
; %bb.7:
	s_load_dword s54, s[12:13], 0x0
.LBB52_8:
	s_and_b64 vcc, exec, s[0:1]
	s_cbranch_vccnz .LBB52_10
; %bb.9:
	s_load_dword s13, s[12:13], 0x4
.LBB52_10:
	s_waitcnt lgkmcnt(0)
	s_mov_b32 s55, s13
.LBB52_11:
	s_load_dword s33, s[4:5], 0x0
	v_lshl_add_u32 v1, v0, 3, 0
	v_add_u32_e32 v1, 0x1000, v1
	v_or_b32_e32 v6, 0xfffffe00, v0
	v_lshl_add_u32 v7, v0, 2, 0
	s_mov_b64 s[0:1], 0
	s_waitcnt lgkmcnt(0)
	v_mov_b32_e32 v2, s33
	v_mov_b32_e32 v3, 0
	;; [unrolled: 1-line block ×5, first 2 shown]
.LBB52_12:                              ; =>This Inner Loop Header: Depth=1
	v_add_co_u32_e32 v5, vcc, 0x200, v5
	s_xor_b64 s[4:5], vcc, -1
	s_and_b64 s[4:5], exec, s[4:5]
	ds_write_b32 v4, v2
	ds_write2_b32 v8, v3, v3 offset1:1
	v_add_u32_e32 v8, 0x1000, v8
	s_or_b64 s[0:1], s[4:5], s[0:1]
	v_add_u32_e32 v4, 0x800, v4
	s_andn2_b64 exec, exec, s[0:1]
	s_cbranch_execnz .LBB52_12
; %bb.13:
	s_or_b64 exec, exec, s[0:1]
	s_waitcnt lgkmcnt(0)
	s_barrier
	s_load_dword s0, s[24:25], 0x0
	s_mov_b32 s1, 0
	v_lshrrev_b32_e32 v8, 5, v0
	s_waitcnt lgkmcnt(0)
	s_add_i32 s0, s0, s6
	s_lshl_b64 s[0:1], s[0:1], 2
	s_add_u32 s0, s26, s0
	s_addc_u32 s1, s27, s1
	s_load_dword s48, s[0:1], 0x0
	s_and_b64 vcc, exec, s[30:31]
	s_cbranch_vccz .LBB52_33
; %bb.14:
	s_waitcnt lgkmcnt(0)
	s_ashr_i32 s49, s48, 31
	s_lshl_b64 s[0:1], s[48:49], 2
	s_add_u32 s0, s16, s0
	s_addc_u32 s1, s17, s1
	s_load_dwordx2 s[0:1], s[0:1], 0x0
	v_subrev_u32_e32 v2, s44, v8
	s_waitcnt lgkmcnt(0)
	s_sub_i32 s2, s1, s44
	v_add_u32_e32 v2, s0, v2
	v_cmp_gt_i32_e32 vcc, s2, v2
	s_and_saveexec_b64 s[0:1], vcc
	s_cbranch_execz .LBB52_32
; %bb.15:
	v_and_b32_e32 v3, 31, v0
	v_subrev_u32_e32 v9, s45, v3
	s_mov_b64 s[4:5], 0
	v_mov_b32_e32 v10, s19
	v_mov_b32_e32 v11, s23
	s_movk_i32 s19, 0x89
	s_branch .LBB52_17
.LBB52_16:                              ;   in Loop: Header=BB52_17 Depth=1
	s_or_b64 exec, exec, s[6:7]
	v_add_u32_e32 v2, 16, v2
	v_cmp_le_i32_e32 vcc, s2, v2
	s_or_b64 s[4:5], vcc, s[4:5]
	s_andn2_b64 exec, exec, s[4:5]
	s_cbranch_execz .LBB52_32
.LBB52_17:                              ; =>This Loop Header: Depth=1
                                        ;     Child Loop BB52_20 Depth 2
                                        ;       Child Loop BB52_22 Depth 3
	v_ashrrev_i32_e32 v3, 31, v2
	v_lshlrev_b64 v[4:5], 2, v[2:3]
	v_add_co_u32_e32 v4, vcc, s18, v4
	v_addc_co_u32_e32 v5, vcc, v10, v5, vcc
	global_load_dword v4, v[4:5], off
	s_waitcnt vmcnt(0)
	v_subrev_u32_e32 v4, s44, v4
	v_ashrrev_i32_e32 v5, 31, v4
	v_lshlrev_b64 v[4:5], 2, v[4:5]
	v_add_co_u32_e32 v4, vcc, s22, v4
	v_addc_co_u32_e32 v5, vcc, v11, v5, vcc
	global_load_dwordx2 v[4:5], v[4:5], off
	s_waitcnt vmcnt(0)
	v_subrev_u32_e32 v12, s45, v5
	v_add_u32_e32 v4, v4, v9
	v_cmp_lt_i32_e32 vcc, v4, v12
	s_and_saveexec_b64 s[6:7], vcc
	s_cbranch_execz .LBB52_16
; %bb.18:                               ;   in Loop: Header=BB52_17 Depth=1
	v_lshlrev_b64 v[14:15], 3, v[2:3]
	v_mov_b32_e32 v3, s21
	v_add_co_u32_e32 v14, vcc, s20, v14
	v_addc_co_u32_e32 v15, vcc, v3, v15, vcc
	global_load_dwordx2 v[14:15], v[14:15], off
	s_mov_b64 s[12:13], 0
	s_waitcnt vmcnt(0)
	v_mul_f32_e64 v3, v15, -s3
	v_mul_f32_e32 v13, s56, v15
	v_fmac_f32_e32 v3, s56, v14
	v_fmac_f32_e32 v13, s3, v14
	s_branch .LBB52_20
.LBB52_19:                              ;   in Loop: Header=BB52_20 Depth=2
	s_or_b64 exec, exec, s[16:17]
	v_add_u32_e32 v4, 32, v4
	v_cmp_ge_i32_e32 vcc, v4, v12
	s_or_b64 s[12:13], vcc, s[12:13]
	s_andn2_b64 exec, exec, s[12:13]
	s_cbranch_execz .LBB52_16
.LBB52_20:                              ;   Parent Loop BB52_17 Depth=1
                                        ; =>  This Loop Header: Depth=2
                                        ;       Child Loop BB52_22 Depth 3
	v_ashrrev_i32_e32 v5, 31, v4
	v_lshlrev_b64 v[14:15], 2, v[4:5]
	v_mov_b32_e32 v16, s9
	v_add_co_u32_e32 v14, vcc, s8, v14
	v_addc_co_u32_e32 v15, vcc, v16, v15, vcc
	global_load_dword v18, v[14:15], off
	v_lshlrev_b64 v[14:15], 3, v[4:5]
	v_mov_b32_e32 v5, s11
	v_add_co_u32_e32 v14, vcc, s10, v14
	v_addc_co_u32_e32 v15, vcc, v5, v15, vcc
	global_load_dwordx2 v[16:17], v[14:15], off
	s_mov_b64 s[16:17], 0
	s_waitcnt vmcnt(1)
	v_subrev_u32_e32 v5, s45, v18
	s_waitcnt vmcnt(0)
	v_mul_f32_e64 v14, v17, -v13
	v_mul_f32_e32 v15, v3, v17
	v_fmac_f32_e32 v14, v3, v16
	v_fmac_f32_e32 v15, v13, v16
	v_mul_lo_u32 v16, v5, s19
	v_and_b32_e32 v16, 0x3ff, v16
	s_branch .LBB52_22
.LBB52_21:                              ;   in Loop: Header=BB52_22 Depth=3
	s_or_b64 exec, exec, s[24:25]
	s_xor_b64 s[24:25], s[26:27], -1
	s_and_b64 s[24:25], exec, s[24:25]
	s_or_b64 s[16:17], s[24:25], s[16:17]
	s_andn2_b64 exec, exec, s[16:17]
	s_cbranch_execz .LBB52_19
.LBB52_22:                              ;   Parent Loop BB52_17 Depth=1
                                        ;     Parent Loop BB52_20 Depth=2
                                        ; =>    This Inner Loop Header: Depth=3
	v_lshl_add_u32 v17, v16, 2, 0
	ds_read_b32 v18, v17
                                        ; implicit-def: $sgpr26_sgpr27
	s_waitcnt lgkmcnt(0)
	v_cmp_ne_u32_e32 vcc, v18, v5
	s_and_saveexec_b64 s[24:25], vcc
	s_xor_b64 s[24:25], exec, s[24:25]
	s_cbranch_execz .LBB52_30
; %bb.23:                               ;   in Loop: Header=BB52_22 Depth=3
	v_cmp_ne_u32_e32 vcc, s33, v18
                                        ; implicit-def: $sgpr26_sgpr27
	s_and_saveexec_b64 s[30:31], vcc
	s_xor_b64 s[30:31], exec, s[30:31]
; %bb.24:                               ;   in Loop: Header=BB52_22 Depth=3
	v_add_u32_e32 v16, 1, v16
	v_and_b32_e32 v16, 0x3ff, v16
	s_mov_b64 s[26:27], -1
                                        ; implicit-def: $vgpr17
; %bb.25:                               ;   in Loop: Header=BB52_22 Depth=3
	s_andn2_saveexec_b64 s[30:31], s[30:31]
	s_cbranch_execz .LBB52_29
; %bb.26:                               ;   in Loop: Header=BB52_22 Depth=3
	v_mov_b32_e32 v18, s33
	ds_cmpst_rtn_b32 v18, v17, v18, v5
	s_mov_b64 s[50:51], -1
	s_waitcnt lgkmcnt(0)
	v_cmp_eq_u32_e32 vcc, s33, v18
	s_and_saveexec_b64 s[52:53], vcc
	s_cbranch_execz .LBB52_28
; %bb.27:                               ;   in Loop: Header=BB52_22 Depth=3
	v_lshl_add_u32 v17, v16, 2, v17
	ds_add_f32 v17, v14 offset:4096
	ds_add_f32 v17, v15 offset:4100
	s_xor_b64 s[50:51], exec, -1
.LBB52_28:                              ;   in Loop: Header=BB52_22 Depth=3
	s_or_b64 exec, exec, s[52:53]
	s_andn2_b64 s[26:27], s[26:27], exec
	s_and_b64 s[50:51], s[50:51], exec
	s_or_b64 s[26:27], s[26:27], s[50:51]
.LBB52_29:                              ;   in Loop: Header=BB52_22 Depth=3
	s_or_b64 exec, exec, s[30:31]
	s_and_b64 s[26:27], s[26:27], exec
                                        ; implicit-def: $vgpr17
.LBB52_30:                              ;   in Loop: Header=BB52_22 Depth=3
	s_andn2_saveexec_b64 s[24:25], s[24:25]
	s_cbranch_execz .LBB52_21
; %bb.31:                               ;   in Loop: Header=BB52_22 Depth=3
	v_lshl_add_u32 v17, v16, 2, v17
	ds_add_f32 v17, v14 offset:4096
	ds_add_f32 v17, v15 offset:4100
	s_andn2_b64 s[26:27], s[26:27], exec
	s_branch .LBB52_21
.LBB52_32:
	s_or_b64 exec, exec, s[0:1]
.LBB52_33:
	s_andn2_b64 vcc, exec, s[28:29]
	s_cbranch_vccnz .LBB52_50
; %bb.34:
	s_waitcnt lgkmcnt(0)
	s_ashr_i32 s49, s48, 31
	s_lshl_b64 s[0:1], s[48:49], 2
	s_add_u32 s0, s14, s0
	s_addc_u32 s1, s15, s1
	s_load_dwordx2 s[0:1], s[0:1], 0x0
	v_subrev_u32_e32 v2, s47, v0
	s_waitcnt lgkmcnt(0)
	s_sub_i32 s16, s1, s47
	v_add_u32_e32 v2, s0, v2
	v_cmp_gt_i32_e32 vcc, s16, v2
	s_and_saveexec_b64 s[0:1], vcc
	s_cbranch_execz .LBB52_49
; %bb.35:
	s_mov_b64 s[2:3], 0
	v_mov_b32_e32 v4, s37
	v_mov_b32_e32 v5, s39
	s_movk_i32 s17, 0x89
	s_branch .LBB52_37
.LBB52_36:                              ;   in Loop: Header=BB52_37 Depth=1
	s_or_b64 exec, exec, s[4:5]
	v_add_u32_e32 v2, 0x200, v2
	v_cmp_le_i32_e32 vcc, s16, v2
	s_or_b64 s[2:3], vcc, s[2:3]
	s_andn2_b64 exec, exec, s[2:3]
	s_cbranch_execz .LBB52_49
.LBB52_37:                              ; =>This Loop Header: Depth=1
                                        ;     Child Loop BB52_39 Depth 2
	v_ashrrev_i32_e32 v3, 31, v2
	v_lshlrev_b64 v[10:11], 2, v[2:3]
	v_add_co_u32_e32 v10, vcc, s36, v10
	v_addc_co_u32_e32 v11, vcc, v4, v11, vcc
	global_load_dword v9, v[10:11], off
	v_lshlrev_b64 v[10:11], 3, v[2:3]
	v_add_co_u32_e32 v10, vcc, s38, v10
	v_addc_co_u32_e32 v11, vcc, v5, v11, vcc
	global_load_dwordx2 v[12:13], v[10:11], off
	s_mov_b64 s[4:5], 0
	s_waitcnt vmcnt(1)
	v_subrev_u32_e32 v3, s47, v9
	v_mul_lo_u32 v11, v3, s17
	v_and_b32_e32 v11, 0x3ff, v11
	s_waitcnt vmcnt(0)
	v_mul_f32_e64 v9, v13, -s55
	v_mul_f32_e32 v10, s54, v13
	v_fmac_f32_e32 v9, s54, v12
	v_fmac_f32_e32 v10, s55, v12
	s_branch .LBB52_39
.LBB52_38:                              ;   in Loop: Header=BB52_39 Depth=2
	s_or_b64 exec, exec, s[6:7]
	s_xor_b64 s[6:7], s[8:9], -1
	s_and_b64 s[6:7], exec, s[6:7]
	s_or_b64 s[4:5], s[6:7], s[4:5]
	s_andn2_b64 exec, exec, s[4:5]
	s_cbranch_execz .LBB52_36
.LBB52_39:                              ;   Parent Loop BB52_37 Depth=1
                                        ; =>  This Inner Loop Header: Depth=2
	v_lshl_add_u32 v12, v11, 2, 0
	ds_read_b32 v13, v12
                                        ; implicit-def: $sgpr8_sgpr9
	s_waitcnt lgkmcnt(0)
	v_cmp_ne_u32_e32 vcc, v13, v3
	s_and_saveexec_b64 s[6:7], vcc
	s_xor_b64 s[6:7], exec, s[6:7]
	s_cbranch_execz .LBB52_47
; %bb.40:                               ;   in Loop: Header=BB52_39 Depth=2
	v_cmp_ne_u32_e32 vcc, s33, v13
                                        ; implicit-def: $sgpr8_sgpr9
	s_and_saveexec_b64 s[10:11], vcc
	s_xor_b64 s[10:11], exec, s[10:11]
; %bb.41:                               ;   in Loop: Header=BB52_39 Depth=2
	v_add_u32_e32 v11, 1, v11
	v_and_b32_e32 v11, 0x3ff, v11
	s_mov_b64 s[8:9], -1
                                        ; implicit-def: $vgpr12
; %bb.42:                               ;   in Loop: Header=BB52_39 Depth=2
	s_andn2_saveexec_b64 s[10:11], s[10:11]
	s_cbranch_execz .LBB52_46
; %bb.43:                               ;   in Loop: Header=BB52_39 Depth=2
	v_mov_b32_e32 v13, s33
	ds_cmpst_rtn_b32 v13, v12, v13, v3
	s_mov_b64 s[12:13], -1
	s_waitcnt lgkmcnt(0)
	v_cmp_eq_u32_e32 vcc, s33, v13
	s_and_saveexec_b64 s[14:15], vcc
	s_cbranch_execz .LBB52_45
; %bb.44:                               ;   in Loop: Header=BB52_39 Depth=2
	v_lshl_add_u32 v12, v11, 2, v12
	ds_add_f32 v12, v9 offset:4096
	ds_add_f32 v12, v10 offset:4100
	s_xor_b64 s[12:13], exec, -1
.LBB52_45:                              ;   in Loop: Header=BB52_39 Depth=2
	s_or_b64 exec, exec, s[14:15]
	s_andn2_b64 s[8:9], s[8:9], exec
	s_and_b64 s[12:13], s[12:13], exec
	s_or_b64 s[8:9], s[8:9], s[12:13]
.LBB52_46:                              ;   in Loop: Header=BB52_39 Depth=2
	s_or_b64 exec, exec, s[10:11]
	s_and_b64 s[8:9], s[8:9], exec
                                        ; implicit-def: $vgpr12
.LBB52_47:                              ;   in Loop: Header=BB52_39 Depth=2
	s_andn2_saveexec_b64 s[6:7], s[6:7]
	s_cbranch_execz .LBB52_38
; %bb.48:                               ;   in Loop: Header=BB52_39 Depth=2
	v_lshl_add_u32 v12, v11, 2, v12
	ds_add_f32 v12, v9 offset:4096
	ds_add_f32 v12, v10 offset:4100
	s_andn2_b64 s[8:9], s[8:9], exec
	s_branch .LBB52_38
.LBB52_49:
	s_or_b64 exec, exec, s[0:1]
.LBB52_50:
	v_mbcnt_lo_u32_b32 v2, -1, 0
	v_mbcnt_hi_u32_b32 v2, -1, v2
	v_sub_u32_e32 v2, 63, v2
	s_movk_i32 s0, 0x1ff
	s_movk_i32 s6, 0x5f
	;; [unrolled: 1-line block ×14, first 2 shown]
	v_mov_b32_e32 v9, 0
	v_lshrrev_b64 v[2:3], v2, -1
	v_lshl_add_u32 v8, v8, 2, 0
	v_cmp_eq_u32_e64 s[0:1], s0, v0
	v_cmp_lt_u32_e64 s[2:3], 31, v0
	v_cmp_lt_u32_e64 s[4:5], 63, v0
	;; [unrolled: 1-line block ×15, first 2 shown]
	s_mov_b64 s[36:37], 0
	v_mov_b32_e32 v10, 0
	s_waitcnt lgkmcnt(0)
	s_barrier
	s_branch .LBB52_52
.LBB52_51:                              ;   in Loop: Header=BB52_52 Depth=1
	s_or_b64 exec, exec, s[38:39]
	s_waitcnt lgkmcnt(0)
	s_barrier
	ds_read_b32 v4, v9 offset:12348
	v_add_co_u32_e32 v6, vcc, 0x200, v6
	s_xor_b64 s[38:39], vcc, -1
	s_and_b64 s[38:39], exec, s[38:39]
	v_add_u32_e32 v1, 0x1000, v1
	s_waitcnt lgkmcnt(0)
	v_add_u32_e32 v10, v4, v10
	s_or_b64 s[36:37], s[38:39], s[36:37]
	v_add_u32_e32 v7, 0x800, v7
	s_andn2_b64 exec, exec, s[36:37]
	s_cbranch_execz .LBB52_86
.LBB52_52:                              ; =>This Inner Loop Header: Depth=1
	ds_read_b32 v11, v7
	ds_read2_b32 v[4:5], v1 offset1:1
	s_waitcnt lgkmcnt(0)
	s_barrier
	v_cmp_gt_i32_e32 vcc, s33, v11
	v_and_b32_e32 v13, vcc_lo, v2
	s_bcnt1_i32_b64 s38, vcc
	v_and_b32_e32 v12, vcc_hi, v3
	v_bcnt_u32_b32 v13, v13, 0
	v_bcnt_u32_b32 v12, v12, v13
	v_mov_b32_e32 v13, s38
	ds_write_b32 v8, v13 offset:12288
	s_waitcnt lgkmcnt(0)
	s_barrier
	s_and_saveexec_b64 s[38:39], s[2:3]
	s_cbranch_execnz .LBB52_69
; %bb.53:                               ;   in Loop: Header=BB52_52 Depth=1
	s_or_b64 exec, exec, s[38:39]
	s_and_saveexec_b64 s[38:39], s[4:5]
	s_cbranch_execnz .LBB52_70
.LBB52_54:                              ;   in Loop: Header=BB52_52 Depth=1
	s_or_b64 exec, exec, s[38:39]
	s_and_saveexec_b64 s[38:39], s[6:7]
	s_cbranch_execnz .LBB52_71
.LBB52_55:                              ;   in Loop: Header=BB52_52 Depth=1
	s_or_b64 exec, exec, s[38:39]
	s_and_saveexec_b64 s[38:39], s[8:9]
	s_cbranch_execnz .LBB52_72
.LBB52_56:                              ;   in Loop: Header=BB52_52 Depth=1
	s_or_b64 exec, exec, s[38:39]
	s_and_saveexec_b64 s[38:39], s[10:11]
	s_cbranch_execnz .LBB52_73
.LBB52_57:                              ;   in Loop: Header=BB52_52 Depth=1
	s_or_b64 exec, exec, s[38:39]
	s_and_saveexec_b64 s[38:39], s[12:13]
	s_cbranch_execnz .LBB52_74
.LBB52_58:                              ;   in Loop: Header=BB52_52 Depth=1
	s_or_b64 exec, exec, s[38:39]
	s_and_saveexec_b64 s[38:39], s[14:15]
	s_cbranch_execnz .LBB52_75
.LBB52_59:                              ;   in Loop: Header=BB52_52 Depth=1
	s_or_b64 exec, exec, s[38:39]
	s_and_saveexec_b64 s[38:39], s[16:17]
	s_cbranch_execnz .LBB52_76
.LBB52_60:                              ;   in Loop: Header=BB52_52 Depth=1
	s_or_b64 exec, exec, s[38:39]
	s_and_saveexec_b64 s[38:39], s[18:19]
	s_cbranch_execnz .LBB52_77
.LBB52_61:                              ;   in Loop: Header=BB52_52 Depth=1
	s_or_b64 exec, exec, s[38:39]
	s_and_saveexec_b64 s[38:39], s[20:21]
	s_cbranch_execnz .LBB52_78
.LBB52_62:                              ;   in Loop: Header=BB52_52 Depth=1
	s_or_b64 exec, exec, s[38:39]
	s_and_saveexec_b64 s[38:39], s[22:23]
	s_cbranch_execnz .LBB52_79
.LBB52_63:                              ;   in Loop: Header=BB52_52 Depth=1
	s_or_b64 exec, exec, s[38:39]
	s_and_saveexec_b64 s[38:39], s[24:25]
	s_cbranch_execnz .LBB52_80
.LBB52_64:                              ;   in Loop: Header=BB52_52 Depth=1
	s_or_b64 exec, exec, s[38:39]
	s_and_saveexec_b64 s[38:39], s[26:27]
	s_cbranch_execnz .LBB52_81
.LBB52_65:                              ;   in Loop: Header=BB52_52 Depth=1
	s_or_b64 exec, exec, s[38:39]
	s_and_saveexec_b64 s[38:39], s[28:29]
	s_cbranch_execnz .LBB52_82
.LBB52_66:                              ;   in Loop: Header=BB52_52 Depth=1
	s_or_b64 exec, exec, s[38:39]
	s_and_saveexec_b64 s[38:39], s[30:31]
	s_cbranch_execnz .LBB52_83
.LBB52_67:                              ;   in Loop: Header=BB52_52 Depth=1
	s_or_b64 exec, exec, s[38:39]
	s_and_saveexec_b64 s[38:39], vcc
	s_cbranch_execnz .LBB52_84
.LBB52_68:                              ;   in Loop: Header=BB52_52 Depth=1
	s_or_b64 exec, exec, s[38:39]
	s_and_saveexec_b64 s[38:39], s[0:1]
	s_cbranch_execz .LBB52_51
	s_branch .LBB52_85
.LBB52_69:                              ;   in Loop: Header=BB52_52 Depth=1
	ds_read_b32 v13, v9 offset:12288
	s_waitcnt lgkmcnt(0)
	v_add_u32_e32 v12, v13, v12
	s_or_b64 exec, exec, s[38:39]
	s_and_saveexec_b64 s[38:39], s[4:5]
	s_cbranch_execz .LBB52_54
.LBB52_70:                              ;   in Loop: Header=BB52_52 Depth=1
	ds_read_b32 v13, v9 offset:12292
	s_waitcnt lgkmcnt(0)
	v_add_u32_e32 v12, v13, v12
	s_or_b64 exec, exec, s[38:39]
	s_and_saveexec_b64 s[38:39], s[6:7]
	s_cbranch_execz .LBB52_55
.LBB52_71:                              ;   in Loop: Header=BB52_52 Depth=1
	ds_read_b32 v13, v9 offset:12296
	s_waitcnt lgkmcnt(0)
	v_add_u32_e32 v12, v13, v12
	s_or_b64 exec, exec, s[38:39]
	s_and_saveexec_b64 s[38:39], s[8:9]
	s_cbranch_execz .LBB52_56
.LBB52_72:                              ;   in Loop: Header=BB52_52 Depth=1
	ds_read_b32 v13, v9 offset:12300
	s_waitcnt lgkmcnt(0)
	v_add_u32_e32 v12, v13, v12
	s_or_b64 exec, exec, s[38:39]
	s_and_saveexec_b64 s[38:39], s[10:11]
	s_cbranch_execz .LBB52_57
.LBB52_73:                              ;   in Loop: Header=BB52_52 Depth=1
	ds_read_b32 v13, v9 offset:12304
	s_waitcnt lgkmcnt(0)
	v_add_u32_e32 v12, v13, v12
	s_or_b64 exec, exec, s[38:39]
	s_and_saveexec_b64 s[38:39], s[12:13]
	s_cbranch_execz .LBB52_58
.LBB52_74:                              ;   in Loop: Header=BB52_52 Depth=1
	ds_read_b32 v13, v9 offset:12308
	s_waitcnt lgkmcnt(0)
	v_add_u32_e32 v12, v13, v12
	s_or_b64 exec, exec, s[38:39]
	s_and_saveexec_b64 s[38:39], s[14:15]
	s_cbranch_execz .LBB52_59
.LBB52_75:                              ;   in Loop: Header=BB52_52 Depth=1
	ds_read_b32 v13, v9 offset:12312
	s_waitcnt lgkmcnt(0)
	v_add_u32_e32 v12, v13, v12
	s_or_b64 exec, exec, s[38:39]
	s_and_saveexec_b64 s[38:39], s[16:17]
	s_cbranch_execz .LBB52_60
.LBB52_76:                              ;   in Loop: Header=BB52_52 Depth=1
	ds_read_b32 v13, v9 offset:12316
	s_waitcnt lgkmcnt(0)
	v_add_u32_e32 v12, v13, v12
	s_or_b64 exec, exec, s[38:39]
	s_and_saveexec_b64 s[38:39], s[18:19]
	s_cbranch_execz .LBB52_61
.LBB52_77:                              ;   in Loop: Header=BB52_52 Depth=1
	ds_read_b32 v13, v9 offset:12320
	s_waitcnt lgkmcnt(0)
	v_add_u32_e32 v12, v13, v12
	s_or_b64 exec, exec, s[38:39]
	s_and_saveexec_b64 s[38:39], s[20:21]
	s_cbranch_execz .LBB52_62
.LBB52_78:                              ;   in Loop: Header=BB52_52 Depth=1
	ds_read_b32 v13, v9 offset:12324
	s_waitcnt lgkmcnt(0)
	v_add_u32_e32 v12, v13, v12
	s_or_b64 exec, exec, s[38:39]
	s_and_saveexec_b64 s[38:39], s[22:23]
	s_cbranch_execz .LBB52_63
.LBB52_79:                              ;   in Loop: Header=BB52_52 Depth=1
	ds_read_b32 v13, v9 offset:12328
	s_waitcnt lgkmcnt(0)
	v_add_u32_e32 v12, v13, v12
	s_or_b64 exec, exec, s[38:39]
	s_and_saveexec_b64 s[38:39], s[24:25]
	s_cbranch_execz .LBB52_64
.LBB52_80:                              ;   in Loop: Header=BB52_52 Depth=1
	ds_read_b32 v13, v9 offset:12332
	s_waitcnt lgkmcnt(0)
	v_add_u32_e32 v12, v13, v12
	s_or_b64 exec, exec, s[38:39]
	s_and_saveexec_b64 s[38:39], s[26:27]
	s_cbranch_execz .LBB52_65
.LBB52_81:                              ;   in Loop: Header=BB52_52 Depth=1
	ds_read_b32 v13, v9 offset:12336
	s_waitcnt lgkmcnt(0)
	v_add_u32_e32 v12, v13, v12
	s_or_b64 exec, exec, s[38:39]
	s_and_saveexec_b64 s[38:39], s[28:29]
	s_cbranch_execz .LBB52_66
.LBB52_82:                              ;   in Loop: Header=BB52_52 Depth=1
	ds_read_b32 v13, v9 offset:12340
	s_waitcnt lgkmcnt(0)
	v_add_u32_e32 v12, v13, v12
	s_or_b64 exec, exec, s[38:39]
	s_and_saveexec_b64 s[38:39], s[30:31]
	s_cbranch_execz .LBB52_67
.LBB52_83:                              ;   in Loop: Header=BB52_52 Depth=1
	ds_read_b32 v13, v9 offset:12344
	s_waitcnt lgkmcnt(0)
	v_add_u32_e32 v12, v13, v12
	s_or_b64 exec, exec, s[38:39]
	s_and_saveexec_b64 s[38:39], vcc
	s_cbranch_execz .LBB52_68
.LBB52_84:                              ;   in Loop: Header=BB52_52 Depth=1
	v_add3_u32 v13, v10, -1, v12
	v_lshl_add_u32 v14, v13, 2, 0
	v_lshl_add_u32 v13, v13, 3, 0
	v_add_u32_e32 v13, 0x1000, v13
	ds_write_b32 v14, v11
	ds_write2_b32 v13, v4, v5 offset1:1
	s_or_b64 exec, exec, s[38:39]
	s_and_saveexec_b64 s[38:39], s[0:1]
	s_cbranch_execz .LBB52_51
.LBB52_85:                              ;   in Loop: Header=BB52_52 Depth=1
	ds_write_b32 v9, v12 offset:12348
	s_branch .LBB52_51
.LBB52_86:
	s_or_b64 exec, exec, s[36:37]
	s_ashr_i32 s49, s48, 31
	s_lshl_b64 s[0:1], s[48:49], 2
	s_add_u32 s0, s40, s0
	s_addc_u32 s1, s41, s1
	s_load_dwordx2 s[0:1], s[0:1], 0x0
	s_waitcnt lgkmcnt(0)
	s_sub_i32 s14, s1, s0
	v_cmp_gt_i32_e32 vcc, s14, v0
	s_and_saveexec_b64 s[2:3], vcc
	s_cbranch_execz .LBB52_101
; %bb.87:
	s_sub_i32 s6, s0, s46
	s_add_i32 s0, s14, -2
	s_lshr_b32 s1, s0, 1
	s_add_i32 s2, s1, 1
	s_cmp_gt_u32 s14, 1
	s_cselect_b64 s[8:9], -1, 0
	s_and_b32 s15, s14, -2
	s_and_b32 s4, s2, 7
	s_cmp_gt_u32 s0, 13
	s_cselect_b64 s[0:1], -1, 0
	s_and_b32 s16, s2, -8
	s_cmp_lg_u32 s4, 0
	s_cselect_b64 s[2:3], -1, 0
	v_cndmask_b32_e64 v1, 0, 1, s[0:1]
	s_cmp_lg_u32 s14, s15
	v_cmp_ne_u32_e64 s[0:1], 1, v1
	v_cndmask_b32_e64 v1, 0, 1, s[2:3]
	s_mov_b32 s7, 0
	s_cselect_b64 s[10:11], -1, 0
	s_lshl_b32 s17, s4, 3
	s_mov_b64 s[12:13], 0
	s_movk_i32 s18, 0x1000
	v_cmp_ne_u32_e64 s[2:3], 1, v1
	v_mov_b32_e32 v1, s43
	v_mov_b32_e32 v6, s35
	s_branch .LBB52_89
.LBB52_88:                              ;   in Loop: Header=BB52_89 Depth=1
	v_ashrrev_i32_e32 v5, 31, v4
	v_lshlrev_b64 v[8:9], 2, v[4:5]
	v_add_co_u32_e32 v8, vcc, s42, v8
	v_addc_co_u32_e32 v9, vcc, v1, v9, vcc
	v_lshlrev_b64 v[4:5], 3, v[4:5]
	v_add_co_u32_e32 v4, vcc, s34, v4
	v_addc_co_u32_e32 v5, vcc, v6, v5, vcc
	v_add_u32_e32 v0, 0x200, v0
	v_cmp_le_i32_e32 vcc, s14, v0
	s_waitcnt lgkmcnt(1)
	v_add_u32_e32 v7, s46, v7
	s_or_b64 s[12:13], vcc, s[12:13]
	global_store_dword v[8:9], v7, off
	s_waitcnt lgkmcnt(0)
	global_store_dwordx2 v[4:5], v[2:3], off
	s_andn2_b64 exec, exec, s[12:13]
	s_cbranch_execz .LBB52_101
.LBB52_89:                              ; =>This Loop Header: Depth=1
                                        ;     Child Loop BB52_92 Depth 2
                                        ;     Child Loop BB52_97 Depth 2
	;; [unrolled: 1-line block ×3, first 2 shown]
	v_lshlrev_b32_e32 v2, 2, v0
	v_add_u32_e32 v3, 0, v2
	v_add3_u32 v2, v3, v2, s18
	ds_read_b32 v7, v3
	ds_read2_b32 v[2:3], v2 offset1:1
	s_and_b64 vcc, exec, s[8:9]
	s_cbranch_vccz .LBB52_94
; %bb.90:                               ;   in Loop: Header=BB52_89 Depth=1
	s_and_b64 vcc, exec, s[0:1]
	s_cbranch_vccnz .LBB52_95
; %bb.91:                               ;   in Loop: Header=BB52_89 Depth=1
	s_mov_b32 s20, 0
	v_mov_b32_e32 v4, s6
	v_mov_b32_e32 v5, 0
	s_mov_b32 s21, s16
	s_mov_b32 s19, 0
.LBB52_92:                              ;   Parent Loop BB52_89 Depth=1
                                        ; =>  This Inner Loop Header: Depth=2
	v_mov_b32_e32 v22, s20
	ds_read2_b32 v[8:9], v22 offset1:1
	ds_read2_b32 v[10:11], v22 offset0:2 offset1:3
	ds_read2_b32 v[12:13], v22 offset0:4 offset1:5
	;; [unrolled: 1-line block ×7, first 2 shown]
	s_waitcnt lgkmcnt(7)
	v_cmp_gt_i32_e32 vcc, v7, v9
	v_cndmask_b32_e64 v9, 0, 1, vcc
	v_cmp_gt_i32_e32 vcc, v7, v8
	s_waitcnt lgkmcnt(5)
	v_cmp_gt_i32_e64 s[4:5], v7, v12
	v_cndmask_b32_e64 v8, 0, 1, vcc
	v_cmp_gt_i32_e32 vcc, v7, v11
	v_cndmask_b32_e64 v11, 0, 1, s[4:5]
	v_cmp_gt_i32_e64 s[4:5], v7, v13
	v_cndmask_b32_e64 v12, 0, 1, s[4:5]
	s_waitcnt lgkmcnt(3)
	v_cmp_gt_i32_e64 s[4:5], v7, v17
	v_cndmask_b32_e64 v13, 0, 1, s[4:5]
	v_cmp_gt_i32_e64 s[4:5], v7, v16
	v_cndmask_b32_e64 v16, 0, 1, s[4:5]
	s_waitcnt lgkmcnt(1)
	v_cmp_gt_i32_e64 s[4:5], v7, v20
	v_cndmask_b32_e64 v17, 0, 1, s[4:5]
	v_cmp_gt_i32_e64 s[4:5], v7, v21
	v_cndmask_b32_e64 v20, 0, 1, s[4:5]
	v_cmp_gt_i32_e64 s[4:5], v7, v10
	v_addc_co_u32_e64 v4, s[4:5], v4, v8, s[4:5]
	v_addc_co_u32_e32 v5, vcc, v5, v9, vcc
	v_cmp_gt_i32_e32 vcc, v7, v14
	v_cmp_gt_i32_e64 s[4:5], v7, v15
	v_addc_co_u32_e64 v5, s[4:5], v5, v12, s[4:5]
	v_addc_co_u32_e32 v4, vcc, v4, v11, vcc
	v_cmp_gt_i32_e32 vcc, v7, v19
	v_cmp_gt_i32_e64 s[4:5], v7, v18
	v_addc_co_u32_e64 v4, s[4:5], v4, v16, s[4:5]
	v_addc_co_u32_e32 v5, vcc, v5, v13, vcc
	s_add_i32 s19, s19, 16
	s_add_i32 s20, s20, 64
	s_add_i32 s21, s21, -8
	s_waitcnt lgkmcnt(0)
	v_cmp_gt_i32_e32 vcc, v7, v22
	v_cmp_gt_i32_e64 s[4:5], v7, v23
	s_cmp_lg_u32 s21, 0
	v_addc_co_u32_e64 v5, s[4:5], v5, v20, s[4:5]
	v_addc_co_u32_e32 v4, vcc, v4, v17, vcc
	s_cbranch_scc1 .LBB52_92
; %bb.93:                               ;   in Loop: Header=BB52_89 Depth=1
	s_and_b64 vcc, exec, s[2:3]
	s_cbranch_vccz .LBB52_96
	s_branch .LBB52_98
.LBB52_94:                              ;   in Loop: Header=BB52_89 Depth=1
	v_mov_b32_e32 v4, s6
	s_mov_b32 s19, 0
	s_cbranch_execz .LBB52_88
	s_branch .LBB52_99
.LBB52_95:                              ;   in Loop: Header=BB52_89 Depth=1
	v_pk_mov_b32 v[4:5], s[6:7], s[6:7] op_sel:[0,1]
	s_mov_b32 s19, 0
	s_and_b64 vcc, exec, s[2:3]
	s_cbranch_vccnz .LBB52_98
.LBB52_96:                              ;   in Loop: Header=BB52_89 Depth=1
	s_lshl_b32 s4, s19, 2
	s_add_i32 s4, s4, 0
	s_mov_b32 s5, s17
.LBB52_97:                              ;   Parent Loop BB52_89 Depth=1
                                        ; =>  This Inner Loop Header: Depth=2
	v_mov_b32_e32 v8, s4
	ds_read2_b32 v[8:9], v8 offset1:1
	s_add_i32 s4, s4, 8
	s_add_i32 s5, s5, -8
	s_cmp_lg_u32 s5, 0
	s_waitcnt lgkmcnt(0)
	v_cmp_gt_i32_e32 vcc, v7, v9
	v_addc_co_u32_e32 v5, vcc, 0, v5, vcc
	v_cmp_gt_i32_e32 vcc, v7, v8
	v_addc_co_u32_e32 v4, vcc, 0, v4, vcc
	s_cbranch_scc1 .LBB52_97
.LBB52_98:                              ;   in Loop: Header=BB52_89 Depth=1
	v_add_u32_e32 v4, v4, v5
	s_mov_b32 s19, s15
	s_mov_b64 s[4:5], s[10:11]
	s_and_b64 vcc, exec, s[4:5]
	s_cbranch_vccz .LBB52_88
.LBB52_99:                              ;   in Loop: Header=BB52_89 Depth=1
	s_lshl_b32 s4, s19, 2
	s_add_i32 s4, s4, 0
.LBB52_100:                             ;   Parent Loop BB52_89 Depth=1
                                        ; =>  This Inner Loop Header: Depth=2
	v_mov_b32_e32 v5, s4
	ds_read_b32 v5, v5
	s_add_i32 s19, s19, 1
	s_add_i32 s4, s4, 4
	s_cmp_ge_i32 s19, s14
	s_waitcnt lgkmcnt(0)
	v_cmp_gt_i32_e32 vcc, v7, v5
	v_addc_co_u32_e32 v4, vcc, 0, v4, vcc
	s_cbranch_scc0 .LBB52_100
	s_branch .LBB52_88
.LBB52_101:
	s_endpgm
	.section	.rodata,"a",@progbits
	.p2align	6, 0x0
	.amdhsa_kernel _ZN9rocsparseL26csrgemm_fill_block_per_rowILj512ELj32ELj1024ELj137ELj32Eii21rocsparse_complex_numIfEEEvT5_PKS3_S5_NS_24const_host_device_scalarIT6_EEPKT4_S5_PKS7_SB_S5_SD_S8_SB_S5_SD_SB_PS3_PS7_21rocsparse_index_base_SG_SG_SG_bbb
		.amdhsa_group_segment_fixed_size 0
		.amdhsa_private_segment_fixed_size 0
		.amdhsa_kernarg_size 156
		.amdhsa_user_sgpr_count 6
		.amdhsa_user_sgpr_private_segment_buffer 1
		.amdhsa_user_sgpr_dispatch_ptr 0
		.amdhsa_user_sgpr_queue_ptr 0
		.amdhsa_user_sgpr_kernarg_segment_ptr 1
		.amdhsa_user_sgpr_dispatch_id 0
		.amdhsa_user_sgpr_flat_scratch_init 0
		.amdhsa_user_sgpr_kernarg_preload_length 0
		.amdhsa_user_sgpr_kernarg_preload_offset 0
		.amdhsa_user_sgpr_private_segment_size 0
		.amdhsa_uses_dynamic_stack 0
		.amdhsa_system_sgpr_private_segment_wavefront_offset 0
		.amdhsa_system_sgpr_workgroup_id_x 1
		.amdhsa_system_sgpr_workgroup_id_y 0
		.amdhsa_system_sgpr_workgroup_id_z 0
		.amdhsa_system_sgpr_workgroup_info 0
		.amdhsa_system_vgpr_workitem_id 0
		.amdhsa_next_free_vgpr 24
		.amdhsa_next_free_sgpr 57
		.amdhsa_accum_offset 24
		.amdhsa_reserve_vcc 1
		.amdhsa_reserve_flat_scratch 0
		.amdhsa_float_round_mode_32 0
		.amdhsa_float_round_mode_16_64 0
		.amdhsa_float_denorm_mode_32 3
		.amdhsa_float_denorm_mode_16_64 3
		.amdhsa_dx10_clamp 1
		.amdhsa_ieee_mode 1
		.amdhsa_fp16_overflow 0
		.amdhsa_tg_split 0
		.amdhsa_exception_fp_ieee_invalid_op 0
		.amdhsa_exception_fp_denorm_src 0
		.amdhsa_exception_fp_ieee_div_zero 0
		.amdhsa_exception_fp_ieee_overflow 0
		.amdhsa_exception_fp_ieee_underflow 0
		.amdhsa_exception_fp_ieee_inexact 0
		.amdhsa_exception_int_div_zero 0
	.end_amdhsa_kernel
	.section	.text._ZN9rocsparseL26csrgemm_fill_block_per_rowILj512ELj32ELj1024ELj137ELj32Eii21rocsparse_complex_numIfEEEvT5_PKS3_S5_NS_24const_host_device_scalarIT6_EEPKT4_S5_PKS7_SB_S5_SD_S8_SB_S5_SD_SB_PS3_PS7_21rocsparse_index_base_SG_SG_SG_bbb,"axG",@progbits,_ZN9rocsparseL26csrgemm_fill_block_per_rowILj512ELj32ELj1024ELj137ELj32Eii21rocsparse_complex_numIfEEEvT5_PKS3_S5_NS_24const_host_device_scalarIT6_EEPKT4_S5_PKS7_SB_S5_SD_S8_SB_S5_SD_SB_PS3_PS7_21rocsparse_index_base_SG_SG_SG_bbb,comdat
.Lfunc_end52:
	.size	_ZN9rocsparseL26csrgemm_fill_block_per_rowILj512ELj32ELj1024ELj137ELj32Eii21rocsparse_complex_numIfEEEvT5_PKS3_S5_NS_24const_host_device_scalarIT6_EEPKT4_S5_PKS7_SB_S5_SD_S8_SB_S5_SD_SB_PS3_PS7_21rocsparse_index_base_SG_SG_SG_bbb, .Lfunc_end52-_ZN9rocsparseL26csrgemm_fill_block_per_rowILj512ELj32ELj1024ELj137ELj32Eii21rocsparse_complex_numIfEEEvT5_PKS3_S5_NS_24const_host_device_scalarIT6_EEPKT4_S5_PKS7_SB_S5_SD_S8_SB_S5_SD_SB_PS3_PS7_21rocsparse_index_base_SG_SG_SG_bbb
                                        ; -- End function
	.section	.AMDGPU.csdata,"",@progbits
; Kernel info:
; codeLenInByte = 3412
; NumSgprs: 61
; NumVgprs: 24
; NumAgprs: 0
; TotalNumVgprs: 24
; ScratchSize: 0
; MemoryBound: 0
; FloatMode: 240
; IeeeMode: 1
; LDSByteSize: 0 bytes/workgroup (compile time only)
; SGPRBlocks: 7
; VGPRBlocks: 2
; NumSGPRsForWavesPerEU: 61
; NumVGPRsForWavesPerEU: 24
; AccumOffset: 24
; Occupancy: 8
; WaveLimiterHint : 1
; COMPUTE_PGM_RSRC2:SCRATCH_EN: 0
; COMPUTE_PGM_RSRC2:USER_SGPR: 6
; COMPUTE_PGM_RSRC2:TRAP_HANDLER: 0
; COMPUTE_PGM_RSRC2:TGID_X_EN: 1
; COMPUTE_PGM_RSRC2:TGID_Y_EN: 0
; COMPUTE_PGM_RSRC2:TGID_Z_EN: 0
; COMPUTE_PGM_RSRC2:TIDIG_COMP_CNT: 0
; COMPUTE_PGM_RSRC3_GFX90A:ACCUM_OFFSET: 5
; COMPUTE_PGM_RSRC3_GFX90A:TG_SPLIT: 0
	.section	.text._ZN9rocsparseL26csrgemm_fill_block_per_rowILj512ELj32ELj1024ELj137ELj64Eii21rocsparse_complex_numIfEEEvT5_PKS3_S5_NS_24const_host_device_scalarIT6_EEPKT4_S5_PKS7_SB_S5_SD_S8_SB_S5_SD_SB_PS3_PS7_21rocsparse_index_base_SG_SG_SG_bbb,"axG",@progbits,_ZN9rocsparseL26csrgemm_fill_block_per_rowILj512ELj32ELj1024ELj137ELj64Eii21rocsparse_complex_numIfEEEvT5_PKS3_S5_NS_24const_host_device_scalarIT6_EEPKT4_S5_PKS7_SB_S5_SD_S8_SB_S5_SD_SB_PS3_PS7_21rocsparse_index_base_SG_SG_SG_bbb,comdat
	.globl	_ZN9rocsparseL26csrgemm_fill_block_per_rowILj512ELj32ELj1024ELj137ELj64Eii21rocsparse_complex_numIfEEEvT5_PKS3_S5_NS_24const_host_device_scalarIT6_EEPKT4_S5_PKS7_SB_S5_SD_S8_SB_S5_SD_SB_PS3_PS7_21rocsparse_index_base_SG_SG_SG_bbb ; -- Begin function _ZN9rocsparseL26csrgemm_fill_block_per_rowILj512ELj32ELj1024ELj137ELj64Eii21rocsparse_complex_numIfEEEvT5_PKS3_S5_NS_24const_host_device_scalarIT6_EEPKT4_S5_PKS7_SB_S5_SD_S8_SB_S5_SD_SB_PS3_PS7_21rocsparse_index_base_SG_SG_SG_bbb
	.p2align	8
	.type	_ZN9rocsparseL26csrgemm_fill_block_per_rowILj512ELj32ELj1024ELj137ELj64Eii21rocsparse_complex_numIfEEEvT5_PKS3_S5_NS_24const_host_device_scalarIT6_EEPKT4_S5_PKS7_SB_S5_SD_S8_SB_S5_SD_SB_PS3_PS7_21rocsparse_index_base_SG_SG_SG_bbb,@function
_ZN9rocsparseL26csrgemm_fill_block_per_rowILj512ELj32ELj1024ELj137ELj64Eii21rocsparse_complex_numIfEEEvT5_PKS3_S5_NS_24const_host_device_scalarIT6_EEPKT4_S5_PKS7_SB_S5_SD_S8_SB_S5_SD_SB_PS3_PS7_21rocsparse_index_base_SG_SG_SG_bbb: ; @_ZN9rocsparseL26csrgemm_fill_block_per_rowILj512ELj32ELj1024ELj137ELj64Eii21rocsparse_complex_numIfEEEvT5_PKS3_S5_NS_24const_host_device_scalarIT6_EEPKT4_S5_PKS7_SB_S5_SD_S8_SB_S5_SD_SB_PS3_PS7_21rocsparse_index_base_SG_SG_SG_bbb
; %bb.0:
	s_load_dwordx8 s[12:19], s[4:5], 0x60
	s_load_dwordx8 s[20:27], s[4:5], 0x40
	s_load_dword s7, s[4:5], 0x98
	s_load_dwordx4 s[8:11], s[4:5], 0x8
	s_load_dwordx8 s[36:43], s[4:5], 0x20
	s_load_dwordx2 s[34:35], s[4:5], 0x80
	s_load_dwordx4 s[28:31], s[4:5], 0x88
	s_waitcnt lgkmcnt(0)
	s_bitcmp1_b32 s7, 0
	s_cselect_b64 s[46:47], -1, 0
	s_bitcmp1_b32 s7, 16
	s_cselect_b64 s[0:1], -1, 0
	s_xor_b64 s[0:1], s[0:1], -1
	v_cndmask_b32_e64 v1, 0, 1, s[0:1]
	s_mov_b32 s3, 0
	s_bitcmp0_b32 s7, 0
	v_cmp_ne_u32_e64 s[0:1], 1, v1
	s_mov_b32 s56, 0
	s_cbranch_scc1 .LBB53_5
; %bb.1:
	s_load_dwordx2 s[2:3], s[4:5], 0x18
	s_and_b64 vcc, exec, s[0:1]
	s_waitcnt lgkmcnt(0)
	s_mov_b32 s56, s2
	s_cbranch_vccnz .LBB53_3
; %bb.2:
	s_load_dword s56, s[2:3], 0x0
.LBB53_3:
	s_and_b64 vcc, exec, s[0:1]
	s_cbranch_vccnz .LBB53_5
; %bb.4:
	s_load_dword s3, s[2:3], 0x4
.LBB53_5:
	s_bitcmp1_b32 s7, 8
	s_cselect_b64 s[44:45], -1, 0
	s_bfe_u32 s2, s7, 0x10008
	s_mov_b32 s55, 0
	s_cmp_eq_u32 s2, 0
	s_mov_b32 s54, 0
	s_cbranch_scc1 .LBB53_11
; %bb.6:
	s_and_b64 vcc, exec, s[0:1]
	s_mov_b32 s54, s24
	s_cbranch_vccnz .LBB53_8
; %bb.7:
	s_load_dword s54, s[24:25], 0x0
.LBB53_8:
	s_and_b64 vcc, exec, s[0:1]
	s_cbranch_vccnz .LBB53_10
; %bb.9:
	s_load_dword s25, s[24:25], 0x4
.LBB53_10:
	s_waitcnt lgkmcnt(0)
	s_mov_b32 s55, s25
.LBB53_11:
	s_load_dword s33, s[4:5], 0x0
	v_lshl_add_u32 v1, v0, 3, 0
	v_add_u32_e32 v1, 0x1000, v1
	v_or_b32_e32 v6, 0xfffffe00, v0
	v_lshl_add_u32 v7, v0, 2, 0
	s_mov_b64 s[0:1], 0
	s_waitcnt lgkmcnt(0)
	v_mov_b32_e32 v2, s33
	v_mov_b32_e32 v3, 0
	;; [unrolled: 1-line block ×5, first 2 shown]
.LBB53_12:                              ; =>This Inner Loop Header: Depth=1
	v_add_co_u32_e32 v5, vcc, 0x200, v5
	s_xor_b64 s[4:5], vcc, -1
	s_and_b64 s[4:5], exec, s[4:5]
	ds_write_b32 v4, v2
	ds_write2_b32 v8, v3, v3 offset1:1
	v_add_u32_e32 v8, 0x1000, v8
	s_or_b64 s[0:1], s[4:5], s[0:1]
	v_add_u32_e32 v4, 0x800, v4
	s_andn2_b64 exec, exec, s[0:1]
	s_cbranch_execnz .LBB53_12
; %bb.13:
	s_or_b64 exec, exec, s[0:1]
	s_waitcnt lgkmcnt(0)
	s_barrier
	s_load_dword s0, s[8:9], 0x0
	s_mov_b32 s1, 0
	s_waitcnt lgkmcnt(0)
	s_add_i32 s0, s0, s6
	s_lshl_b64 s[0:1], s[0:1], 2
	s_add_u32 s0, s10, s0
	s_addc_u32 s1, s11, s1
	s_load_dword s24, s[0:1], 0x0
	s_and_b64 vcc, exec, s[46:47]
	s_cbranch_vccz .LBB53_33
; %bb.14:
	s_waitcnt lgkmcnt(0)
	s_ashr_i32 s25, s24, 31
	s_lshl_b64 s[0:1], s[24:25], 2
	s_add_u32 s0, s36, s0
	s_addc_u32 s1, s37, s1
	s_load_dwordx2 s[0:1], s[0:1], 0x0
	v_lshrrev_b32_e32 v2, 5, v0
	v_subrev_u32_e32 v2, s28, v2
	s_waitcnt lgkmcnt(0)
	s_sub_i32 s2, s1, s28
	v_add_u32_e32 v2, s0, v2
	v_cmp_gt_i32_e32 vcc, s2, v2
	s_and_saveexec_b64 s[0:1], vcc
	s_cbranch_execz .LBB53_32
; %bb.15:
	v_and_b32_e32 v3, 31, v0
	v_subrev_u32_e32 v8, s29, v3
	s_mov_b64 s[4:5], 0
	v_mov_b32_e32 v9, s39
	v_mov_b32_e32 v10, s43
	s_movk_i32 s25, 0x89
	s_branch .LBB53_17
.LBB53_16:                              ;   in Loop: Header=BB53_17 Depth=1
	s_or_b64 exec, exec, s[6:7]
	v_add_u32_e32 v2, 16, v2
	v_cmp_le_i32_e32 vcc, s2, v2
	s_or_b64 s[4:5], vcc, s[4:5]
	s_andn2_b64 exec, exec, s[4:5]
	s_cbranch_execz .LBB53_32
.LBB53_17:                              ; =>This Loop Header: Depth=1
                                        ;     Child Loop BB53_20 Depth 2
                                        ;       Child Loop BB53_22 Depth 3
	v_ashrrev_i32_e32 v3, 31, v2
	v_lshlrev_b64 v[4:5], 2, v[2:3]
	v_add_co_u32_e32 v4, vcc, s38, v4
	v_addc_co_u32_e32 v5, vcc, v9, v5, vcc
	global_load_dword v4, v[4:5], off
	s_waitcnt vmcnt(0)
	v_subrev_u32_e32 v4, s28, v4
	v_ashrrev_i32_e32 v5, 31, v4
	v_lshlrev_b64 v[4:5], 2, v[4:5]
	v_add_co_u32_e32 v4, vcc, s42, v4
	v_addc_co_u32_e32 v5, vcc, v10, v5, vcc
	global_load_dwordx2 v[4:5], v[4:5], off
	s_waitcnt vmcnt(0)
	v_subrev_u32_e32 v11, s29, v5
	v_add_u32_e32 v4, v4, v8
	v_cmp_lt_i32_e32 vcc, v4, v11
	s_and_saveexec_b64 s[6:7], vcc
	s_cbranch_execz .LBB53_16
; %bb.18:                               ;   in Loop: Header=BB53_17 Depth=1
	v_lshlrev_b64 v[12:13], 3, v[2:3]
	v_mov_b32_e32 v3, s41
	v_add_co_u32_e32 v12, vcc, s40, v12
	v_addc_co_u32_e32 v13, vcc, v3, v13, vcc
	global_load_dwordx2 v[14:15], v[12:13], off
	s_mov_b64 s[8:9], 0
	s_waitcnt vmcnt(0)
	v_mul_f32_e64 v3, v15, -s3
	v_mul_f32_e32 v12, s56, v15
	v_fmac_f32_e32 v3, s56, v14
	v_fmac_f32_e32 v12, s3, v14
	s_branch .LBB53_20
.LBB53_19:                              ;   in Loop: Header=BB53_20 Depth=2
	s_or_b64 exec, exec, s[10:11]
	v_add_u32_e32 v4, 32, v4
	v_cmp_ge_i32_e32 vcc, v4, v11
	s_or_b64 s[8:9], vcc, s[8:9]
	s_andn2_b64 exec, exec, s[8:9]
	s_cbranch_execz .LBB53_16
.LBB53_20:                              ;   Parent Loop BB53_17 Depth=1
                                        ; =>  This Loop Header: Depth=2
                                        ;       Child Loop BB53_22 Depth 3
	v_ashrrev_i32_e32 v5, 31, v4
	v_lshlrev_b64 v[14:15], 2, v[4:5]
	v_mov_b32_e32 v13, s21
	v_add_co_u32_e32 v14, vcc, s20, v14
	v_addc_co_u32_e32 v15, vcc, v13, v15, vcc
	global_load_dword v13, v[14:15], off
	v_lshlrev_b64 v[14:15], 3, v[4:5]
	v_mov_b32_e32 v5, s23
	v_add_co_u32_e32 v14, vcc, s22, v14
	v_addc_co_u32_e32 v15, vcc, v5, v15, vcc
	global_load_dwordx2 v[16:17], v[14:15], off
	s_mov_b64 s[10:11], 0
	s_waitcnt vmcnt(1)
	v_subrev_u32_e32 v5, s29, v13
	v_mul_lo_u32 v15, v5, s25
	v_and_b32_e32 v15, 0x3ff, v15
	s_waitcnt vmcnt(0)
	v_mul_f32_e64 v13, v17, -v12
	v_mul_f32_e32 v14, v3, v17
	v_fmac_f32_e32 v13, v3, v16
	v_fmac_f32_e32 v14, v12, v16
	s_branch .LBB53_22
.LBB53_21:                              ;   in Loop: Header=BB53_22 Depth=3
	s_or_b64 exec, exec, s[36:37]
	s_xor_b64 s[36:37], s[46:47], -1
	s_and_b64 s[36:37], exec, s[36:37]
	s_or_b64 s[10:11], s[36:37], s[10:11]
	s_andn2_b64 exec, exec, s[10:11]
	s_cbranch_execz .LBB53_19
.LBB53_22:                              ;   Parent Loop BB53_17 Depth=1
                                        ;     Parent Loop BB53_20 Depth=2
                                        ; =>    This Inner Loop Header: Depth=3
	v_lshl_add_u32 v16, v15, 2, 0
	ds_read_b32 v17, v16
                                        ; implicit-def: $sgpr46_sgpr47
	s_waitcnt lgkmcnt(0)
	v_cmp_ne_u32_e32 vcc, v17, v5
	s_and_saveexec_b64 s[36:37], vcc
	s_xor_b64 s[36:37], exec, s[36:37]
	s_cbranch_execz .LBB53_30
; %bb.23:                               ;   in Loop: Header=BB53_22 Depth=3
	v_cmp_ne_u32_e32 vcc, s33, v17
                                        ; implicit-def: $sgpr46_sgpr47
	s_and_saveexec_b64 s[48:49], vcc
	s_xor_b64 s[48:49], exec, s[48:49]
; %bb.24:                               ;   in Loop: Header=BB53_22 Depth=3
	v_add_u32_e32 v15, 1, v15
	v_and_b32_e32 v15, 0x3ff, v15
	s_mov_b64 s[46:47], -1
                                        ; implicit-def: $vgpr16
; %bb.25:                               ;   in Loop: Header=BB53_22 Depth=3
	s_andn2_saveexec_b64 s[48:49], s[48:49]
	s_cbranch_execz .LBB53_29
; %bb.26:                               ;   in Loop: Header=BB53_22 Depth=3
	v_mov_b32_e32 v17, s33
	ds_cmpst_rtn_b32 v17, v16, v17, v5
	s_mov_b64 s[50:51], -1
	s_waitcnt lgkmcnt(0)
	v_cmp_eq_u32_e32 vcc, s33, v17
	s_and_saveexec_b64 s[52:53], vcc
	s_cbranch_execz .LBB53_28
; %bb.27:                               ;   in Loop: Header=BB53_22 Depth=3
	v_lshl_add_u32 v16, v15, 2, v16
	ds_add_f32 v16, v13 offset:4096
	ds_add_f32 v16, v14 offset:4100
	s_xor_b64 s[50:51], exec, -1
.LBB53_28:                              ;   in Loop: Header=BB53_22 Depth=3
	s_or_b64 exec, exec, s[52:53]
	s_andn2_b64 s[46:47], s[46:47], exec
	s_and_b64 s[50:51], s[50:51], exec
	s_or_b64 s[46:47], s[46:47], s[50:51]
.LBB53_29:                              ;   in Loop: Header=BB53_22 Depth=3
	s_or_b64 exec, exec, s[48:49]
	s_and_b64 s[46:47], s[46:47], exec
                                        ; implicit-def: $vgpr16
.LBB53_30:                              ;   in Loop: Header=BB53_22 Depth=3
	s_andn2_saveexec_b64 s[36:37], s[36:37]
	s_cbranch_execz .LBB53_21
; %bb.31:                               ;   in Loop: Header=BB53_22 Depth=3
	v_lshl_add_u32 v16, v15, 2, v16
	ds_add_f32 v16, v13 offset:4096
	ds_add_f32 v16, v14 offset:4100
	s_andn2_b64 s[46:47], s[46:47], exec
	s_branch .LBB53_21
.LBB53_32:
	s_or_b64 exec, exec, s[0:1]
.LBB53_33:
	s_andn2_b64 vcc, exec, s[44:45]
	s_cbranch_vccnz .LBB53_50
; %bb.34:
	s_waitcnt lgkmcnt(0)
	s_ashr_i32 s25, s24, 31
	s_lshl_b64 s[0:1], s[24:25], 2
	s_add_u32 s0, s26, s0
	s_addc_u32 s1, s27, s1
	s_load_dwordx2 s[0:1], s[0:1], 0x0
	v_subrev_u32_e32 v2, s31, v0
	s_waitcnt lgkmcnt(0)
	s_sub_i32 s25, s1, s31
	v_add_u32_e32 v2, s0, v2
	v_cmp_gt_i32_e32 vcc, s25, v2
	s_and_saveexec_b64 s[0:1], vcc
	s_cbranch_execz .LBB53_49
; %bb.35:
	s_mov_b64 s[2:3], 0
	v_mov_b32_e32 v4, s13
	v_mov_b32_e32 v5, s15
	s_movk_i32 s13, 0x89
	s_branch .LBB53_37
.LBB53_36:                              ;   in Loop: Header=BB53_37 Depth=1
	s_or_b64 exec, exec, s[4:5]
	v_add_u32_e32 v2, 0x200, v2
	v_cmp_le_i32_e32 vcc, s25, v2
	s_or_b64 s[2:3], vcc, s[2:3]
	s_andn2_b64 exec, exec, s[2:3]
	s_cbranch_execz .LBB53_49
.LBB53_37:                              ; =>This Loop Header: Depth=1
                                        ;     Child Loop BB53_39 Depth 2
	v_ashrrev_i32_e32 v3, 31, v2
	v_lshlrev_b64 v[8:9], 2, v[2:3]
	v_add_co_u32_e32 v8, vcc, s12, v8
	v_addc_co_u32_e32 v9, vcc, v4, v9, vcc
	global_load_dword v12, v[8:9], off
	v_lshlrev_b64 v[8:9], 3, v[2:3]
	v_add_co_u32_e32 v8, vcc, s14, v8
	v_addc_co_u32_e32 v9, vcc, v5, v9, vcc
	global_load_dwordx2 v[10:11], v[8:9], off
	s_mov_b64 s[4:5], 0
	s_waitcnt vmcnt(1)
	v_subrev_u32_e32 v3, s31, v12
	s_waitcnt vmcnt(0)
	v_mul_f32_e64 v8, v11, -s55
	v_mul_f32_e32 v9, s54, v11
	v_fmac_f32_e32 v8, s54, v10
	v_fmac_f32_e32 v9, s55, v10
	v_mul_lo_u32 v10, v3, s13
	v_and_b32_e32 v10, 0x3ff, v10
	s_branch .LBB53_39
.LBB53_38:                              ;   in Loop: Header=BB53_39 Depth=2
	s_or_b64 exec, exec, s[6:7]
	s_xor_b64 s[6:7], s[8:9], -1
	s_and_b64 s[6:7], exec, s[6:7]
	s_or_b64 s[4:5], s[6:7], s[4:5]
	s_andn2_b64 exec, exec, s[4:5]
	s_cbranch_execz .LBB53_36
.LBB53_39:                              ;   Parent Loop BB53_37 Depth=1
                                        ; =>  This Inner Loop Header: Depth=2
	v_lshl_add_u32 v11, v10, 2, 0
	ds_read_b32 v12, v11
                                        ; implicit-def: $sgpr8_sgpr9
	s_waitcnt lgkmcnt(0)
	v_cmp_ne_u32_e32 vcc, v12, v3
	s_and_saveexec_b64 s[6:7], vcc
	s_xor_b64 s[6:7], exec, s[6:7]
	s_cbranch_execz .LBB53_47
; %bb.40:                               ;   in Loop: Header=BB53_39 Depth=2
	v_cmp_ne_u32_e32 vcc, s33, v12
                                        ; implicit-def: $sgpr8_sgpr9
	s_and_saveexec_b64 s[10:11], vcc
	s_xor_b64 s[10:11], exec, s[10:11]
; %bb.41:                               ;   in Loop: Header=BB53_39 Depth=2
	v_add_u32_e32 v10, 1, v10
	v_and_b32_e32 v10, 0x3ff, v10
	s_mov_b64 s[8:9], -1
                                        ; implicit-def: $vgpr11
; %bb.42:                               ;   in Loop: Header=BB53_39 Depth=2
	s_andn2_saveexec_b64 s[10:11], s[10:11]
	s_cbranch_execz .LBB53_46
; %bb.43:                               ;   in Loop: Header=BB53_39 Depth=2
	v_mov_b32_e32 v12, s33
	ds_cmpst_rtn_b32 v12, v11, v12, v3
	s_mov_b64 s[20:21], -1
	s_waitcnt lgkmcnt(0)
	v_cmp_eq_u32_e32 vcc, s33, v12
	s_and_saveexec_b64 s[22:23], vcc
	s_cbranch_execz .LBB53_45
; %bb.44:                               ;   in Loop: Header=BB53_39 Depth=2
	v_lshl_add_u32 v11, v10, 2, v11
	ds_add_f32 v11, v8 offset:4096
	ds_add_f32 v11, v9 offset:4100
	s_xor_b64 s[20:21], exec, -1
.LBB53_45:                              ;   in Loop: Header=BB53_39 Depth=2
	s_or_b64 exec, exec, s[22:23]
	s_andn2_b64 s[8:9], s[8:9], exec
	s_and_b64 s[20:21], s[20:21], exec
	s_or_b64 s[8:9], s[8:9], s[20:21]
.LBB53_46:                              ;   in Loop: Header=BB53_39 Depth=2
	s_or_b64 exec, exec, s[10:11]
	s_and_b64 s[8:9], s[8:9], exec
                                        ; implicit-def: $vgpr11
.LBB53_47:                              ;   in Loop: Header=BB53_39 Depth=2
	s_andn2_saveexec_b64 s[6:7], s[6:7]
	s_cbranch_execz .LBB53_38
; %bb.48:                               ;   in Loop: Header=BB53_39 Depth=2
	v_lshl_add_u32 v11, v10, 2, v11
	ds_add_f32 v11, v8 offset:4096
	ds_add_f32 v11, v9 offset:4100
	s_andn2_b64 s[8:9], s[8:9], exec
	s_branch .LBB53_38
.LBB53_49:
	s_or_b64 exec, exec, s[0:1]
.LBB53_50:
	v_mbcnt_lo_u32_b32 v2, -1, 0
	v_mbcnt_hi_u32_b32 v2, -1, v2
	v_lshrrev_b32_e32 v4, 4, v0
	v_sub_u32_e32 v2, 63, v2
	v_and_b32_e32 v4, 28, v4
	s_movk_i32 s0, 0x1ff
	s_movk_i32 s4, 0x7f
	;; [unrolled: 1-line block ×7, first 2 shown]
	v_mov_b32_e32 v8, 0
	v_lshrrev_b64 v[2:3], v2, -1
	v_add_u32_e32 v9, 0, v4
	v_cmp_eq_u32_e64 s[0:1], s0, v0
	v_cmp_lt_u32_e64 s[2:3], 63, v0
	v_cmp_lt_u32_e64 s[4:5], s4, v0
	;; [unrolled: 1-line block ×7, first 2 shown]
	s_mov_b64 s[20:21], 0
	v_mov_b32_e32 v10, 0
	s_waitcnt lgkmcnt(0)
	s_barrier
	s_branch .LBB53_52
.LBB53_51:                              ;   in Loop: Header=BB53_52 Depth=1
	s_or_b64 exec, exec, s[22:23]
	s_waitcnt lgkmcnt(0)
	s_barrier
	ds_read_b32 v4, v8 offset:12316
	v_add_co_u32_e32 v6, vcc, 0x200, v6
	s_xor_b64 s[22:23], vcc, -1
	s_and_b64 s[22:23], exec, s[22:23]
	v_add_u32_e32 v1, 0x1000, v1
	s_waitcnt lgkmcnt(0)
	v_add_u32_e32 v10, v4, v10
	s_or_b64 s[20:21], s[22:23], s[20:21]
	v_add_u32_e32 v7, 0x800, v7
	s_andn2_b64 exec, exec, s[20:21]
	s_cbranch_execz .LBB53_70
.LBB53_52:                              ; =>This Inner Loop Header: Depth=1
	ds_read_b32 v11, v7
	ds_read2_b32 v[4:5], v1 offset1:1
	s_waitcnt lgkmcnt(0)
	s_barrier
	v_cmp_gt_i32_e32 vcc, s33, v11
	v_and_b32_e32 v13, vcc_lo, v2
	s_bcnt1_i32_b64 s22, vcc
	v_and_b32_e32 v12, vcc_hi, v3
	v_bcnt_u32_b32 v13, v13, 0
	v_bcnt_u32_b32 v12, v12, v13
	v_mov_b32_e32 v13, s22
	ds_write_b32 v9, v13 offset:12288
	s_waitcnt lgkmcnt(0)
	s_barrier
	s_and_saveexec_b64 s[22:23], s[2:3]
	s_cbranch_execnz .LBB53_61
; %bb.53:                               ;   in Loop: Header=BB53_52 Depth=1
	s_or_b64 exec, exec, s[22:23]
	s_and_saveexec_b64 s[22:23], s[4:5]
	s_cbranch_execnz .LBB53_62
.LBB53_54:                              ;   in Loop: Header=BB53_52 Depth=1
	s_or_b64 exec, exec, s[22:23]
	s_and_saveexec_b64 s[22:23], s[6:7]
	s_cbranch_execnz .LBB53_63
.LBB53_55:                              ;   in Loop: Header=BB53_52 Depth=1
	s_or_b64 exec, exec, s[22:23]
	s_and_saveexec_b64 s[22:23], s[8:9]
	s_cbranch_execnz .LBB53_64
.LBB53_56:                              ;   in Loop: Header=BB53_52 Depth=1
	s_or_b64 exec, exec, s[22:23]
	s_and_saveexec_b64 s[22:23], s[10:11]
	s_cbranch_execnz .LBB53_65
.LBB53_57:                              ;   in Loop: Header=BB53_52 Depth=1
	s_or_b64 exec, exec, s[22:23]
	s_and_saveexec_b64 s[22:23], s[12:13]
	s_cbranch_execnz .LBB53_66
.LBB53_58:                              ;   in Loop: Header=BB53_52 Depth=1
	s_or_b64 exec, exec, s[22:23]
	s_and_saveexec_b64 s[22:23], s[14:15]
	s_cbranch_execnz .LBB53_67
.LBB53_59:                              ;   in Loop: Header=BB53_52 Depth=1
	s_or_b64 exec, exec, s[22:23]
	s_and_saveexec_b64 s[22:23], vcc
	s_cbranch_execnz .LBB53_68
.LBB53_60:                              ;   in Loop: Header=BB53_52 Depth=1
	s_or_b64 exec, exec, s[22:23]
	s_and_saveexec_b64 s[22:23], s[0:1]
	s_cbranch_execz .LBB53_51
	s_branch .LBB53_69
.LBB53_61:                              ;   in Loop: Header=BB53_52 Depth=1
	ds_read_b32 v13, v8 offset:12288
	s_waitcnt lgkmcnt(0)
	v_add_u32_e32 v12, v13, v12
	s_or_b64 exec, exec, s[22:23]
	s_and_saveexec_b64 s[22:23], s[4:5]
	s_cbranch_execz .LBB53_54
.LBB53_62:                              ;   in Loop: Header=BB53_52 Depth=1
	ds_read_b32 v13, v8 offset:12292
	s_waitcnt lgkmcnt(0)
	v_add_u32_e32 v12, v13, v12
	s_or_b64 exec, exec, s[22:23]
	s_and_saveexec_b64 s[22:23], s[6:7]
	s_cbranch_execz .LBB53_55
.LBB53_63:                              ;   in Loop: Header=BB53_52 Depth=1
	ds_read_b32 v13, v8 offset:12296
	s_waitcnt lgkmcnt(0)
	v_add_u32_e32 v12, v13, v12
	s_or_b64 exec, exec, s[22:23]
	s_and_saveexec_b64 s[22:23], s[8:9]
	s_cbranch_execz .LBB53_56
.LBB53_64:                              ;   in Loop: Header=BB53_52 Depth=1
	ds_read_b32 v13, v8 offset:12300
	s_waitcnt lgkmcnt(0)
	v_add_u32_e32 v12, v13, v12
	s_or_b64 exec, exec, s[22:23]
	s_and_saveexec_b64 s[22:23], s[10:11]
	s_cbranch_execz .LBB53_57
.LBB53_65:                              ;   in Loop: Header=BB53_52 Depth=1
	ds_read_b32 v13, v8 offset:12304
	s_waitcnt lgkmcnt(0)
	v_add_u32_e32 v12, v13, v12
	s_or_b64 exec, exec, s[22:23]
	s_and_saveexec_b64 s[22:23], s[12:13]
	s_cbranch_execz .LBB53_58
.LBB53_66:                              ;   in Loop: Header=BB53_52 Depth=1
	ds_read_b32 v13, v8 offset:12308
	s_waitcnt lgkmcnt(0)
	v_add_u32_e32 v12, v13, v12
	s_or_b64 exec, exec, s[22:23]
	s_and_saveexec_b64 s[22:23], s[14:15]
	s_cbranch_execz .LBB53_59
.LBB53_67:                              ;   in Loop: Header=BB53_52 Depth=1
	ds_read_b32 v13, v8 offset:12312
	s_waitcnt lgkmcnt(0)
	v_add_u32_e32 v12, v13, v12
	s_or_b64 exec, exec, s[22:23]
	s_and_saveexec_b64 s[22:23], vcc
	s_cbranch_execz .LBB53_60
.LBB53_68:                              ;   in Loop: Header=BB53_52 Depth=1
	v_add3_u32 v13, v10, -1, v12
	v_lshl_add_u32 v14, v13, 2, 0
	v_lshl_add_u32 v13, v13, 3, 0
	v_add_u32_e32 v13, 0x1000, v13
	ds_write_b32 v14, v11
	ds_write2_b32 v13, v4, v5 offset1:1
	s_or_b64 exec, exec, s[22:23]
	s_and_saveexec_b64 s[22:23], s[0:1]
	s_cbranch_execz .LBB53_51
.LBB53_69:                              ;   in Loop: Header=BB53_52 Depth=1
	ds_write_b32 v8, v12 offset:12316
	s_branch .LBB53_51
.LBB53_70:
	s_or_b64 exec, exec, s[20:21]
	s_ashr_i32 s25, s24, 31
	s_lshl_b64 s[0:1], s[24:25], 2
	s_add_u32 s0, s16, s0
	s_addc_u32 s1, s17, s1
	s_load_dwordx2 s[0:1], s[0:1], 0x0
	s_waitcnt lgkmcnt(0)
	s_sub_i32 s14, s1, s0
	v_cmp_gt_i32_e32 vcc, s14, v0
	s_and_saveexec_b64 s[2:3], vcc
	s_cbranch_execz .LBB53_85
; %bb.71:
	s_sub_i32 s6, s0, s30
	s_add_i32 s0, s14, -2
	s_lshr_b32 s1, s0, 1
	s_add_i32 s2, s1, 1
	s_cmp_gt_u32 s14, 1
	s_cselect_b64 s[8:9], -1, 0
	s_and_b32 s15, s14, -2
	s_and_b32 s4, s2, 7
	s_cmp_gt_u32 s0, 13
	s_cselect_b64 s[0:1], -1, 0
	s_and_b32 s16, s2, -8
	s_cmp_lg_u32 s4, 0
	s_cselect_b64 s[2:3], -1, 0
	v_cndmask_b32_e64 v1, 0, 1, s[0:1]
	s_cmp_lg_u32 s14, s15
	v_cmp_ne_u32_e64 s[0:1], 1, v1
	v_cndmask_b32_e64 v1, 0, 1, s[2:3]
	s_mov_b32 s7, 0
	s_cselect_b64 s[10:11], -1, 0
	s_lshl_b32 s17, s4, 3
	s_mov_b64 s[12:13], 0
	s_movk_i32 s20, 0x1000
	v_cmp_ne_u32_e64 s[2:3], 1, v1
	v_mov_b32_e32 v1, s19
	v_mov_b32_e32 v6, s35
	s_branch .LBB53_73
.LBB53_72:                              ;   in Loop: Header=BB53_73 Depth=1
	v_ashrrev_i32_e32 v5, 31, v4
	v_lshlrev_b64 v[8:9], 2, v[4:5]
	v_add_co_u32_e32 v8, vcc, s18, v8
	v_addc_co_u32_e32 v9, vcc, v1, v9, vcc
	v_lshlrev_b64 v[4:5], 3, v[4:5]
	v_add_co_u32_e32 v4, vcc, s34, v4
	v_addc_co_u32_e32 v5, vcc, v6, v5, vcc
	v_add_u32_e32 v0, 0x200, v0
	v_cmp_le_i32_e32 vcc, s14, v0
	s_waitcnt lgkmcnt(1)
	v_add_u32_e32 v7, s30, v7
	s_or_b64 s[12:13], vcc, s[12:13]
	global_store_dword v[8:9], v7, off
	s_waitcnt lgkmcnt(0)
	global_store_dwordx2 v[4:5], v[2:3], off
	s_andn2_b64 exec, exec, s[12:13]
	s_cbranch_execz .LBB53_85
.LBB53_73:                              ; =>This Loop Header: Depth=1
                                        ;     Child Loop BB53_76 Depth 2
                                        ;     Child Loop BB53_81 Depth 2
	;; [unrolled: 1-line block ×3, first 2 shown]
	v_lshlrev_b32_e32 v2, 2, v0
	v_add_u32_e32 v3, 0, v2
	v_add3_u32 v2, v3, v2, s20
	ds_read_b32 v7, v3
	ds_read2_b32 v[2:3], v2 offset1:1
	s_and_b64 vcc, exec, s[8:9]
	s_cbranch_vccz .LBB53_78
; %bb.74:                               ;   in Loop: Header=BB53_73 Depth=1
	s_and_b64 vcc, exec, s[0:1]
	s_cbranch_vccnz .LBB53_79
; %bb.75:                               ;   in Loop: Header=BB53_73 Depth=1
	s_mov_b32 s21, 0
	v_mov_b32_e32 v4, s6
	v_mov_b32_e32 v5, 0
	s_mov_b32 s22, s16
	s_mov_b32 s19, 0
.LBB53_76:                              ;   Parent Loop BB53_73 Depth=1
                                        ; =>  This Inner Loop Header: Depth=2
	v_mov_b32_e32 v22, s21
	ds_read2_b32 v[8:9], v22 offset1:1
	ds_read2_b32 v[10:11], v22 offset0:2 offset1:3
	ds_read2_b32 v[12:13], v22 offset0:4 offset1:5
	;; [unrolled: 1-line block ×7, first 2 shown]
	s_waitcnt lgkmcnt(7)
	v_cmp_gt_i32_e32 vcc, v7, v9
	v_cndmask_b32_e64 v9, 0, 1, vcc
	v_cmp_gt_i32_e32 vcc, v7, v8
	s_waitcnt lgkmcnt(5)
	v_cmp_gt_i32_e64 s[4:5], v7, v12
	v_cndmask_b32_e64 v8, 0, 1, vcc
	v_cmp_gt_i32_e32 vcc, v7, v11
	v_cndmask_b32_e64 v11, 0, 1, s[4:5]
	v_cmp_gt_i32_e64 s[4:5], v7, v13
	v_cndmask_b32_e64 v12, 0, 1, s[4:5]
	s_waitcnt lgkmcnt(3)
	v_cmp_gt_i32_e64 s[4:5], v7, v17
	v_cndmask_b32_e64 v13, 0, 1, s[4:5]
	v_cmp_gt_i32_e64 s[4:5], v7, v16
	v_cndmask_b32_e64 v16, 0, 1, s[4:5]
	s_waitcnt lgkmcnt(1)
	v_cmp_gt_i32_e64 s[4:5], v7, v20
	v_cndmask_b32_e64 v17, 0, 1, s[4:5]
	v_cmp_gt_i32_e64 s[4:5], v7, v21
	v_cndmask_b32_e64 v20, 0, 1, s[4:5]
	v_cmp_gt_i32_e64 s[4:5], v7, v10
	v_addc_co_u32_e64 v4, s[4:5], v4, v8, s[4:5]
	v_addc_co_u32_e32 v5, vcc, v5, v9, vcc
	v_cmp_gt_i32_e32 vcc, v7, v14
	v_cmp_gt_i32_e64 s[4:5], v7, v15
	v_addc_co_u32_e64 v5, s[4:5], v5, v12, s[4:5]
	v_addc_co_u32_e32 v4, vcc, v4, v11, vcc
	v_cmp_gt_i32_e32 vcc, v7, v19
	v_cmp_gt_i32_e64 s[4:5], v7, v18
	v_addc_co_u32_e64 v4, s[4:5], v4, v16, s[4:5]
	v_addc_co_u32_e32 v5, vcc, v5, v13, vcc
	s_add_i32 s19, s19, 16
	s_add_i32 s21, s21, 64
	s_add_i32 s22, s22, -8
	s_waitcnt lgkmcnt(0)
	v_cmp_gt_i32_e32 vcc, v7, v22
	v_cmp_gt_i32_e64 s[4:5], v7, v23
	s_cmp_lg_u32 s22, 0
	v_addc_co_u32_e64 v5, s[4:5], v5, v20, s[4:5]
	v_addc_co_u32_e32 v4, vcc, v4, v17, vcc
	s_cbranch_scc1 .LBB53_76
; %bb.77:                               ;   in Loop: Header=BB53_73 Depth=1
	s_and_b64 vcc, exec, s[2:3]
	s_cbranch_vccz .LBB53_80
	s_branch .LBB53_82
.LBB53_78:                              ;   in Loop: Header=BB53_73 Depth=1
	v_mov_b32_e32 v4, s6
	s_mov_b32 s19, 0
	s_cbranch_execz .LBB53_72
	s_branch .LBB53_83
.LBB53_79:                              ;   in Loop: Header=BB53_73 Depth=1
	v_pk_mov_b32 v[4:5], s[6:7], s[6:7] op_sel:[0,1]
	s_mov_b32 s19, 0
	s_and_b64 vcc, exec, s[2:3]
	s_cbranch_vccnz .LBB53_82
.LBB53_80:                              ;   in Loop: Header=BB53_73 Depth=1
	s_lshl_b32 s4, s19, 2
	s_add_i32 s4, s4, 0
	s_mov_b32 s5, s17
.LBB53_81:                              ;   Parent Loop BB53_73 Depth=1
                                        ; =>  This Inner Loop Header: Depth=2
	v_mov_b32_e32 v8, s4
	ds_read2_b32 v[8:9], v8 offset1:1
	s_add_i32 s4, s4, 8
	s_add_i32 s5, s5, -8
	s_cmp_lg_u32 s5, 0
	s_waitcnt lgkmcnt(0)
	v_cmp_gt_i32_e32 vcc, v7, v9
	v_addc_co_u32_e32 v5, vcc, 0, v5, vcc
	v_cmp_gt_i32_e32 vcc, v7, v8
	v_addc_co_u32_e32 v4, vcc, 0, v4, vcc
	s_cbranch_scc1 .LBB53_81
.LBB53_82:                              ;   in Loop: Header=BB53_73 Depth=1
	v_add_u32_e32 v4, v4, v5
	s_mov_b32 s19, s15
	s_mov_b64 s[4:5], s[10:11]
	s_and_b64 vcc, exec, s[4:5]
	s_cbranch_vccz .LBB53_72
.LBB53_83:                              ;   in Loop: Header=BB53_73 Depth=1
	s_lshl_b32 s4, s19, 2
	s_add_i32 s4, s4, 0
.LBB53_84:                              ;   Parent Loop BB53_73 Depth=1
                                        ; =>  This Inner Loop Header: Depth=2
	v_mov_b32_e32 v5, s4
	ds_read_b32 v5, v5
	s_add_i32 s19, s19, 1
	s_add_i32 s4, s4, 4
	s_cmp_ge_i32 s19, s14
	s_waitcnt lgkmcnt(0)
	v_cmp_gt_i32_e32 vcc, v7, v5
	v_addc_co_u32_e32 v4, vcc, 0, v4, vcc
	s_cbranch_scc0 .LBB53_84
	s_branch .LBB53_72
.LBB53_85:
	s_endpgm
	.section	.rodata,"a",@progbits
	.p2align	6, 0x0
	.amdhsa_kernel _ZN9rocsparseL26csrgemm_fill_block_per_rowILj512ELj32ELj1024ELj137ELj64Eii21rocsparse_complex_numIfEEEvT5_PKS3_S5_NS_24const_host_device_scalarIT6_EEPKT4_S5_PKS7_SB_S5_SD_S8_SB_S5_SD_SB_PS3_PS7_21rocsparse_index_base_SG_SG_SG_bbb
		.amdhsa_group_segment_fixed_size 0
		.amdhsa_private_segment_fixed_size 0
		.amdhsa_kernarg_size 156
		.amdhsa_user_sgpr_count 6
		.amdhsa_user_sgpr_private_segment_buffer 1
		.amdhsa_user_sgpr_dispatch_ptr 0
		.amdhsa_user_sgpr_queue_ptr 0
		.amdhsa_user_sgpr_kernarg_segment_ptr 1
		.amdhsa_user_sgpr_dispatch_id 0
		.amdhsa_user_sgpr_flat_scratch_init 0
		.amdhsa_user_sgpr_kernarg_preload_length 0
		.amdhsa_user_sgpr_kernarg_preload_offset 0
		.amdhsa_user_sgpr_private_segment_size 0
		.amdhsa_uses_dynamic_stack 0
		.amdhsa_system_sgpr_private_segment_wavefront_offset 0
		.amdhsa_system_sgpr_workgroup_id_x 1
		.amdhsa_system_sgpr_workgroup_id_y 0
		.amdhsa_system_sgpr_workgroup_id_z 0
		.amdhsa_system_sgpr_workgroup_info 0
		.amdhsa_system_vgpr_workitem_id 0
		.amdhsa_next_free_vgpr 24
		.amdhsa_next_free_sgpr 57
		.amdhsa_accum_offset 24
		.amdhsa_reserve_vcc 1
		.amdhsa_reserve_flat_scratch 0
		.amdhsa_float_round_mode_32 0
		.amdhsa_float_round_mode_16_64 0
		.amdhsa_float_denorm_mode_32 3
		.amdhsa_float_denorm_mode_16_64 3
		.amdhsa_dx10_clamp 1
		.amdhsa_ieee_mode 1
		.amdhsa_fp16_overflow 0
		.amdhsa_tg_split 0
		.amdhsa_exception_fp_ieee_invalid_op 0
		.amdhsa_exception_fp_denorm_src 0
		.amdhsa_exception_fp_ieee_div_zero 0
		.amdhsa_exception_fp_ieee_overflow 0
		.amdhsa_exception_fp_ieee_underflow 0
		.amdhsa_exception_fp_ieee_inexact 0
		.amdhsa_exception_int_div_zero 0
	.end_amdhsa_kernel
	.section	.text._ZN9rocsparseL26csrgemm_fill_block_per_rowILj512ELj32ELj1024ELj137ELj64Eii21rocsparse_complex_numIfEEEvT5_PKS3_S5_NS_24const_host_device_scalarIT6_EEPKT4_S5_PKS7_SB_S5_SD_S8_SB_S5_SD_SB_PS3_PS7_21rocsparse_index_base_SG_SG_SG_bbb,"axG",@progbits,_ZN9rocsparseL26csrgemm_fill_block_per_rowILj512ELj32ELj1024ELj137ELj64Eii21rocsparse_complex_numIfEEEvT5_PKS3_S5_NS_24const_host_device_scalarIT6_EEPKT4_S5_PKS7_SB_S5_SD_S8_SB_S5_SD_SB_PS3_PS7_21rocsparse_index_base_SG_SG_SG_bbb,comdat
.Lfunc_end53:
	.size	_ZN9rocsparseL26csrgemm_fill_block_per_rowILj512ELj32ELj1024ELj137ELj64Eii21rocsparse_complex_numIfEEEvT5_PKS3_S5_NS_24const_host_device_scalarIT6_EEPKT4_S5_PKS7_SB_S5_SD_S8_SB_S5_SD_SB_PS3_PS7_21rocsparse_index_base_SG_SG_SG_bbb, .Lfunc_end53-_ZN9rocsparseL26csrgemm_fill_block_per_rowILj512ELj32ELj1024ELj137ELj64Eii21rocsparse_complex_numIfEEEvT5_PKS3_S5_NS_24const_host_device_scalarIT6_EEPKT4_S5_PKS7_SB_S5_SD_S8_SB_S5_SD_SB_PS3_PS7_21rocsparse_index_base_SG_SG_SG_bbb
                                        ; -- End function
	.section	.AMDGPU.csdata,"",@progbits
; Kernel info:
; codeLenInByte = 3004
; NumSgprs: 61
; NumVgprs: 24
; NumAgprs: 0
; TotalNumVgprs: 24
; ScratchSize: 0
; MemoryBound: 0
; FloatMode: 240
; IeeeMode: 1
; LDSByteSize: 0 bytes/workgroup (compile time only)
; SGPRBlocks: 7
; VGPRBlocks: 2
; NumSGPRsForWavesPerEU: 61
; NumVGPRsForWavesPerEU: 24
; AccumOffset: 24
; Occupancy: 8
; WaveLimiterHint : 1
; COMPUTE_PGM_RSRC2:SCRATCH_EN: 0
; COMPUTE_PGM_RSRC2:USER_SGPR: 6
; COMPUTE_PGM_RSRC2:TRAP_HANDLER: 0
; COMPUTE_PGM_RSRC2:TGID_X_EN: 1
; COMPUTE_PGM_RSRC2:TGID_Y_EN: 0
; COMPUTE_PGM_RSRC2:TGID_Z_EN: 0
; COMPUTE_PGM_RSRC2:TIDIG_COMP_CNT: 0
; COMPUTE_PGM_RSRC3_GFX90A:ACCUM_OFFSET: 5
; COMPUTE_PGM_RSRC3_GFX90A:TG_SPLIT: 0
	.section	.text._ZN9rocsparseL26csrgemm_fill_block_per_rowILj1024ELj32ELj2048ELj137ELj32Eii21rocsparse_complex_numIfEEEvT5_PKS3_S5_NS_24const_host_device_scalarIT6_EEPKT4_S5_PKS7_SB_S5_SD_S8_SB_S5_SD_SB_PS3_PS7_21rocsparse_index_base_SG_SG_SG_bbb,"axG",@progbits,_ZN9rocsparseL26csrgemm_fill_block_per_rowILj1024ELj32ELj2048ELj137ELj32Eii21rocsparse_complex_numIfEEEvT5_PKS3_S5_NS_24const_host_device_scalarIT6_EEPKT4_S5_PKS7_SB_S5_SD_S8_SB_S5_SD_SB_PS3_PS7_21rocsparse_index_base_SG_SG_SG_bbb,comdat
	.globl	_ZN9rocsparseL26csrgemm_fill_block_per_rowILj1024ELj32ELj2048ELj137ELj32Eii21rocsparse_complex_numIfEEEvT5_PKS3_S5_NS_24const_host_device_scalarIT6_EEPKT4_S5_PKS7_SB_S5_SD_S8_SB_S5_SD_SB_PS3_PS7_21rocsparse_index_base_SG_SG_SG_bbb ; -- Begin function _ZN9rocsparseL26csrgemm_fill_block_per_rowILj1024ELj32ELj2048ELj137ELj32Eii21rocsparse_complex_numIfEEEvT5_PKS3_S5_NS_24const_host_device_scalarIT6_EEPKT4_S5_PKS7_SB_S5_SD_S8_SB_S5_SD_SB_PS3_PS7_21rocsparse_index_base_SG_SG_SG_bbb
	.p2align	8
	.type	_ZN9rocsparseL26csrgemm_fill_block_per_rowILj1024ELj32ELj2048ELj137ELj32Eii21rocsparse_complex_numIfEEEvT5_PKS3_S5_NS_24const_host_device_scalarIT6_EEPKT4_S5_PKS7_SB_S5_SD_S8_SB_S5_SD_SB_PS3_PS7_21rocsparse_index_base_SG_SG_SG_bbb,@function
_ZN9rocsparseL26csrgemm_fill_block_per_rowILj1024ELj32ELj2048ELj137ELj32Eii21rocsparse_complex_numIfEEEvT5_PKS3_S5_NS_24const_host_device_scalarIT6_EEPKT4_S5_PKS7_SB_S5_SD_S8_SB_S5_SD_SB_PS3_PS7_21rocsparse_index_base_SG_SG_SG_bbb: ; @_ZN9rocsparseL26csrgemm_fill_block_per_rowILj1024ELj32ELj2048ELj137ELj32Eii21rocsparse_complex_numIfEEEvT5_PKS3_S5_NS_24const_host_device_scalarIT6_EEPKT4_S5_PKS7_SB_S5_SD_S8_SB_S5_SD_SB_PS3_PS7_21rocsparse_index_base_SG_SG_SG_bbb
; %bb.0:
	s_load_dwordx8 s[64:71], s[4:5], 0x60
	s_load_dwordx8 s[8:15], s[4:5], 0x40
	s_load_dword s7, s[4:5], 0x98
	s_load_dwordx4 s[24:27], s[4:5], 0x8
	s_load_dwordx8 s[16:23], s[4:5], 0x20
	s_load_dwordx2 s[76:77], s[4:5], 0x80
	s_load_dwordx4 s[72:75], s[4:5], 0x88
	s_waitcnt lgkmcnt(0)
	s_bitcmp1_b32 s7, 0
	s_cselect_b64 s[30:31], -1, 0
	s_bitcmp1_b32 s7, 16
	s_cselect_b64 s[0:1], -1, 0
	s_xor_b64 s[0:1], s[0:1], -1
	v_cndmask_b32_e64 v1, 0, 1, s[0:1]
	s_mov_b32 s3, 0
	s_bitcmp0_b32 s7, 0
	v_cmp_ne_u32_e64 s[0:1], 1, v1
	s_mov_b32 s40, 0
	s_cbranch_scc1 .LBB54_5
; %bb.1:
	s_load_dwordx2 s[2:3], s[4:5], 0x18
	s_and_b64 vcc, exec, s[0:1]
	s_waitcnt lgkmcnt(0)
	s_mov_b32 s40, s2
	s_cbranch_vccnz .LBB54_3
; %bb.2:
	s_load_dword s40, s[2:3], 0x0
.LBB54_3:
	s_and_b64 vcc, exec, s[0:1]
	s_cbranch_vccnz .LBB54_5
; %bb.4:
	s_load_dword s3, s[2:3], 0x4
.LBB54_5:
	s_bitcmp1_b32 s7, 8
	s_cselect_b64 s[28:29], -1, 0
	s_bfe_u32 s2, s7, 0x10008
	s_mov_b32 s39, 0
	s_cmp_eq_u32 s2, 0
	s_mov_b32 s38, 0
	s_cbranch_scc1 .LBB54_11
; %bb.6:
	s_and_b64 vcc, exec, s[0:1]
	s_mov_b32 s38, s12
	s_cbranch_vccnz .LBB54_8
; %bb.7:
	s_load_dword s38, s[12:13], 0x0
.LBB54_8:
	s_and_b64 vcc, exec, s[0:1]
	s_cbranch_vccnz .LBB54_10
; %bb.9:
	s_load_dword s13, s[12:13], 0x4
.LBB54_10:
	s_waitcnt lgkmcnt(0)
	s_mov_b32 s39, s13
.LBB54_11:
	s_load_dword s33, s[4:5], 0x0
	v_lshl_add_u32 v1, v0, 3, 0
	v_add_u32_e32 v1, 0x2000, v1
	v_or_b32_e32 v6, 0xfffffc00, v0
	v_lshl_add_u32 v7, v0, 2, 0
	s_mov_b64 s[0:1], 0
	s_waitcnt lgkmcnt(0)
	v_mov_b32_e32 v2, s33
	v_mov_b32_e32 v3, 0
	;; [unrolled: 1-line block ×5, first 2 shown]
.LBB54_12:                              ; =>This Inner Loop Header: Depth=1
	v_add_co_u32_e32 v5, vcc, 0x400, v5
	s_xor_b64 s[4:5], vcc, -1
	s_and_b64 s[4:5], exec, s[4:5]
	ds_write_b32 v4, v2
	ds_write2_b32 v8, v3, v3 offset1:1
	v_add_u32_e32 v8, 0x2000, v8
	s_or_b64 s[0:1], s[4:5], s[0:1]
	v_add_u32_e32 v4, 0x1000, v4
	s_andn2_b64 exec, exec, s[0:1]
	s_cbranch_execnz .LBB54_12
; %bb.13:
	s_or_b64 exec, exec, s[0:1]
	s_waitcnt lgkmcnt(0)
	s_barrier
	s_load_dword s0, s[24:25], 0x0
	s_mov_b32 s1, 0
	v_lshrrev_b32_e32 v9, 5, v0
	s_waitcnt lgkmcnt(0)
	s_add_i32 s0, s0, s6
	s_lshl_b64 s[0:1], s[0:1], 2
	s_add_u32 s0, s26, s0
	s_addc_u32 s1, s27, s1
	s_load_dword s78, s[0:1], 0x0
	s_and_b64 vcc, exec, s[30:31]
	s_cbranch_vccz .LBB54_33
; %bb.14:
	s_waitcnt lgkmcnt(0)
	s_ashr_i32 s79, s78, 31
	s_lshl_b64 s[0:1], s[78:79], 2
	s_add_u32 s0, s16, s0
	s_addc_u32 s1, s17, s1
	s_load_dwordx2 s[0:1], s[0:1], 0x0
	v_subrev_u32_e32 v2, s72, v9
	s_waitcnt lgkmcnt(0)
	s_sub_i32 s2, s1, s72
	v_add_u32_e32 v2, s0, v2
	v_cmp_gt_i32_e32 vcc, s2, v2
	s_and_saveexec_b64 s[0:1], vcc
	s_cbranch_execz .LBB54_32
; %bb.15:
	v_and_b32_e32 v3, 31, v0
	v_subrev_u32_e32 v8, s73, v3
	s_mov_b64 s[4:5], 0
	v_mov_b32_e32 v10, s19
	v_mov_b32_e32 v11, s23
	s_movk_i32 s19, 0x89
	s_branch .LBB54_17
.LBB54_16:                              ;   in Loop: Header=BB54_17 Depth=1
	s_or_b64 exec, exec, s[6:7]
	v_add_u32_e32 v2, 32, v2
	v_cmp_le_i32_e32 vcc, s2, v2
	s_or_b64 s[4:5], vcc, s[4:5]
	s_andn2_b64 exec, exec, s[4:5]
	s_cbranch_execz .LBB54_32
.LBB54_17:                              ; =>This Loop Header: Depth=1
                                        ;     Child Loop BB54_20 Depth 2
                                        ;       Child Loop BB54_22 Depth 3
	v_ashrrev_i32_e32 v3, 31, v2
	v_lshlrev_b64 v[4:5], 2, v[2:3]
	v_add_co_u32_e32 v4, vcc, s18, v4
	v_addc_co_u32_e32 v5, vcc, v10, v5, vcc
	global_load_dword v4, v[4:5], off
	s_waitcnt vmcnt(0)
	v_subrev_u32_e32 v4, s72, v4
	v_ashrrev_i32_e32 v5, 31, v4
	v_lshlrev_b64 v[4:5], 2, v[4:5]
	v_add_co_u32_e32 v4, vcc, s22, v4
	v_addc_co_u32_e32 v5, vcc, v11, v5, vcc
	global_load_dwordx2 v[4:5], v[4:5], off
	s_waitcnt vmcnt(0)
	v_subrev_u32_e32 v12, s73, v5
	v_add_u32_e32 v4, v4, v8
	v_cmp_lt_i32_e32 vcc, v4, v12
	s_and_saveexec_b64 s[6:7], vcc
	s_cbranch_execz .LBB54_16
; %bb.18:                               ;   in Loop: Header=BB54_17 Depth=1
	v_lshlrev_b64 v[14:15], 3, v[2:3]
	v_mov_b32_e32 v3, s21
	v_add_co_u32_e32 v14, vcc, s20, v14
	v_addc_co_u32_e32 v15, vcc, v3, v15, vcc
	global_load_dwordx2 v[14:15], v[14:15], off
	s_mov_b64 s[12:13], 0
	s_waitcnt vmcnt(0)
	v_mul_f32_e64 v3, v15, -s3
	v_mul_f32_e32 v13, s40, v15
	v_fmac_f32_e32 v3, s40, v14
	v_fmac_f32_e32 v13, s3, v14
	s_branch .LBB54_20
.LBB54_19:                              ;   in Loop: Header=BB54_20 Depth=2
	s_or_b64 exec, exec, s[16:17]
	v_add_u32_e32 v4, 32, v4
	v_cmp_ge_i32_e32 vcc, v4, v12
	s_or_b64 s[12:13], vcc, s[12:13]
	s_andn2_b64 exec, exec, s[12:13]
	s_cbranch_execz .LBB54_16
.LBB54_20:                              ;   Parent Loop BB54_17 Depth=1
                                        ; =>  This Loop Header: Depth=2
                                        ;       Child Loop BB54_22 Depth 3
	v_ashrrev_i32_e32 v5, 31, v4
	v_lshlrev_b64 v[14:15], 2, v[4:5]
	v_mov_b32_e32 v16, s9
	v_add_co_u32_e32 v14, vcc, s8, v14
	v_addc_co_u32_e32 v15, vcc, v16, v15, vcc
	global_load_dword v18, v[14:15], off
	v_lshlrev_b64 v[14:15], 3, v[4:5]
	v_mov_b32_e32 v5, s11
	v_add_co_u32_e32 v14, vcc, s10, v14
	v_addc_co_u32_e32 v15, vcc, v5, v15, vcc
	global_load_dwordx2 v[16:17], v[14:15], off
	s_mov_b64 s[16:17], 0
	s_waitcnt vmcnt(1)
	v_subrev_u32_e32 v5, s73, v18
	s_waitcnt vmcnt(0)
	v_mul_f32_e64 v14, v17, -v13
	v_mul_f32_e32 v15, v3, v17
	v_fmac_f32_e32 v14, v3, v16
	v_fmac_f32_e32 v15, v13, v16
	v_mul_lo_u32 v16, v5, s19
	v_and_b32_e32 v16, 0x7ff, v16
	s_branch .LBB54_22
.LBB54_21:                              ;   in Loop: Header=BB54_22 Depth=3
	s_or_b64 exec, exec, s[24:25]
	s_xor_b64 s[24:25], s[26:27], -1
	s_and_b64 s[24:25], exec, s[24:25]
	s_or_b64 s[16:17], s[24:25], s[16:17]
	s_andn2_b64 exec, exec, s[16:17]
	s_cbranch_execz .LBB54_19
.LBB54_22:                              ;   Parent Loop BB54_17 Depth=1
                                        ;     Parent Loop BB54_20 Depth=2
                                        ; =>    This Inner Loop Header: Depth=3
	v_lshl_add_u32 v17, v16, 2, 0
	ds_read_b32 v18, v17
                                        ; implicit-def: $sgpr26_sgpr27
	s_waitcnt lgkmcnt(0)
	v_cmp_ne_u32_e32 vcc, v18, v5
	s_and_saveexec_b64 s[24:25], vcc
	s_xor_b64 s[24:25], exec, s[24:25]
	s_cbranch_execz .LBB54_30
; %bb.23:                               ;   in Loop: Header=BB54_22 Depth=3
	v_cmp_ne_u32_e32 vcc, s33, v18
                                        ; implicit-def: $sgpr26_sgpr27
	s_and_saveexec_b64 s[30:31], vcc
	s_xor_b64 s[30:31], exec, s[30:31]
; %bb.24:                               ;   in Loop: Header=BB54_22 Depth=3
	v_add_u32_e32 v16, 1, v16
	v_and_b32_e32 v16, 0x7ff, v16
	s_mov_b64 s[26:27], -1
                                        ; implicit-def: $vgpr17
; %bb.25:                               ;   in Loop: Header=BB54_22 Depth=3
	s_andn2_saveexec_b64 s[30:31], s[30:31]
	s_cbranch_execz .LBB54_29
; %bb.26:                               ;   in Loop: Header=BB54_22 Depth=3
	v_mov_b32_e32 v18, s33
	ds_cmpst_rtn_b32 v18, v17, v18, v5
	s_mov_b64 s[34:35], -1
	s_waitcnt lgkmcnt(0)
	v_cmp_eq_u32_e32 vcc, s33, v18
	s_and_saveexec_b64 s[36:37], vcc
	s_cbranch_execz .LBB54_28
; %bb.27:                               ;   in Loop: Header=BB54_22 Depth=3
	v_lshl_add_u32 v17, v16, 2, v17
	ds_add_f32 v17, v14 offset:8192
	ds_add_f32 v17, v15 offset:8196
	s_xor_b64 s[34:35], exec, -1
.LBB54_28:                              ;   in Loop: Header=BB54_22 Depth=3
	s_or_b64 exec, exec, s[36:37]
	s_andn2_b64 s[26:27], s[26:27], exec
	s_and_b64 s[34:35], s[34:35], exec
	s_or_b64 s[26:27], s[26:27], s[34:35]
.LBB54_29:                              ;   in Loop: Header=BB54_22 Depth=3
	s_or_b64 exec, exec, s[30:31]
	s_and_b64 s[26:27], s[26:27], exec
                                        ; implicit-def: $vgpr17
.LBB54_30:                              ;   in Loop: Header=BB54_22 Depth=3
	s_andn2_saveexec_b64 s[24:25], s[24:25]
	s_cbranch_execz .LBB54_21
; %bb.31:                               ;   in Loop: Header=BB54_22 Depth=3
	v_lshl_add_u32 v17, v16, 2, v17
	ds_add_f32 v17, v14 offset:8192
	ds_add_f32 v17, v15 offset:8196
	s_andn2_b64 s[26:27], s[26:27], exec
	s_branch .LBB54_21
.LBB54_32:
	s_or_b64 exec, exec, s[0:1]
.LBB54_33:
	s_andn2_b64 vcc, exec, s[28:29]
	s_cbranch_vccnz .LBB54_50
; %bb.34:
	s_waitcnt lgkmcnt(0)
	s_ashr_i32 s79, s78, 31
	s_lshl_b64 s[0:1], s[78:79], 2
	s_add_u32 s0, s14, s0
	s_addc_u32 s1, s15, s1
	s_load_dwordx2 s[0:1], s[0:1], 0x0
	v_subrev_u32_e32 v2, s75, v0
	s_waitcnt lgkmcnt(0)
	s_sub_i32 s16, s1, s75
	v_add_u32_e32 v2, s0, v2
	v_cmp_gt_i32_e32 vcc, s16, v2
	s_and_saveexec_b64 s[0:1], vcc
	s_cbranch_execz .LBB54_49
; %bb.35:
	s_mov_b64 s[2:3], 0
	v_mov_b32_e32 v4, s65
	v_mov_b32_e32 v5, s67
	s_movk_i32 s17, 0x89
	s_branch .LBB54_37
.LBB54_36:                              ;   in Loop: Header=BB54_37 Depth=1
	s_or_b64 exec, exec, s[4:5]
	v_add_u32_e32 v2, 0x400, v2
	v_cmp_le_i32_e32 vcc, s16, v2
	s_or_b64 s[2:3], vcc, s[2:3]
	s_andn2_b64 exec, exec, s[2:3]
	s_cbranch_execz .LBB54_49
.LBB54_37:                              ; =>This Loop Header: Depth=1
                                        ;     Child Loop BB54_39 Depth 2
	v_ashrrev_i32_e32 v3, 31, v2
	v_lshlrev_b64 v[10:11], 2, v[2:3]
	v_add_co_u32_e32 v10, vcc, s64, v10
	v_addc_co_u32_e32 v11, vcc, v4, v11, vcc
	global_load_dword v8, v[10:11], off
	v_lshlrev_b64 v[10:11], 3, v[2:3]
	v_add_co_u32_e32 v10, vcc, s66, v10
	v_addc_co_u32_e32 v11, vcc, v5, v11, vcc
	global_load_dwordx2 v[12:13], v[10:11], off
	s_mov_b64 s[4:5], 0
	s_waitcnt vmcnt(1)
	v_subrev_u32_e32 v3, s75, v8
	v_mul_lo_u32 v11, v3, s17
	v_and_b32_e32 v11, 0x7ff, v11
	s_waitcnt vmcnt(0)
	v_mul_f32_e64 v8, v13, -s39
	v_mul_f32_e32 v10, s38, v13
	v_fmac_f32_e32 v8, s38, v12
	v_fmac_f32_e32 v10, s39, v12
	s_branch .LBB54_39
.LBB54_38:                              ;   in Loop: Header=BB54_39 Depth=2
	s_or_b64 exec, exec, s[6:7]
	s_xor_b64 s[6:7], s[8:9], -1
	s_and_b64 s[6:7], exec, s[6:7]
	s_or_b64 s[4:5], s[6:7], s[4:5]
	s_andn2_b64 exec, exec, s[4:5]
	s_cbranch_execz .LBB54_36
.LBB54_39:                              ;   Parent Loop BB54_37 Depth=1
                                        ; =>  This Inner Loop Header: Depth=2
	v_lshl_add_u32 v12, v11, 2, 0
	ds_read_b32 v13, v12
                                        ; implicit-def: $sgpr8_sgpr9
	s_waitcnt lgkmcnt(0)
	v_cmp_ne_u32_e32 vcc, v13, v3
	s_and_saveexec_b64 s[6:7], vcc
	s_xor_b64 s[6:7], exec, s[6:7]
	s_cbranch_execz .LBB54_47
; %bb.40:                               ;   in Loop: Header=BB54_39 Depth=2
	v_cmp_ne_u32_e32 vcc, s33, v13
                                        ; implicit-def: $sgpr8_sgpr9
	s_and_saveexec_b64 s[10:11], vcc
	s_xor_b64 s[10:11], exec, s[10:11]
; %bb.41:                               ;   in Loop: Header=BB54_39 Depth=2
	v_add_u32_e32 v11, 1, v11
	v_and_b32_e32 v11, 0x7ff, v11
	s_mov_b64 s[8:9], -1
                                        ; implicit-def: $vgpr12
; %bb.42:                               ;   in Loop: Header=BB54_39 Depth=2
	s_andn2_saveexec_b64 s[10:11], s[10:11]
	s_cbranch_execz .LBB54_46
; %bb.43:                               ;   in Loop: Header=BB54_39 Depth=2
	v_mov_b32_e32 v13, s33
	ds_cmpst_rtn_b32 v13, v12, v13, v3
	s_mov_b64 s[12:13], -1
	s_waitcnt lgkmcnt(0)
	v_cmp_eq_u32_e32 vcc, s33, v13
	s_and_saveexec_b64 s[14:15], vcc
	s_cbranch_execz .LBB54_45
; %bb.44:                               ;   in Loop: Header=BB54_39 Depth=2
	v_lshl_add_u32 v12, v11, 2, v12
	ds_add_f32 v12, v8 offset:8192
	ds_add_f32 v12, v10 offset:8196
	s_xor_b64 s[12:13], exec, -1
.LBB54_45:                              ;   in Loop: Header=BB54_39 Depth=2
	s_or_b64 exec, exec, s[14:15]
	s_andn2_b64 s[8:9], s[8:9], exec
	s_and_b64 s[12:13], s[12:13], exec
	s_or_b64 s[8:9], s[8:9], s[12:13]
.LBB54_46:                              ;   in Loop: Header=BB54_39 Depth=2
	s_or_b64 exec, exec, s[10:11]
	s_and_b64 s[8:9], s[8:9], exec
                                        ; implicit-def: $vgpr12
.LBB54_47:                              ;   in Loop: Header=BB54_39 Depth=2
	s_andn2_saveexec_b64 s[6:7], s[6:7]
	s_cbranch_execz .LBB54_38
; %bb.48:                               ;   in Loop: Header=BB54_39 Depth=2
	v_lshl_add_u32 v12, v11, 2, v12
	ds_add_f32 v12, v8 offset:8192
	ds_add_f32 v12, v10 offset:8196
	s_andn2_b64 s[8:9], s[8:9], exec
	s_branch .LBB54_38
.LBB54_49:
	s_or_b64 exec, exec, s[0:1]
.LBB54_50:
	v_mbcnt_lo_u32_b32 v2, -1, 0
	v_mbcnt_hi_u32_b32 v2, -1, v2
	v_sub_u32_e32 v2, 63, v2
	s_movk_i32 s0, 0x3ff
	s_movk_i32 s6, 0x5f
	s_movk_i32 s8, 0x7f
	s_movk_i32 s10, 0x9f
	s_movk_i32 s12, 0xbf
	s_movk_i32 s14, 0xdf
	s_movk_i32 s16, 0xff
	s_movk_i32 s18, 0x11f
	s_movk_i32 s20, 0x13f
	s_movk_i32 s22, 0x15f
	s_movk_i32 s24, 0x17f
	s_movk_i32 s26, 0x19f
	s_movk_i32 s28, 0x1bf
	s_movk_i32 s30, 0x1df
	s_movk_i32 s34, 0x1ff
	s_movk_i32 s36, 0x21f
	s_movk_i32 s38, 0x23f
	s_movk_i32 s40, 0x25f
	s_movk_i32 s42, 0x27f
	s_movk_i32 s44, 0x29f
	s_movk_i32 s46, 0x2bf
	s_movk_i32 s48, 0x2df
	s_movk_i32 s50, 0x2ff
	s_movk_i32 s52, 0x31f
	s_movk_i32 s54, 0x33f
	s_movk_i32 s56, 0x35f
	s_movk_i32 s58, 0x37f
	s_movk_i32 s60, 0x39f
	s_movk_i32 s62, 0x3bf
	s_movk_i32 s64, 0x3df
	v_mov_b32_e32 v8, 0
	v_lshrrev_b64 v[2:3], v2, -1
	v_lshl_add_u32 v9, v9, 2, 0
	v_cmp_eq_u32_e64 s[0:1], s0, v0
	v_cmp_lt_u32_e64 s[2:3], 31, v0
	v_cmp_lt_u32_e64 s[4:5], 63, v0
	;; [unrolled: 1-line block ×31, first 2 shown]
	s_mov_b64 s[66:67], 0
	v_mov_b32_e32 v10, 0
	s_waitcnt lgkmcnt(0)
	s_barrier
	s_branch .LBB54_52
.LBB54_51:                              ;   in Loop: Header=BB54_52 Depth=1
	s_or_b64 exec, exec, s[72:73]
	s_waitcnt lgkmcnt(0)
	s_barrier
	ds_read_b32 v4, v8 offset:24700
	v_add_co_u32_e32 v6, vcc, 0x400, v6
	s_xor_b64 s[72:73], vcc, -1
	s_and_b64 s[72:73], exec, s[72:73]
	v_add_u32_e32 v1, 0x2000, v1
	s_waitcnt lgkmcnt(0)
	v_add_u32_e32 v10, v4, v10
	s_or_b64 s[66:67], s[72:73], s[66:67]
	v_add_u32_e32 v7, 0x1000, v7
	s_andn2_b64 exec, exec, s[66:67]
	s_cbranch_execz .LBB54_118
.LBB54_52:                              ; =>This Inner Loop Header: Depth=1
	ds_read_b32 v11, v7
	ds_read2_b32 v[4:5], v1 offset1:1
	s_waitcnt lgkmcnt(0)
	s_barrier
	v_cmp_gt_i32_e32 vcc, s33, v11
	v_and_b32_e32 v13, vcc_lo, v2
	s_bcnt1_i32_b64 s72, vcc
	v_and_b32_e32 v12, vcc_hi, v3
	v_bcnt_u32_b32 v13, v13, 0
	v_bcnt_u32_b32 v12, v12, v13
	v_mov_b32_e32 v13, s72
	ds_write_b32 v9, v13 offset:24576
	s_waitcnt lgkmcnt(0)
	s_barrier
	s_and_saveexec_b64 s[72:73], s[2:3]
	s_cbranch_execnz .LBB54_85
; %bb.53:                               ;   in Loop: Header=BB54_52 Depth=1
	s_or_b64 exec, exec, s[72:73]
	s_and_saveexec_b64 s[72:73], s[4:5]
	s_cbranch_execnz .LBB54_86
.LBB54_54:                              ;   in Loop: Header=BB54_52 Depth=1
	s_or_b64 exec, exec, s[72:73]
	s_and_saveexec_b64 s[72:73], s[6:7]
	s_cbranch_execnz .LBB54_87
.LBB54_55:                              ;   in Loop: Header=BB54_52 Depth=1
	s_or_b64 exec, exec, s[72:73]
	s_and_saveexec_b64 s[72:73], s[8:9]
	s_cbranch_execnz .LBB54_88
.LBB54_56:                              ;   in Loop: Header=BB54_52 Depth=1
	s_or_b64 exec, exec, s[72:73]
	s_and_saveexec_b64 s[72:73], s[10:11]
	s_cbranch_execnz .LBB54_89
.LBB54_57:                              ;   in Loop: Header=BB54_52 Depth=1
	s_or_b64 exec, exec, s[72:73]
	s_and_saveexec_b64 s[72:73], s[12:13]
	s_cbranch_execnz .LBB54_90
.LBB54_58:                              ;   in Loop: Header=BB54_52 Depth=1
	s_or_b64 exec, exec, s[72:73]
	s_and_saveexec_b64 s[72:73], s[14:15]
	s_cbranch_execnz .LBB54_91
.LBB54_59:                              ;   in Loop: Header=BB54_52 Depth=1
	s_or_b64 exec, exec, s[72:73]
	s_and_saveexec_b64 s[72:73], s[16:17]
	s_cbranch_execnz .LBB54_92
.LBB54_60:                              ;   in Loop: Header=BB54_52 Depth=1
	s_or_b64 exec, exec, s[72:73]
	s_and_saveexec_b64 s[72:73], s[18:19]
	s_cbranch_execnz .LBB54_93
.LBB54_61:                              ;   in Loop: Header=BB54_52 Depth=1
	s_or_b64 exec, exec, s[72:73]
	s_and_saveexec_b64 s[72:73], s[20:21]
	s_cbranch_execnz .LBB54_94
.LBB54_62:                              ;   in Loop: Header=BB54_52 Depth=1
	s_or_b64 exec, exec, s[72:73]
	s_and_saveexec_b64 s[72:73], s[22:23]
	s_cbranch_execnz .LBB54_95
.LBB54_63:                              ;   in Loop: Header=BB54_52 Depth=1
	s_or_b64 exec, exec, s[72:73]
	s_and_saveexec_b64 s[72:73], s[24:25]
	s_cbranch_execnz .LBB54_96
.LBB54_64:                              ;   in Loop: Header=BB54_52 Depth=1
	s_or_b64 exec, exec, s[72:73]
	s_and_saveexec_b64 s[72:73], s[26:27]
	s_cbranch_execnz .LBB54_97
.LBB54_65:                              ;   in Loop: Header=BB54_52 Depth=1
	s_or_b64 exec, exec, s[72:73]
	s_and_saveexec_b64 s[72:73], s[28:29]
	s_cbranch_execnz .LBB54_98
.LBB54_66:                              ;   in Loop: Header=BB54_52 Depth=1
	s_or_b64 exec, exec, s[72:73]
	s_and_saveexec_b64 s[72:73], s[30:31]
	s_cbranch_execnz .LBB54_99
.LBB54_67:                              ;   in Loop: Header=BB54_52 Depth=1
	s_or_b64 exec, exec, s[72:73]
	s_and_saveexec_b64 s[72:73], s[34:35]
	s_cbranch_execnz .LBB54_100
.LBB54_68:                              ;   in Loop: Header=BB54_52 Depth=1
	s_or_b64 exec, exec, s[72:73]
	s_and_saveexec_b64 s[72:73], s[36:37]
	s_cbranch_execnz .LBB54_101
.LBB54_69:                              ;   in Loop: Header=BB54_52 Depth=1
	s_or_b64 exec, exec, s[72:73]
	s_and_saveexec_b64 s[72:73], s[38:39]
	s_cbranch_execnz .LBB54_102
.LBB54_70:                              ;   in Loop: Header=BB54_52 Depth=1
	s_or_b64 exec, exec, s[72:73]
	s_and_saveexec_b64 s[72:73], s[40:41]
	s_cbranch_execnz .LBB54_103
.LBB54_71:                              ;   in Loop: Header=BB54_52 Depth=1
	s_or_b64 exec, exec, s[72:73]
	s_and_saveexec_b64 s[72:73], s[42:43]
	s_cbranch_execnz .LBB54_104
.LBB54_72:                              ;   in Loop: Header=BB54_52 Depth=1
	s_or_b64 exec, exec, s[72:73]
	s_and_saveexec_b64 s[72:73], s[44:45]
	s_cbranch_execnz .LBB54_105
.LBB54_73:                              ;   in Loop: Header=BB54_52 Depth=1
	s_or_b64 exec, exec, s[72:73]
	s_and_saveexec_b64 s[72:73], s[46:47]
	s_cbranch_execnz .LBB54_106
.LBB54_74:                              ;   in Loop: Header=BB54_52 Depth=1
	s_or_b64 exec, exec, s[72:73]
	s_and_saveexec_b64 s[72:73], s[48:49]
	s_cbranch_execnz .LBB54_107
.LBB54_75:                              ;   in Loop: Header=BB54_52 Depth=1
	s_or_b64 exec, exec, s[72:73]
	s_and_saveexec_b64 s[72:73], s[50:51]
	s_cbranch_execnz .LBB54_108
.LBB54_76:                              ;   in Loop: Header=BB54_52 Depth=1
	s_or_b64 exec, exec, s[72:73]
	s_and_saveexec_b64 s[72:73], s[52:53]
	s_cbranch_execnz .LBB54_109
.LBB54_77:                              ;   in Loop: Header=BB54_52 Depth=1
	s_or_b64 exec, exec, s[72:73]
	s_and_saveexec_b64 s[72:73], s[54:55]
	s_cbranch_execnz .LBB54_110
.LBB54_78:                              ;   in Loop: Header=BB54_52 Depth=1
	s_or_b64 exec, exec, s[72:73]
	s_and_saveexec_b64 s[72:73], s[56:57]
	s_cbranch_execnz .LBB54_111
.LBB54_79:                              ;   in Loop: Header=BB54_52 Depth=1
	s_or_b64 exec, exec, s[72:73]
	s_and_saveexec_b64 s[72:73], s[58:59]
	s_cbranch_execnz .LBB54_112
.LBB54_80:                              ;   in Loop: Header=BB54_52 Depth=1
	s_or_b64 exec, exec, s[72:73]
	s_and_saveexec_b64 s[72:73], s[60:61]
	s_cbranch_execnz .LBB54_113
.LBB54_81:                              ;   in Loop: Header=BB54_52 Depth=1
	s_or_b64 exec, exec, s[72:73]
	s_and_saveexec_b64 s[72:73], s[62:63]
	s_cbranch_execnz .LBB54_114
.LBB54_82:                              ;   in Loop: Header=BB54_52 Depth=1
	s_or_b64 exec, exec, s[72:73]
	s_and_saveexec_b64 s[72:73], s[64:65]
	s_cbranch_execnz .LBB54_115
.LBB54_83:                              ;   in Loop: Header=BB54_52 Depth=1
	s_or_b64 exec, exec, s[72:73]
	s_and_saveexec_b64 s[72:73], vcc
	s_cbranch_execnz .LBB54_116
.LBB54_84:                              ;   in Loop: Header=BB54_52 Depth=1
	s_or_b64 exec, exec, s[72:73]
	s_and_saveexec_b64 s[72:73], s[0:1]
	s_cbranch_execz .LBB54_51
	s_branch .LBB54_117
.LBB54_85:                              ;   in Loop: Header=BB54_52 Depth=1
	ds_read_b32 v13, v8 offset:24576
	s_waitcnt lgkmcnt(0)
	v_add_u32_e32 v12, v13, v12
	s_or_b64 exec, exec, s[72:73]
	s_and_saveexec_b64 s[72:73], s[4:5]
	s_cbranch_execz .LBB54_54
.LBB54_86:                              ;   in Loop: Header=BB54_52 Depth=1
	ds_read_b32 v13, v8 offset:24580
	s_waitcnt lgkmcnt(0)
	v_add_u32_e32 v12, v13, v12
	s_or_b64 exec, exec, s[72:73]
	s_and_saveexec_b64 s[72:73], s[6:7]
	s_cbranch_execz .LBB54_55
.LBB54_87:                              ;   in Loop: Header=BB54_52 Depth=1
	ds_read_b32 v13, v8 offset:24584
	s_waitcnt lgkmcnt(0)
	v_add_u32_e32 v12, v13, v12
	s_or_b64 exec, exec, s[72:73]
	s_and_saveexec_b64 s[72:73], s[8:9]
	s_cbranch_execz .LBB54_56
.LBB54_88:                              ;   in Loop: Header=BB54_52 Depth=1
	ds_read_b32 v13, v8 offset:24588
	s_waitcnt lgkmcnt(0)
	v_add_u32_e32 v12, v13, v12
	s_or_b64 exec, exec, s[72:73]
	s_and_saveexec_b64 s[72:73], s[10:11]
	s_cbranch_execz .LBB54_57
.LBB54_89:                              ;   in Loop: Header=BB54_52 Depth=1
	ds_read_b32 v13, v8 offset:24592
	s_waitcnt lgkmcnt(0)
	v_add_u32_e32 v12, v13, v12
	s_or_b64 exec, exec, s[72:73]
	s_and_saveexec_b64 s[72:73], s[12:13]
	s_cbranch_execz .LBB54_58
.LBB54_90:                              ;   in Loop: Header=BB54_52 Depth=1
	ds_read_b32 v13, v8 offset:24596
	s_waitcnt lgkmcnt(0)
	v_add_u32_e32 v12, v13, v12
	s_or_b64 exec, exec, s[72:73]
	s_and_saveexec_b64 s[72:73], s[14:15]
	s_cbranch_execz .LBB54_59
.LBB54_91:                              ;   in Loop: Header=BB54_52 Depth=1
	ds_read_b32 v13, v8 offset:24600
	s_waitcnt lgkmcnt(0)
	v_add_u32_e32 v12, v13, v12
	s_or_b64 exec, exec, s[72:73]
	s_and_saveexec_b64 s[72:73], s[16:17]
	s_cbranch_execz .LBB54_60
.LBB54_92:                              ;   in Loop: Header=BB54_52 Depth=1
	ds_read_b32 v13, v8 offset:24604
	s_waitcnt lgkmcnt(0)
	v_add_u32_e32 v12, v13, v12
	s_or_b64 exec, exec, s[72:73]
	s_and_saveexec_b64 s[72:73], s[18:19]
	s_cbranch_execz .LBB54_61
.LBB54_93:                              ;   in Loop: Header=BB54_52 Depth=1
	ds_read_b32 v13, v8 offset:24608
	s_waitcnt lgkmcnt(0)
	v_add_u32_e32 v12, v13, v12
	s_or_b64 exec, exec, s[72:73]
	s_and_saveexec_b64 s[72:73], s[20:21]
	s_cbranch_execz .LBB54_62
.LBB54_94:                              ;   in Loop: Header=BB54_52 Depth=1
	ds_read_b32 v13, v8 offset:24612
	s_waitcnt lgkmcnt(0)
	v_add_u32_e32 v12, v13, v12
	s_or_b64 exec, exec, s[72:73]
	s_and_saveexec_b64 s[72:73], s[22:23]
	s_cbranch_execz .LBB54_63
.LBB54_95:                              ;   in Loop: Header=BB54_52 Depth=1
	ds_read_b32 v13, v8 offset:24616
	s_waitcnt lgkmcnt(0)
	v_add_u32_e32 v12, v13, v12
	s_or_b64 exec, exec, s[72:73]
	s_and_saveexec_b64 s[72:73], s[24:25]
	s_cbranch_execz .LBB54_64
.LBB54_96:                              ;   in Loop: Header=BB54_52 Depth=1
	ds_read_b32 v13, v8 offset:24620
	s_waitcnt lgkmcnt(0)
	v_add_u32_e32 v12, v13, v12
	s_or_b64 exec, exec, s[72:73]
	s_and_saveexec_b64 s[72:73], s[26:27]
	s_cbranch_execz .LBB54_65
.LBB54_97:                              ;   in Loop: Header=BB54_52 Depth=1
	ds_read_b32 v13, v8 offset:24624
	s_waitcnt lgkmcnt(0)
	v_add_u32_e32 v12, v13, v12
	s_or_b64 exec, exec, s[72:73]
	s_and_saveexec_b64 s[72:73], s[28:29]
	s_cbranch_execz .LBB54_66
.LBB54_98:                              ;   in Loop: Header=BB54_52 Depth=1
	ds_read_b32 v13, v8 offset:24628
	s_waitcnt lgkmcnt(0)
	v_add_u32_e32 v12, v13, v12
	s_or_b64 exec, exec, s[72:73]
	s_and_saveexec_b64 s[72:73], s[30:31]
	s_cbranch_execz .LBB54_67
.LBB54_99:                              ;   in Loop: Header=BB54_52 Depth=1
	ds_read_b32 v13, v8 offset:24632
	s_waitcnt lgkmcnt(0)
	v_add_u32_e32 v12, v13, v12
	s_or_b64 exec, exec, s[72:73]
	s_and_saveexec_b64 s[72:73], s[34:35]
	s_cbranch_execz .LBB54_68
.LBB54_100:                             ;   in Loop: Header=BB54_52 Depth=1
	ds_read_b32 v13, v8 offset:24636
	s_waitcnt lgkmcnt(0)
	v_add_u32_e32 v12, v13, v12
	s_or_b64 exec, exec, s[72:73]
	s_and_saveexec_b64 s[72:73], s[36:37]
	s_cbranch_execz .LBB54_69
.LBB54_101:                             ;   in Loop: Header=BB54_52 Depth=1
	ds_read_b32 v13, v8 offset:24640
	s_waitcnt lgkmcnt(0)
	v_add_u32_e32 v12, v13, v12
	s_or_b64 exec, exec, s[72:73]
	s_and_saveexec_b64 s[72:73], s[38:39]
	s_cbranch_execz .LBB54_70
.LBB54_102:                             ;   in Loop: Header=BB54_52 Depth=1
	ds_read_b32 v13, v8 offset:24644
	s_waitcnt lgkmcnt(0)
	v_add_u32_e32 v12, v13, v12
	s_or_b64 exec, exec, s[72:73]
	s_and_saveexec_b64 s[72:73], s[40:41]
	s_cbranch_execz .LBB54_71
.LBB54_103:                             ;   in Loop: Header=BB54_52 Depth=1
	ds_read_b32 v13, v8 offset:24648
	s_waitcnt lgkmcnt(0)
	v_add_u32_e32 v12, v13, v12
	s_or_b64 exec, exec, s[72:73]
	s_and_saveexec_b64 s[72:73], s[42:43]
	s_cbranch_execz .LBB54_72
.LBB54_104:                             ;   in Loop: Header=BB54_52 Depth=1
	ds_read_b32 v13, v8 offset:24652
	s_waitcnt lgkmcnt(0)
	v_add_u32_e32 v12, v13, v12
	s_or_b64 exec, exec, s[72:73]
	s_and_saveexec_b64 s[72:73], s[44:45]
	s_cbranch_execz .LBB54_73
.LBB54_105:                             ;   in Loop: Header=BB54_52 Depth=1
	ds_read_b32 v13, v8 offset:24656
	s_waitcnt lgkmcnt(0)
	v_add_u32_e32 v12, v13, v12
	s_or_b64 exec, exec, s[72:73]
	s_and_saveexec_b64 s[72:73], s[46:47]
	s_cbranch_execz .LBB54_74
.LBB54_106:                             ;   in Loop: Header=BB54_52 Depth=1
	ds_read_b32 v13, v8 offset:24660
	s_waitcnt lgkmcnt(0)
	v_add_u32_e32 v12, v13, v12
	s_or_b64 exec, exec, s[72:73]
	s_and_saveexec_b64 s[72:73], s[48:49]
	s_cbranch_execz .LBB54_75
.LBB54_107:                             ;   in Loop: Header=BB54_52 Depth=1
	ds_read_b32 v13, v8 offset:24664
	s_waitcnt lgkmcnt(0)
	v_add_u32_e32 v12, v13, v12
	s_or_b64 exec, exec, s[72:73]
	s_and_saveexec_b64 s[72:73], s[50:51]
	s_cbranch_execz .LBB54_76
.LBB54_108:                             ;   in Loop: Header=BB54_52 Depth=1
	ds_read_b32 v13, v8 offset:24668
	s_waitcnt lgkmcnt(0)
	v_add_u32_e32 v12, v13, v12
	s_or_b64 exec, exec, s[72:73]
	s_and_saveexec_b64 s[72:73], s[52:53]
	s_cbranch_execz .LBB54_77
.LBB54_109:                             ;   in Loop: Header=BB54_52 Depth=1
	ds_read_b32 v13, v8 offset:24672
	s_waitcnt lgkmcnt(0)
	v_add_u32_e32 v12, v13, v12
	s_or_b64 exec, exec, s[72:73]
	s_and_saveexec_b64 s[72:73], s[54:55]
	s_cbranch_execz .LBB54_78
.LBB54_110:                             ;   in Loop: Header=BB54_52 Depth=1
	ds_read_b32 v13, v8 offset:24676
	s_waitcnt lgkmcnt(0)
	v_add_u32_e32 v12, v13, v12
	s_or_b64 exec, exec, s[72:73]
	s_and_saveexec_b64 s[72:73], s[56:57]
	s_cbranch_execz .LBB54_79
.LBB54_111:                             ;   in Loop: Header=BB54_52 Depth=1
	ds_read_b32 v13, v8 offset:24680
	s_waitcnt lgkmcnt(0)
	v_add_u32_e32 v12, v13, v12
	s_or_b64 exec, exec, s[72:73]
	s_and_saveexec_b64 s[72:73], s[58:59]
	s_cbranch_execz .LBB54_80
.LBB54_112:                             ;   in Loop: Header=BB54_52 Depth=1
	ds_read_b32 v13, v8 offset:24684
	s_waitcnt lgkmcnt(0)
	v_add_u32_e32 v12, v13, v12
	s_or_b64 exec, exec, s[72:73]
	s_and_saveexec_b64 s[72:73], s[60:61]
	s_cbranch_execz .LBB54_81
.LBB54_113:                             ;   in Loop: Header=BB54_52 Depth=1
	ds_read_b32 v13, v8 offset:24688
	s_waitcnt lgkmcnt(0)
	v_add_u32_e32 v12, v13, v12
	s_or_b64 exec, exec, s[72:73]
	s_and_saveexec_b64 s[72:73], s[62:63]
	s_cbranch_execz .LBB54_82
.LBB54_114:                             ;   in Loop: Header=BB54_52 Depth=1
	ds_read_b32 v13, v8 offset:24692
	s_waitcnt lgkmcnt(0)
	v_add_u32_e32 v12, v13, v12
	s_or_b64 exec, exec, s[72:73]
	s_and_saveexec_b64 s[72:73], s[64:65]
	s_cbranch_execz .LBB54_83
.LBB54_115:                             ;   in Loop: Header=BB54_52 Depth=1
	ds_read_b32 v13, v8 offset:24696
	s_waitcnt lgkmcnt(0)
	v_add_u32_e32 v12, v13, v12
	s_or_b64 exec, exec, s[72:73]
	s_and_saveexec_b64 s[72:73], vcc
	s_cbranch_execz .LBB54_84
.LBB54_116:                             ;   in Loop: Header=BB54_52 Depth=1
	v_add3_u32 v13, v10, -1, v12
	v_lshl_add_u32 v14, v13, 2, 0
	v_lshl_add_u32 v13, v13, 3, 0
	v_add_u32_e32 v13, 0x2000, v13
	ds_write_b32 v14, v11
	ds_write2_b32 v13, v4, v5 offset1:1
	s_or_b64 exec, exec, s[72:73]
	s_and_saveexec_b64 s[72:73], s[0:1]
	s_cbranch_execz .LBB54_51
.LBB54_117:                             ;   in Loop: Header=BB54_52 Depth=1
	ds_write_b32 v8, v12 offset:24700
	s_branch .LBB54_51
.LBB54_118:
	s_or_b64 exec, exec, s[66:67]
	s_ashr_i32 s79, s78, 31
	s_lshl_b64 s[0:1], s[78:79], 2
	s_add_u32 s0, s68, s0
	s_addc_u32 s1, s69, s1
	s_load_dwordx2 s[0:1], s[0:1], 0x0
	s_waitcnt lgkmcnt(0)
	s_sub_i32 s14, s1, s0
	v_cmp_gt_i32_e32 vcc, s14, v0
	s_and_saveexec_b64 s[2:3], vcc
	s_cbranch_execz .LBB54_133
; %bb.119:
	s_sub_i32 s6, s0, s74
	s_add_i32 s0, s14, -2
	s_lshr_b32 s1, s0, 1
	s_add_i32 s2, s1, 1
	s_cmp_gt_u32 s14, 1
	s_cselect_b64 s[8:9], -1, 0
	s_and_b32 s15, s14, -2
	s_and_b32 s4, s2, 7
	s_cmp_gt_u32 s0, 13
	s_cselect_b64 s[0:1], -1, 0
	s_and_b32 s16, s2, -8
	s_cmp_lg_u32 s4, 0
	s_cselect_b64 s[2:3], -1, 0
	v_cndmask_b32_e64 v1, 0, 1, s[0:1]
	s_cmp_lg_u32 s14, s15
	v_cmp_ne_u32_e64 s[0:1], 1, v1
	v_cndmask_b32_e64 v1, 0, 1, s[2:3]
	s_mov_b32 s7, 0
	s_cselect_b64 s[10:11], -1, 0
	s_lshl_b32 s17, s4, 3
	s_mov_b64 s[12:13], 0
	s_movk_i32 s18, 0x2000
	v_cmp_ne_u32_e64 s[2:3], 1, v1
	v_mov_b32_e32 v1, s71
	v_mov_b32_e32 v6, s77
	s_branch .LBB54_121
.LBB54_120:                             ;   in Loop: Header=BB54_121 Depth=1
	v_ashrrev_i32_e32 v5, 31, v4
	v_lshlrev_b64 v[8:9], 2, v[4:5]
	v_add_co_u32_e32 v8, vcc, s70, v8
	v_addc_co_u32_e32 v9, vcc, v1, v9, vcc
	v_lshlrev_b64 v[4:5], 3, v[4:5]
	v_add_co_u32_e32 v4, vcc, s76, v4
	v_addc_co_u32_e32 v5, vcc, v6, v5, vcc
	v_add_u32_e32 v0, 0x400, v0
	v_cmp_le_i32_e32 vcc, s14, v0
	s_waitcnt lgkmcnt(1)
	v_add_u32_e32 v7, s74, v7
	s_or_b64 s[12:13], vcc, s[12:13]
	global_store_dword v[8:9], v7, off
	s_waitcnt lgkmcnt(0)
	global_store_dwordx2 v[4:5], v[2:3], off
	s_andn2_b64 exec, exec, s[12:13]
	s_cbranch_execz .LBB54_133
.LBB54_121:                             ; =>This Loop Header: Depth=1
                                        ;     Child Loop BB54_124 Depth 2
                                        ;     Child Loop BB54_129 Depth 2
                                        ;     Child Loop BB54_132 Depth 2
	v_lshlrev_b32_e32 v2, 2, v0
	v_add_u32_e32 v3, 0, v2
	v_add3_u32 v2, v3, v2, s18
	ds_read_b32 v7, v3
	ds_read2_b32 v[2:3], v2 offset1:1
	s_and_b64 vcc, exec, s[8:9]
	s_cbranch_vccz .LBB54_126
; %bb.122:                              ;   in Loop: Header=BB54_121 Depth=1
	s_and_b64 vcc, exec, s[0:1]
	s_cbranch_vccnz .LBB54_127
; %bb.123:                              ;   in Loop: Header=BB54_121 Depth=1
	s_mov_b32 s20, 0
	v_mov_b32_e32 v4, s6
	v_mov_b32_e32 v5, 0
	s_mov_b32 s21, s16
	s_mov_b32 s19, 0
.LBB54_124:                             ;   Parent Loop BB54_121 Depth=1
                                        ; =>  This Inner Loop Header: Depth=2
	v_mov_b32_e32 v22, s20
	ds_read2_b32 v[8:9], v22 offset1:1
	ds_read2_b32 v[10:11], v22 offset0:2 offset1:3
	ds_read2_b32 v[12:13], v22 offset0:4 offset1:5
	;; [unrolled: 1-line block ×7, first 2 shown]
	s_waitcnt lgkmcnt(7)
	v_cmp_gt_i32_e32 vcc, v7, v9
	v_cndmask_b32_e64 v9, 0, 1, vcc
	v_cmp_gt_i32_e32 vcc, v7, v8
	s_waitcnt lgkmcnt(5)
	v_cmp_gt_i32_e64 s[4:5], v7, v12
	v_cndmask_b32_e64 v8, 0, 1, vcc
	v_cmp_gt_i32_e32 vcc, v7, v11
	v_cndmask_b32_e64 v11, 0, 1, s[4:5]
	v_cmp_gt_i32_e64 s[4:5], v7, v13
	v_cndmask_b32_e64 v12, 0, 1, s[4:5]
	s_waitcnt lgkmcnt(3)
	v_cmp_gt_i32_e64 s[4:5], v7, v17
	v_cndmask_b32_e64 v13, 0, 1, s[4:5]
	v_cmp_gt_i32_e64 s[4:5], v7, v16
	v_cndmask_b32_e64 v16, 0, 1, s[4:5]
	s_waitcnt lgkmcnt(1)
	v_cmp_gt_i32_e64 s[4:5], v7, v20
	v_cndmask_b32_e64 v17, 0, 1, s[4:5]
	v_cmp_gt_i32_e64 s[4:5], v7, v21
	v_cndmask_b32_e64 v20, 0, 1, s[4:5]
	v_cmp_gt_i32_e64 s[4:5], v7, v10
	v_addc_co_u32_e64 v4, s[4:5], v4, v8, s[4:5]
	v_addc_co_u32_e32 v5, vcc, v5, v9, vcc
	v_cmp_gt_i32_e32 vcc, v7, v14
	v_cmp_gt_i32_e64 s[4:5], v7, v15
	v_addc_co_u32_e64 v5, s[4:5], v5, v12, s[4:5]
	v_addc_co_u32_e32 v4, vcc, v4, v11, vcc
	v_cmp_gt_i32_e32 vcc, v7, v19
	v_cmp_gt_i32_e64 s[4:5], v7, v18
	v_addc_co_u32_e64 v4, s[4:5], v4, v16, s[4:5]
	v_addc_co_u32_e32 v5, vcc, v5, v13, vcc
	s_add_i32 s19, s19, 16
	s_add_i32 s20, s20, 64
	s_add_i32 s21, s21, -8
	s_waitcnt lgkmcnt(0)
	v_cmp_gt_i32_e32 vcc, v7, v22
	v_cmp_gt_i32_e64 s[4:5], v7, v23
	s_cmp_lg_u32 s21, 0
	v_addc_co_u32_e64 v5, s[4:5], v5, v20, s[4:5]
	v_addc_co_u32_e32 v4, vcc, v4, v17, vcc
	s_cbranch_scc1 .LBB54_124
; %bb.125:                              ;   in Loop: Header=BB54_121 Depth=1
	s_and_b64 vcc, exec, s[2:3]
	s_cbranch_vccz .LBB54_128
	s_branch .LBB54_130
.LBB54_126:                             ;   in Loop: Header=BB54_121 Depth=1
	v_mov_b32_e32 v4, s6
	s_mov_b32 s19, 0
	s_cbranch_execz .LBB54_120
	s_branch .LBB54_131
.LBB54_127:                             ;   in Loop: Header=BB54_121 Depth=1
	v_pk_mov_b32 v[4:5], s[6:7], s[6:7] op_sel:[0,1]
	s_mov_b32 s19, 0
	s_and_b64 vcc, exec, s[2:3]
	s_cbranch_vccnz .LBB54_130
.LBB54_128:                             ;   in Loop: Header=BB54_121 Depth=1
	s_lshl_b32 s4, s19, 2
	s_add_i32 s4, s4, 0
	s_mov_b32 s5, s17
.LBB54_129:                             ;   Parent Loop BB54_121 Depth=1
                                        ; =>  This Inner Loop Header: Depth=2
	v_mov_b32_e32 v8, s4
	ds_read2_b32 v[8:9], v8 offset1:1
	s_add_i32 s4, s4, 8
	s_add_i32 s5, s5, -8
	s_cmp_lg_u32 s5, 0
	s_waitcnt lgkmcnt(0)
	v_cmp_gt_i32_e32 vcc, v7, v9
	v_addc_co_u32_e32 v5, vcc, 0, v5, vcc
	v_cmp_gt_i32_e32 vcc, v7, v8
	v_addc_co_u32_e32 v4, vcc, 0, v4, vcc
	s_cbranch_scc1 .LBB54_129
.LBB54_130:                             ;   in Loop: Header=BB54_121 Depth=1
	v_add_u32_e32 v4, v4, v5
	s_mov_b32 s19, s15
	s_mov_b64 s[4:5], s[10:11]
	s_and_b64 vcc, exec, s[4:5]
	s_cbranch_vccz .LBB54_120
.LBB54_131:                             ;   in Loop: Header=BB54_121 Depth=1
	s_lshl_b32 s4, s19, 2
	s_add_i32 s4, s4, 0
.LBB54_132:                             ;   Parent Loop BB54_121 Depth=1
                                        ; =>  This Inner Loop Header: Depth=2
	v_mov_b32_e32 v5, s4
	ds_read_b32 v5, v5
	s_add_i32 s19, s19, 1
	s_add_i32 s4, s4, 4
	s_cmp_ge_i32 s19, s14
	s_waitcnt lgkmcnt(0)
	v_cmp_gt_i32_e32 vcc, v7, v5
	v_addc_co_u32_e32 v4, vcc, 0, v4, vcc
	s_cbranch_scc0 .LBB54_132
	s_branch .LBB54_120
.LBB54_133:
	s_endpgm
	.section	.rodata,"a",@progbits
	.p2align	6, 0x0
	.amdhsa_kernel _ZN9rocsparseL26csrgemm_fill_block_per_rowILj1024ELj32ELj2048ELj137ELj32Eii21rocsparse_complex_numIfEEEvT5_PKS3_S5_NS_24const_host_device_scalarIT6_EEPKT4_S5_PKS7_SB_S5_SD_S8_SB_S5_SD_SB_PS3_PS7_21rocsparse_index_base_SG_SG_SG_bbb
		.amdhsa_group_segment_fixed_size 0
		.amdhsa_private_segment_fixed_size 0
		.amdhsa_kernarg_size 156
		.amdhsa_user_sgpr_count 6
		.amdhsa_user_sgpr_private_segment_buffer 1
		.amdhsa_user_sgpr_dispatch_ptr 0
		.amdhsa_user_sgpr_queue_ptr 0
		.amdhsa_user_sgpr_kernarg_segment_ptr 1
		.amdhsa_user_sgpr_dispatch_id 0
		.amdhsa_user_sgpr_flat_scratch_init 0
		.amdhsa_user_sgpr_kernarg_preload_length 0
		.amdhsa_user_sgpr_kernarg_preload_offset 0
		.amdhsa_user_sgpr_private_segment_size 0
		.amdhsa_uses_dynamic_stack 0
		.amdhsa_system_sgpr_private_segment_wavefront_offset 0
		.amdhsa_system_sgpr_workgroup_id_x 1
		.amdhsa_system_sgpr_workgroup_id_y 0
		.amdhsa_system_sgpr_workgroup_id_z 0
		.amdhsa_system_sgpr_workgroup_info 0
		.amdhsa_system_vgpr_workitem_id 0
		.amdhsa_next_free_vgpr 24
		.amdhsa_next_free_sgpr 80
		.amdhsa_accum_offset 24
		.amdhsa_reserve_vcc 1
		.amdhsa_reserve_flat_scratch 0
		.amdhsa_float_round_mode_32 0
		.amdhsa_float_round_mode_16_64 0
		.amdhsa_float_denorm_mode_32 3
		.amdhsa_float_denorm_mode_16_64 3
		.amdhsa_dx10_clamp 1
		.amdhsa_ieee_mode 1
		.amdhsa_fp16_overflow 0
		.amdhsa_tg_split 0
		.amdhsa_exception_fp_ieee_invalid_op 0
		.amdhsa_exception_fp_denorm_src 0
		.amdhsa_exception_fp_ieee_div_zero 0
		.amdhsa_exception_fp_ieee_overflow 0
		.amdhsa_exception_fp_ieee_underflow 0
		.amdhsa_exception_fp_ieee_inexact 0
		.amdhsa_exception_int_div_zero 0
	.end_amdhsa_kernel
	.section	.text._ZN9rocsparseL26csrgemm_fill_block_per_rowILj1024ELj32ELj2048ELj137ELj32Eii21rocsparse_complex_numIfEEEvT5_PKS3_S5_NS_24const_host_device_scalarIT6_EEPKT4_S5_PKS7_SB_S5_SD_S8_SB_S5_SD_SB_PS3_PS7_21rocsparse_index_base_SG_SG_SG_bbb,"axG",@progbits,_ZN9rocsparseL26csrgemm_fill_block_per_rowILj1024ELj32ELj2048ELj137ELj32Eii21rocsparse_complex_numIfEEEvT5_PKS3_S5_NS_24const_host_device_scalarIT6_EEPKT4_S5_PKS7_SB_S5_SD_S8_SB_S5_SD_SB_PS3_PS7_21rocsparse_index_base_SG_SG_SG_bbb,comdat
.Lfunc_end54:
	.size	_ZN9rocsparseL26csrgemm_fill_block_per_rowILj1024ELj32ELj2048ELj137ELj32Eii21rocsparse_complex_numIfEEEvT5_PKS3_S5_NS_24const_host_device_scalarIT6_EEPKT4_S5_PKS7_SB_S5_SD_S8_SB_S5_SD_SB_PS3_PS7_21rocsparse_index_base_SG_SG_SG_bbb, .Lfunc_end54-_ZN9rocsparseL26csrgemm_fill_block_per_rowILj1024ELj32ELj2048ELj137ELj32Eii21rocsparse_complex_numIfEEEvT5_PKS3_S5_NS_24const_host_device_scalarIT6_EEPKT4_S5_PKS7_SB_S5_SD_S8_SB_S5_SD_SB_PS3_PS7_21rocsparse_index_base_SG_SG_SG_bbb
                                        ; -- End function
	.section	.AMDGPU.csdata,"",@progbits
; Kernel info:
; codeLenInByte = 4244
; NumSgprs: 84
; NumVgprs: 24
; NumAgprs: 0
; TotalNumVgprs: 24
; ScratchSize: 0
; MemoryBound: 0
; FloatMode: 240
; IeeeMode: 1
; LDSByteSize: 0 bytes/workgroup (compile time only)
; SGPRBlocks: 10
; VGPRBlocks: 2
; NumSGPRsForWavesPerEU: 84
; NumVGPRsForWavesPerEU: 24
; AccumOffset: 24
; Occupancy: 8
; WaveLimiterHint : 1
; COMPUTE_PGM_RSRC2:SCRATCH_EN: 0
; COMPUTE_PGM_RSRC2:USER_SGPR: 6
; COMPUTE_PGM_RSRC2:TRAP_HANDLER: 0
; COMPUTE_PGM_RSRC2:TGID_X_EN: 1
; COMPUTE_PGM_RSRC2:TGID_Y_EN: 0
; COMPUTE_PGM_RSRC2:TGID_Z_EN: 0
; COMPUTE_PGM_RSRC2:TIDIG_COMP_CNT: 0
; COMPUTE_PGM_RSRC3_GFX90A:ACCUM_OFFSET: 5
; COMPUTE_PGM_RSRC3_GFX90A:TG_SPLIT: 0
	.section	.text._ZN9rocsparseL26csrgemm_fill_block_per_rowILj1024ELj32ELj2048ELj137ELj64Eii21rocsparse_complex_numIfEEEvT5_PKS3_S5_NS_24const_host_device_scalarIT6_EEPKT4_S5_PKS7_SB_S5_SD_S8_SB_S5_SD_SB_PS3_PS7_21rocsparse_index_base_SG_SG_SG_bbb,"axG",@progbits,_ZN9rocsparseL26csrgemm_fill_block_per_rowILj1024ELj32ELj2048ELj137ELj64Eii21rocsparse_complex_numIfEEEvT5_PKS3_S5_NS_24const_host_device_scalarIT6_EEPKT4_S5_PKS7_SB_S5_SD_S8_SB_S5_SD_SB_PS3_PS7_21rocsparse_index_base_SG_SG_SG_bbb,comdat
	.globl	_ZN9rocsparseL26csrgemm_fill_block_per_rowILj1024ELj32ELj2048ELj137ELj64Eii21rocsparse_complex_numIfEEEvT5_PKS3_S5_NS_24const_host_device_scalarIT6_EEPKT4_S5_PKS7_SB_S5_SD_S8_SB_S5_SD_SB_PS3_PS7_21rocsparse_index_base_SG_SG_SG_bbb ; -- Begin function _ZN9rocsparseL26csrgemm_fill_block_per_rowILj1024ELj32ELj2048ELj137ELj64Eii21rocsparse_complex_numIfEEEvT5_PKS3_S5_NS_24const_host_device_scalarIT6_EEPKT4_S5_PKS7_SB_S5_SD_S8_SB_S5_SD_SB_PS3_PS7_21rocsparse_index_base_SG_SG_SG_bbb
	.p2align	8
	.type	_ZN9rocsparseL26csrgemm_fill_block_per_rowILj1024ELj32ELj2048ELj137ELj64Eii21rocsparse_complex_numIfEEEvT5_PKS3_S5_NS_24const_host_device_scalarIT6_EEPKT4_S5_PKS7_SB_S5_SD_S8_SB_S5_SD_SB_PS3_PS7_21rocsparse_index_base_SG_SG_SG_bbb,@function
_ZN9rocsparseL26csrgemm_fill_block_per_rowILj1024ELj32ELj2048ELj137ELj64Eii21rocsparse_complex_numIfEEEvT5_PKS3_S5_NS_24const_host_device_scalarIT6_EEPKT4_S5_PKS7_SB_S5_SD_S8_SB_S5_SD_SB_PS3_PS7_21rocsparse_index_base_SG_SG_SG_bbb: ; @_ZN9rocsparseL26csrgemm_fill_block_per_rowILj1024ELj32ELj2048ELj137ELj64Eii21rocsparse_complex_numIfEEEvT5_PKS3_S5_NS_24const_host_device_scalarIT6_EEPKT4_S5_PKS7_SB_S5_SD_S8_SB_S5_SD_SB_PS3_PS7_21rocsparse_index_base_SG_SG_SG_bbb
; %bb.0:
	s_load_dwordx8 s[36:43], s[4:5], 0x60
	s_load_dwordx8 s[8:15], s[4:5], 0x40
	s_load_dword s7, s[4:5], 0x98
	s_load_dwordx4 s[24:27], s[4:5], 0x8
	s_load_dwordx8 s[16:23], s[4:5], 0x20
	s_load_dwordx2 s[34:35], s[4:5], 0x80
	s_load_dwordx4 s[44:47], s[4:5], 0x88
	s_waitcnt lgkmcnt(0)
	s_bitcmp1_b32 s7, 0
	s_cselect_b64 s[30:31], -1, 0
	s_bitcmp1_b32 s7, 16
	s_cselect_b64 s[0:1], -1, 0
	s_xor_b64 s[0:1], s[0:1], -1
	v_cndmask_b32_e64 v1, 0, 1, s[0:1]
	s_mov_b32 s3, 0
	s_bitcmp0_b32 s7, 0
	v_cmp_ne_u32_e64 s[0:1], 1, v1
	s_mov_b32 s56, 0
	s_cbranch_scc1 .LBB55_5
; %bb.1:
	s_load_dwordx2 s[2:3], s[4:5], 0x18
	s_and_b64 vcc, exec, s[0:1]
	s_waitcnt lgkmcnt(0)
	s_mov_b32 s56, s2
	s_cbranch_vccnz .LBB55_3
; %bb.2:
	s_load_dword s56, s[2:3], 0x0
.LBB55_3:
	s_and_b64 vcc, exec, s[0:1]
	s_cbranch_vccnz .LBB55_5
; %bb.4:
	s_load_dword s3, s[2:3], 0x4
.LBB55_5:
	s_bitcmp1_b32 s7, 8
	s_cselect_b64 s[28:29], -1, 0
	s_bfe_u32 s2, s7, 0x10008
	s_mov_b32 s55, 0
	s_cmp_eq_u32 s2, 0
	s_mov_b32 s54, 0
	s_cbranch_scc1 .LBB55_11
; %bb.6:
	s_and_b64 vcc, exec, s[0:1]
	s_mov_b32 s54, s12
	s_cbranch_vccnz .LBB55_8
; %bb.7:
	s_load_dword s54, s[12:13], 0x0
.LBB55_8:
	s_and_b64 vcc, exec, s[0:1]
	s_cbranch_vccnz .LBB55_10
; %bb.9:
	s_load_dword s13, s[12:13], 0x4
.LBB55_10:
	s_waitcnt lgkmcnt(0)
	s_mov_b32 s55, s13
.LBB55_11:
	s_load_dword s33, s[4:5], 0x0
	v_lshl_add_u32 v1, v0, 3, 0
	v_add_u32_e32 v1, 0x2000, v1
	v_or_b32_e32 v6, 0xfffffc00, v0
	v_lshl_add_u32 v7, v0, 2, 0
	s_mov_b64 s[0:1], 0
	s_waitcnt lgkmcnt(0)
	v_mov_b32_e32 v2, s33
	v_mov_b32_e32 v3, 0
	;; [unrolled: 1-line block ×5, first 2 shown]
.LBB55_12:                              ; =>This Inner Loop Header: Depth=1
	v_add_co_u32_e32 v5, vcc, 0x400, v5
	s_xor_b64 s[4:5], vcc, -1
	s_and_b64 s[4:5], exec, s[4:5]
	ds_write_b32 v4, v2
	ds_write2_b32 v8, v3, v3 offset1:1
	v_add_u32_e32 v8, 0x2000, v8
	s_or_b64 s[0:1], s[4:5], s[0:1]
	v_add_u32_e32 v4, 0x1000, v4
	s_andn2_b64 exec, exec, s[0:1]
	s_cbranch_execnz .LBB55_12
; %bb.13:
	s_or_b64 exec, exec, s[0:1]
	s_waitcnt lgkmcnt(0)
	s_barrier
	s_load_dword s0, s[24:25], 0x0
	s_mov_b32 s1, 0
	s_waitcnt lgkmcnt(0)
	s_add_i32 s0, s0, s6
	s_lshl_b64 s[0:1], s[0:1], 2
	s_add_u32 s0, s26, s0
	s_addc_u32 s1, s27, s1
	s_load_dword s48, s[0:1], 0x0
	s_and_b64 vcc, exec, s[30:31]
	s_cbranch_vccz .LBB55_33
; %bb.14:
	s_waitcnt lgkmcnt(0)
	s_ashr_i32 s49, s48, 31
	s_lshl_b64 s[0:1], s[48:49], 2
	s_add_u32 s0, s16, s0
	s_addc_u32 s1, s17, s1
	s_load_dwordx2 s[0:1], s[0:1], 0x0
	v_lshrrev_b32_e32 v2, 5, v0
	v_subrev_u32_e32 v2, s44, v2
	s_waitcnt lgkmcnt(0)
	s_sub_i32 s2, s1, s44
	v_add_u32_e32 v2, s0, v2
	v_cmp_gt_i32_e32 vcc, s2, v2
	s_and_saveexec_b64 s[0:1], vcc
	s_cbranch_execz .LBB55_32
; %bb.15:
	v_and_b32_e32 v3, 31, v0
	v_subrev_u32_e32 v8, s45, v3
	s_mov_b64 s[4:5], 0
	v_mov_b32_e32 v9, s19
	v_mov_b32_e32 v10, s23
	s_movk_i32 s19, 0x89
	s_branch .LBB55_17
.LBB55_16:                              ;   in Loop: Header=BB55_17 Depth=1
	s_or_b64 exec, exec, s[6:7]
	v_add_u32_e32 v2, 32, v2
	v_cmp_le_i32_e32 vcc, s2, v2
	s_or_b64 s[4:5], vcc, s[4:5]
	s_andn2_b64 exec, exec, s[4:5]
	s_cbranch_execz .LBB55_32
.LBB55_17:                              ; =>This Loop Header: Depth=1
                                        ;     Child Loop BB55_20 Depth 2
                                        ;       Child Loop BB55_22 Depth 3
	v_ashrrev_i32_e32 v3, 31, v2
	v_lshlrev_b64 v[4:5], 2, v[2:3]
	v_add_co_u32_e32 v4, vcc, s18, v4
	v_addc_co_u32_e32 v5, vcc, v9, v5, vcc
	global_load_dword v4, v[4:5], off
	s_waitcnt vmcnt(0)
	v_subrev_u32_e32 v4, s44, v4
	v_ashrrev_i32_e32 v5, 31, v4
	v_lshlrev_b64 v[4:5], 2, v[4:5]
	v_add_co_u32_e32 v4, vcc, s22, v4
	v_addc_co_u32_e32 v5, vcc, v10, v5, vcc
	global_load_dwordx2 v[4:5], v[4:5], off
	s_waitcnt vmcnt(0)
	v_subrev_u32_e32 v11, s45, v5
	v_add_u32_e32 v4, v4, v8
	v_cmp_lt_i32_e32 vcc, v4, v11
	s_and_saveexec_b64 s[6:7], vcc
	s_cbranch_execz .LBB55_16
; %bb.18:                               ;   in Loop: Header=BB55_17 Depth=1
	v_lshlrev_b64 v[12:13], 3, v[2:3]
	v_mov_b32_e32 v3, s21
	v_add_co_u32_e32 v12, vcc, s20, v12
	v_addc_co_u32_e32 v13, vcc, v3, v13, vcc
	global_load_dwordx2 v[14:15], v[12:13], off
	s_mov_b64 s[12:13], 0
	s_waitcnt vmcnt(0)
	v_mul_f32_e64 v3, v15, -s3
	v_mul_f32_e32 v12, s56, v15
	v_fmac_f32_e32 v3, s56, v14
	v_fmac_f32_e32 v12, s3, v14
	s_branch .LBB55_20
.LBB55_19:                              ;   in Loop: Header=BB55_20 Depth=2
	s_or_b64 exec, exec, s[16:17]
	v_add_u32_e32 v4, 32, v4
	v_cmp_ge_i32_e32 vcc, v4, v11
	s_or_b64 s[12:13], vcc, s[12:13]
	s_andn2_b64 exec, exec, s[12:13]
	s_cbranch_execz .LBB55_16
.LBB55_20:                              ;   Parent Loop BB55_17 Depth=1
                                        ; =>  This Loop Header: Depth=2
                                        ;       Child Loop BB55_22 Depth 3
	v_ashrrev_i32_e32 v5, 31, v4
	v_lshlrev_b64 v[14:15], 2, v[4:5]
	v_mov_b32_e32 v13, s9
	v_add_co_u32_e32 v14, vcc, s8, v14
	v_addc_co_u32_e32 v15, vcc, v13, v15, vcc
	global_load_dword v13, v[14:15], off
	v_lshlrev_b64 v[14:15], 3, v[4:5]
	v_mov_b32_e32 v5, s11
	v_add_co_u32_e32 v14, vcc, s10, v14
	v_addc_co_u32_e32 v15, vcc, v5, v15, vcc
	global_load_dwordx2 v[16:17], v[14:15], off
	s_mov_b64 s[16:17], 0
	s_waitcnt vmcnt(1)
	v_subrev_u32_e32 v5, s45, v13
	v_mul_lo_u32 v15, v5, s19
	v_and_b32_e32 v15, 0x7ff, v15
	s_waitcnt vmcnt(0)
	v_mul_f32_e64 v13, v17, -v12
	v_mul_f32_e32 v14, v3, v17
	v_fmac_f32_e32 v13, v3, v16
	v_fmac_f32_e32 v14, v12, v16
	s_branch .LBB55_22
.LBB55_21:                              ;   in Loop: Header=BB55_22 Depth=3
	s_or_b64 exec, exec, s[24:25]
	s_xor_b64 s[24:25], s[26:27], -1
	s_and_b64 s[24:25], exec, s[24:25]
	s_or_b64 s[16:17], s[24:25], s[16:17]
	s_andn2_b64 exec, exec, s[16:17]
	s_cbranch_execz .LBB55_19
.LBB55_22:                              ;   Parent Loop BB55_17 Depth=1
                                        ;     Parent Loop BB55_20 Depth=2
                                        ; =>    This Inner Loop Header: Depth=3
	v_lshl_add_u32 v16, v15, 2, 0
	ds_read_b32 v17, v16
                                        ; implicit-def: $sgpr26_sgpr27
	s_waitcnt lgkmcnt(0)
	v_cmp_ne_u32_e32 vcc, v17, v5
	s_and_saveexec_b64 s[24:25], vcc
	s_xor_b64 s[24:25], exec, s[24:25]
	s_cbranch_execz .LBB55_30
; %bb.23:                               ;   in Loop: Header=BB55_22 Depth=3
	v_cmp_ne_u32_e32 vcc, s33, v17
                                        ; implicit-def: $sgpr26_sgpr27
	s_and_saveexec_b64 s[30:31], vcc
	s_xor_b64 s[30:31], exec, s[30:31]
; %bb.24:                               ;   in Loop: Header=BB55_22 Depth=3
	v_add_u32_e32 v15, 1, v15
	v_and_b32_e32 v15, 0x7ff, v15
	s_mov_b64 s[26:27], -1
                                        ; implicit-def: $vgpr16
; %bb.25:                               ;   in Loop: Header=BB55_22 Depth=3
	s_andn2_saveexec_b64 s[30:31], s[30:31]
	s_cbranch_execz .LBB55_29
; %bb.26:                               ;   in Loop: Header=BB55_22 Depth=3
	v_mov_b32_e32 v17, s33
	ds_cmpst_rtn_b32 v17, v16, v17, v5
	s_mov_b64 s[50:51], -1
	s_waitcnt lgkmcnt(0)
	v_cmp_eq_u32_e32 vcc, s33, v17
	s_and_saveexec_b64 s[52:53], vcc
	s_cbranch_execz .LBB55_28
; %bb.27:                               ;   in Loop: Header=BB55_22 Depth=3
	v_lshl_add_u32 v16, v15, 2, v16
	ds_add_f32 v16, v13 offset:8192
	ds_add_f32 v16, v14 offset:8196
	s_xor_b64 s[50:51], exec, -1
.LBB55_28:                              ;   in Loop: Header=BB55_22 Depth=3
	s_or_b64 exec, exec, s[52:53]
	s_andn2_b64 s[26:27], s[26:27], exec
	s_and_b64 s[50:51], s[50:51], exec
	s_or_b64 s[26:27], s[26:27], s[50:51]
.LBB55_29:                              ;   in Loop: Header=BB55_22 Depth=3
	s_or_b64 exec, exec, s[30:31]
	s_and_b64 s[26:27], s[26:27], exec
                                        ; implicit-def: $vgpr16
.LBB55_30:                              ;   in Loop: Header=BB55_22 Depth=3
	s_andn2_saveexec_b64 s[24:25], s[24:25]
	s_cbranch_execz .LBB55_21
; %bb.31:                               ;   in Loop: Header=BB55_22 Depth=3
	v_lshl_add_u32 v16, v15, 2, v16
	ds_add_f32 v16, v13 offset:8192
	ds_add_f32 v16, v14 offset:8196
	s_andn2_b64 s[26:27], s[26:27], exec
	s_branch .LBB55_21
.LBB55_32:
	s_or_b64 exec, exec, s[0:1]
.LBB55_33:
	s_andn2_b64 vcc, exec, s[28:29]
	s_cbranch_vccnz .LBB55_50
; %bb.34:
	s_waitcnt lgkmcnt(0)
	s_ashr_i32 s49, s48, 31
	s_lshl_b64 s[0:1], s[48:49], 2
	s_add_u32 s0, s14, s0
	s_addc_u32 s1, s15, s1
	s_load_dwordx2 s[0:1], s[0:1], 0x0
	v_subrev_u32_e32 v2, s47, v0
	s_waitcnt lgkmcnt(0)
	s_sub_i32 s16, s1, s47
	v_add_u32_e32 v2, s0, v2
	v_cmp_gt_i32_e32 vcc, s16, v2
	s_and_saveexec_b64 s[0:1], vcc
	s_cbranch_execz .LBB55_49
; %bb.35:
	s_mov_b64 s[2:3], 0
	v_mov_b32_e32 v4, s37
	v_mov_b32_e32 v5, s39
	s_movk_i32 s17, 0x89
	s_branch .LBB55_37
.LBB55_36:                              ;   in Loop: Header=BB55_37 Depth=1
	s_or_b64 exec, exec, s[4:5]
	v_add_u32_e32 v2, 0x400, v2
	v_cmp_le_i32_e32 vcc, s16, v2
	s_or_b64 s[2:3], vcc, s[2:3]
	s_andn2_b64 exec, exec, s[2:3]
	s_cbranch_execz .LBB55_49
.LBB55_37:                              ; =>This Loop Header: Depth=1
                                        ;     Child Loop BB55_39 Depth 2
	v_ashrrev_i32_e32 v3, 31, v2
	v_lshlrev_b64 v[8:9], 2, v[2:3]
	v_add_co_u32_e32 v8, vcc, s36, v8
	v_addc_co_u32_e32 v9, vcc, v4, v9, vcc
	global_load_dword v12, v[8:9], off
	v_lshlrev_b64 v[8:9], 3, v[2:3]
	v_add_co_u32_e32 v8, vcc, s38, v8
	v_addc_co_u32_e32 v9, vcc, v5, v9, vcc
	global_load_dwordx2 v[10:11], v[8:9], off
	s_mov_b64 s[4:5], 0
	s_waitcnt vmcnt(1)
	v_subrev_u32_e32 v3, s47, v12
	s_waitcnt vmcnt(0)
	v_mul_f32_e64 v8, v11, -s55
	v_mul_f32_e32 v9, s54, v11
	v_fmac_f32_e32 v8, s54, v10
	v_fmac_f32_e32 v9, s55, v10
	v_mul_lo_u32 v10, v3, s17
	v_and_b32_e32 v10, 0x7ff, v10
	s_branch .LBB55_39
.LBB55_38:                              ;   in Loop: Header=BB55_39 Depth=2
	s_or_b64 exec, exec, s[6:7]
	s_xor_b64 s[6:7], s[8:9], -1
	s_and_b64 s[6:7], exec, s[6:7]
	s_or_b64 s[4:5], s[6:7], s[4:5]
	s_andn2_b64 exec, exec, s[4:5]
	s_cbranch_execz .LBB55_36
.LBB55_39:                              ;   Parent Loop BB55_37 Depth=1
                                        ; =>  This Inner Loop Header: Depth=2
	v_lshl_add_u32 v11, v10, 2, 0
	ds_read_b32 v12, v11
                                        ; implicit-def: $sgpr8_sgpr9
	s_waitcnt lgkmcnt(0)
	v_cmp_ne_u32_e32 vcc, v12, v3
	s_and_saveexec_b64 s[6:7], vcc
	s_xor_b64 s[6:7], exec, s[6:7]
	s_cbranch_execz .LBB55_47
; %bb.40:                               ;   in Loop: Header=BB55_39 Depth=2
	v_cmp_ne_u32_e32 vcc, s33, v12
                                        ; implicit-def: $sgpr8_sgpr9
	s_and_saveexec_b64 s[10:11], vcc
	s_xor_b64 s[10:11], exec, s[10:11]
; %bb.41:                               ;   in Loop: Header=BB55_39 Depth=2
	v_add_u32_e32 v10, 1, v10
	v_and_b32_e32 v10, 0x7ff, v10
	s_mov_b64 s[8:9], -1
                                        ; implicit-def: $vgpr11
; %bb.42:                               ;   in Loop: Header=BB55_39 Depth=2
	s_andn2_saveexec_b64 s[10:11], s[10:11]
	s_cbranch_execz .LBB55_46
; %bb.43:                               ;   in Loop: Header=BB55_39 Depth=2
	v_mov_b32_e32 v12, s33
	ds_cmpst_rtn_b32 v12, v11, v12, v3
	s_mov_b64 s[12:13], -1
	s_waitcnt lgkmcnt(0)
	v_cmp_eq_u32_e32 vcc, s33, v12
	s_and_saveexec_b64 s[14:15], vcc
	s_cbranch_execz .LBB55_45
; %bb.44:                               ;   in Loop: Header=BB55_39 Depth=2
	v_lshl_add_u32 v11, v10, 2, v11
	ds_add_f32 v11, v8 offset:8192
	ds_add_f32 v11, v9 offset:8196
	s_xor_b64 s[12:13], exec, -1
.LBB55_45:                              ;   in Loop: Header=BB55_39 Depth=2
	s_or_b64 exec, exec, s[14:15]
	s_andn2_b64 s[8:9], s[8:9], exec
	s_and_b64 s[12:13], s[12:13], exec
	s_or_b64 s[8:9], s[8:9], s[12:13]
.LBB55_46:                              ;   in Loop: Header=BB55_39 Depth=2
	s_or_b64 exec, exec, s[10:11]
	s_and_b64 s[8:9], s[8:9], exec
                                        ; implicit-def: $vgpr11
.LBB55_47:                              ;   in Loop: Header=BB55_39 Depth=2
	s_andn2_saveexec_b64 s[6:7], s[6:7]
	s_cbranch_execz .LBB55_38
; %bb.48:                               ;   in Loop: Header=BB55_39 Depth=2
	v_lshl_add_u32 v11, v10, 2, v11
	ds_add_f32 v11, v8 offset:8192
	ds_add_f32 v11, v9 offset:8196
	s_andn2_b64 s[8:9], s[8:9], exec
	s_branch .LBB55_38
.LBB55_49:
	s_or_b64 exec, exec, s[0:1]
.LBB55_50:
	v_mbcnt_lo_u32_b32 v2, -1, 0
	v_mbcnt_hi_u32_b32 v2, -1, v2
	v_lshrrev_b32_e32 v4, 4, v0
	v_sub_u32_e32 v2, 63, v2
	v_and_b32_e32 v4, 60, v4
	s_movk_i32 s0, 0x3ff
	s_movk_i32 s4, 0x7f
	;; [unrolled: 1-line block ×15, first 2 shown]
	v_mov_b32_e32 v8, 0
	v_lshrrev_b64 v[2:3], v2, -1
	v_add_u32_e32 v9, 0, v4
	v_cmp_eq_u32_e64 s[0:1], s0, v0
	v_cmp_lt_u32_e64 s[2:3], 63, v0
	v_cmp_lt_u32_e64 s[4:5], s4, v0
	;; [unrolled: 1-line block ×15, first 2 shown]
	s_mov_b64 s[36:37], 0
	v_mov_b32_e32 v10, 0
	s_waitcnt lgkmcnt(0)
	s_barrier
	s_branch .LBB55_52
.LBB55_51:                              ;   in Loop: Header=BB55_52 Depth=1
	s_or_b64 exec, exec, s[38:39]
	s_waitcnt lgkmcnt(0)
	s_barrier
	ds_read_b32 v4, v8 offset:24636
	v_add_co_u32_e32 v6, vcc, 0x400, v6
	s_xor_b64 s[38:39], vcc, -1
	s_and_b64 s[38:39], exec, s[38:39]
	v_add_u32_e32 v1, 0x2000, v1
	s_waitcnt lgkmcnt(0)
	v_add_u32_e32 v10, v4, v10
	s_or_b64 s[36:37], s[38:39], s[36:37]
	v_add_u32_e32 v7, 0x1000, v7
	s_andn2_b64 exec, exec, s[36:37]
	s_cbranch_execz .LBB55_86
.LBB55_52:                              ; =>This Inner Loop Header: Depth=1
	ds_read_b32 v11, v7
	ds_read2_b32 v[4:5], v1 offset1:1
	s_waitcnt lgkmcnt(0)
	s_barrier
	v_cmp_gt_i32_e32 vcc, s33, v11
	v_and_b32_e32 v13, vcc_lo, v2
	s_bcnt1_i32_b64 s38, vcc
	v_and_b32_e32 v12, vcc_hi, v3
	v_bcnt_u32_b32 v13, v13, 0
	v_bcnt_u32_b32 v12, v12, v13
	v_mov_b32_e32 v13, s38
	ds_write_b32 v9, v13 offset:24576
	s_waitcnt lgkmcnt(0)
	s_barrier
	s_and_saveexec_b64 s[38:39], s[2:3]
	s_cbranch_execnz .LBB55_69
; %bb.53:                               ;   in Loop: Header=BB55_52 Depth=1
	s_or_b64 exec, exec, s[38:39]
	s_and_saveexec_b64 s[38:39], s[4:5]
	s_cbranch_execnz .LBB55_70
.LBB55_54:                              ;   in Loop: Header=BB55_52 Depth=1
	s_or_b64 exec, exec, s[38:39]
	s_and_saveexec_b64 s[38:39], s[6:7]
	s_cbranch_execnz .LBB55_71
.LBB55_55:                              ;   in Loop: Header=BB55_52 Depth=1
	s_or_b64 exec, exec, s[38:39]
	s_and_saveexec_b64 s[38:39], s[8:9]
	s_cbranch_execnz .LBB55_72
.LBB55_56:                              ;   in Loop: Header=BB55_52 Depth=1
	s_or_b64 exec, exec, s[38:39]
	s_and_saveexec_b64 s[38:39], s[10:11]
	s_cbranch_execnz .LBB55_73
.LBB55_57:                              ;   in Loop: Header=BB55_52 Depth=1
	s_or_b64 exec, exec, s[38:39]
	s_and_saveexec_b64 s[38:39], s[12:13]
	s_cbranch_execnz .LBB55_74
.LBB55_58:                              ;   in Loop: Header=BB55_52 Depth=1
	s_or_b64 exec, exec, s[38:39]
	s_and_saveexec_b64 s[38:39], s[14:15]
	s_cbranch_execnz .LBB55_75
.LBB55_59:                              ;   in Loop: Header=BB55_52 Depth=1
	s_or_b64 exec, exec, s[38:39]
	s_and_saveexec_b64 s[38:39], s[16:17]
	s_cbranch_execnz .LBB55_76
.LBB55_60:                              ;   in Loop: Header=BB55_52 Depth=1
	s_or_b64 exec, exec, s[38:39]
	s_and_saveexec_b64 s[38:39], s[18:19]
	s_cbranch_execnz .LBB55_77
.LBB55_61:                              ;   in Loop: Header=BB55_52 Depth=1
	s_or_b64 exec, exec, s[38:39]
	s_and_saveexec_b64 s[38:39], s[20:21]
	s_cbranch_execnz .LBB55_78
.LBB55_62:                              ;   in Loop: Header=BB55_52 Depth=1
	s_or_b64 exec, exec, s[38:39]
	s_and_saveexec_b64 s[38:39], s[22:23]
	s_cbranch_execnz .LBB55_79
.LBB55_63:                              ;   in Loop: Header=BB55_52 Depth=1
	s_or_b64 exec, exec, s[38:39]
	s_and_saveexec_b64 s[38:39], s[24:25]
	s_cbranch_execnz .LBB55_80
.LBB55_64:                              ;   in Loop: Header=BB55_52 Depth=1
	s_or_b64 exec, exec, s[38:39]
	s_and_saveexec_b64 s[38:39], s[26:27]
	s_cbranch_execnz .LBB55_81
.LBB55_65:                              ;   in Loop: Header=BB55_52 Depth=1
	s_or_b64 exec, exec, s[38:39]
	s_and_saveexec_b64 s[38:39], s[28:29]
	s_cbranch_execnz .LBB55_82
.LBB55_66:                              ;   in Loop: Header=BB55_52 Depth=1
	s_or_b64 exec, exec, s[38:39]
	s_and_saveexec_b64 s[38:39], s[30:31]
	s_cbranch_execnz .LBB55_83
.LBB55_67:                              ;   in Loop: Header=BB55_52 Depth=1
	s_or_b64 exec, exec, s[38:39]
	s_and_saveexec_b64 s[38:39], vcc
	s_cbranch_execnz .LBB55_84
.LBB55_68:                              ;   in Loop: Header=BB55_52 Depth=1
	s_or_b64 exec, exec, s[38:39]
	s_and_saveexec_b64 s[38:39], s[0:1]
	s_cbranch_execz .LBB55_51
	s_branch .LBB55_85
.LBB55_69:                              ;   in Loop: Header=BB55_52 Depth=1
	ds_read_b32 v13, v8 offset:24576
	s_waitcnt lgkmcnt(0)
	v_add_u32_e32 v12, v13, v12
	s_or_b64 exec, exec, s[38:39]
	s_and_saveexec_b64 s[38:39], s[4:5]
	s_cbranch_execz .LBB55_54
.LBB55_70:                              ;   in Loop: Header=BB55_52 Depth=1
	ds_read_b32 v13, v8 offset:24580
	s_waitcnt lgkmcnt(0)
	v_add_u32_e32 v12, v13, v12
	s_or_b64 exec, exec, s[38:39]
	s_and_saveexec_b64 s[38:39], s[6:7]
	s_cbranch_execz .LBB55_55
.LBB55_71:                              ;   in Loop: Header=BB55_52 Depth=1
	ds_read_b32 v13, v8 offset:24584
	s_waitcnt lgkmcnt(0)
	v_add_u32_e32 v12, v13, v12
	s_or_b64 exec, exec, s[38:39]
	s_and_saveexec_b64 s[38:39], s[8:9]
	s_cbranch_execz .LBB55_56
.LBB55_72:                              ;   in Loop: Header=BB55_52 Depth=1
	ds_read_b32 v13, v8 offset:24588
	s_waitcnt lgkmcnt(0)
	v_add_u32_e32 v12, v13, v12
	s_or_b64 exec, exec, s[38:39]
	s_and_saveexec_b64 s[38:39], s[10:11]
	s_cbranch_execz .LBB55_57
.LBB55_73:                              ;   in Loop: Header=BB55_52 Depth=1
	ds_read_b32 v13, v8 offset:24592
	s_waitcnt lgkmcnt(0)
	v_add_u32_e32 v12, v13, v12
	s_or_b64 exec, exec, s[38:39]
	s_and_saveexec_b64 s[38:39], s[12:13]
	s_cbranch_execz .LBB55_58
.LBB55_74:                              ;   in Loop: Header=BB55_52 Depth=1
	ds_read_b32 v13, v8 offset:24596
	s_waitcnt lgkmcnt(0)
	v_add_u32_e32 v12, v13, v12
	s_or_b64 exec, exec, s[38:39]
	s_and_saveexec_b64 s[38:39], s[14:15]
	s_cbranch_execz .LBB55_59
.LBB55_75:                              ;   in Loop: Header=BB55_52 Depth=1
	ds_read_b32 v13, v8 offset:24600
	s_waitcnt lgkmcnt(0)
	v_add_u32_e32 v12, v13, v12
	s_or_b64 exec, exec, s[38:39]
	s_and_saveexec_b64 s[38:39], s[16:17]
	s_cbranch_execz .LBB55_60
.LBB55_76:                              ;   in Loop: Header=BB55_52 Depth=1
	ds_read_b32 v13, v8 offset:24604
	s_waitcnt lgkmcnt(0)
	v_add_u32_e32 v12, v13, v12
	s_or_b64 exec, exec, s[38:39]
	s_and_saveexec_b64 s[38:39], s[18:19]
	s_cbranch_execz .LBB55_61
.LBB55_77:                              ;   in Loop: Header=BB55_52 Depth=1
	ds_read_b32 v13, v8 offset:24608
	s_waitcnt lgkmcnt(0)
	v_add_u32_e32 v12, v13, v12
	s_or_b64 exec, exec, s[38:39]
	s_and_saveexec_b64 s[38:39], s[20:21]
	s_cbranch_execz .LBB55_62
.LBB55_78:                              ;   in Loop: Header=BB55_52 Depth=1
	ds_read_b32 v13, v8 offset:24612
	s_waitcnt lgkmcnt(0)
	v_add_u32_e32 v12, v13, v12
	s_or_b64 exec, exec, s[38:39]
	s_and_saveexec_b64 s[38:39], s[22:23]
	s_cbranch_execz .LBB55_63
.LBB55_79:                              ;   in Loop: Header=BB55_52 Depth=1
	ds_read_b32 v13, v8 offset:24616
	s_waitcnt lgkmcnt(0)
	v_add_u32_e32 v12, v13, v12
	s_or_b64 exec, exec, s[38:39]
	s_and_saveexec_b64 s[38:39], s[24:25]
	s_cbranch_execz .LBB55_64
.LBB55_80:                              ;   in Loop: Header=BB55_52 Depth=1
	ds_read_b32 v13, v8 offset:24620
	s_waitcnt lgkmcnt(0)
	v_add_u32_e32 v12, v13, v12
	s_or_b64 exec, exec, s[38:39]
	s_and_saveexec_b64 s[38:39], s[26:27]
	s_cbranch_execz .LBB55_65
.LBB55_81:                              ;   in Loop: Header=BB55_52 Depth=1
	ds_read_b32 v13, v8 offset:24624
	s_waitcnt lgkmcnt(0)
	v_add_u32_e32 v12, v13, v12
	s_or_b64 exec, exec, s[38:39]
	s_and_saveexec_b64 s[38:39], s[28:29]
	s_cbranch_execz .LBB55_66
.LBB55_82:                              ;   in Loop: Header=BB55_52 Depth=1
	ds_read_b32 v13, v8 offset:24628
	s_waitcnt lgkmcnt(0)
	v_add_u32_e32 v12, v13, v12
	s_or_b64 exec, exec, s[38:39]
	s_and_saveexec_b64 s[38:39], s[30:31]
	s_cbranch_execz .LBB55_67
.LBB55_83:                              ;   in Loop: Header=BB55_52 Depth=1
	ds_read_b32 v13, v8 offset:24632
	s_waitcnt lgkmcnt(0)
	v_add_u32_e32 v12, v13, v12
	s_or_b64 exec, exec, s[38:39]
	s_and_saveexec_b64 s[38:39], vcc
	s_cbranch_execz .LBB55_68
.LBB55_84:                              ;   in Loop: Header=BB55_52 Depth=1
	v_add3_u32 v13, v10, -1, v12
	v_lshl_add_u32 v14, v13, 2, 0
	v_lshl_add_u32 v13, v13, 3, 0
	v_add_u32_e32 v13, 0x2000, v13
	ds_write_b32 v14, v11
	ds_write2_b32 v13, v4, v5 offset1:1
	s_or_b64 exec, exec, s[38:39]
	s_and_saveexec_b64 s[38:39], s[0:1]
	s_cbranch_execz .LBB55_51
.LBB55_85:                              ;   in Loop: Header=BB55_52 Depth=1
	ds_write_b32 v8, v12 offset:24636
	s_branch .LBB55_51
.LBB55_86:
	s_or_b64 exec, exec, s[36:37]
	s_ashr_i32 s49, s48, 31
	s_lshl_b64 s[0:1], s[48:49], 2
	s_add_u32 s0, s40, s0
	s_addc_u32 s1, s41, s1
	s_load_dwordx2 s[0:1], s[0:1], 0x0
	s_waitcnt lgkmcnt(0)
	s_sub_i32 s14, s1, s0
	v_cmp_gt_i32_e32 vcc, s14, v0
	s_and_saveexec_b64 s[2:3], vcc
	s_cbranch_execz .LBB55_101
; %bb.87:
	s_sub_i32 s6, s0, s46
	s_add_i32 s0, s14, -2
	s_lshr_b32 s1, s0, 1
	s_add_i32 s2, s1, 1
	s_cmp_gt_u32 s14, 1
	s_cselect_b64 s[8:9], -1, 0
	s_and_b32 s15, s14, -2
	s_and_b32 s4, s2, 7
	s_cmp_gt_u32 s0, 13
	s_cselect_b64 s[0:1], -1, 0
	s_and_b32 s16, s2, -8
	s_cmp_lg_u32 s4, 0
	s_cselect_b64 s[2:3], -1, 0
	v_cndmask_b32_e64 v1, 0, 1, s[0:1]
	s_cmp_lg_u32 s14, s15
	v_cmp_ne_u32_e64 s[0:1], 1, v1
	v_cndmask_b32_e64 v1, 0, 1, s[2:3]
	s_mov_b32 s7, 0
	s_cselect_b64 s[10:11], -1, 0
	s_lshl_b32 s17, s4, 3
	s_mov_b64 s[12:13], 0
	s_movk_i32 s18, 0x2000
	v_cmp_ne_u32_e64 s[2:3], 1, v1
	v_mov_b32_e32 v1, s43
	v_mov_b32_e32 v6, s35
	s_branch .LBB55_89
.LBB55_88:                              ;   in Loop: Header=BB55_89 Depth=1
	v_ashrrev_i32_e32 v5, 31, v4
	v_lshlrev_b64 v[8:9], 2, v[4:5]
	v_add_co_u32_e32 v8, vcc, s42, v8
	v_addc_co_u32_e32 v9, vcc, v1, v9, vcc
	v_lshlrev_b64 v[4:5], 3, v[4:5]
	v_add_co_u32_e32 v4, vcc, s34, v4
	v_addc_co_u32_e32 v5, vcc, v6, v5, vcc
	v_add_u32_e32 v0, 0x400, v0
	v_cmp_le_i32_e32 vcc, s14, v0
	s_waitcnt lgkmcnt(1)
	v_add_u32_e32 v7, s46, v7
	s_or_b64 s[12:13], vcc, s[12:13]
	global_store_dword v[8:9], v7, off
	s_waitcnt lgkmcnt(0)
	global_store_dwordx2 v[4:5], v[2:3], off
	s_andn2_b64 exec, exec, s[12:13]
	s_cbranch_execz .LBB55_101
.LBB55_89:                              ; =>This Loop Header: Depth=1
                                        ;     Child Loop BB55_92 Depth 2
                                        ;     Child Loop BB55_97 Depth 2
	;; [unrolled: 1-line block ×3, first 2 shown]
	v_lshlrev_b32_e32 v2, 2, v0
	v_add_u32_e32 v3, 0, v2
	v_add3_u32 v2, v3, v2, s18
	ds_read_b32 v7, v3
	ds_read2_b32 v[2:3], v2 offset1:1
	s_and_b64 vcc, exec, s[8:9]
	s_cbranch_vccz .LBB55_94
; %bb.90:                               ;   in Loop: Header=BB55_89 Depth=1
	s_and_b64 vcc, exec, s[0:1]
	s_cbranch_vccnz .LBB55_95
; %bb.91:                               ;   in Loop: Header=BB55_89 Depth=1
	s_mov_b32 s20, 0
	v_mov_b32_e32 v4, s6
	v_mov_b32_e32 v5, 0
	s_mov_b32 s21, s16
	s_mov_b32 s19, 0
.LBB55_92:                              ;   Parent Loop BB55_89 Depth=1
                                        ; =>  This Inner Loop Header: Depth=2
	v_mov_b32_e32 v22, s20
	ds_read2_b32 v[8:9], v22 offset1:1
	ds_read2_b32 v[10:11], v22 offset0:2 offset1:3
	ds_read2_b32 v[12:13], v22 offset0:4 offset1:5
	;; [unrolled: 1-line block ×7, first 2 shown]
	s_waitcnt lgkmcnt(7)
	v_cmp_gt_i32_e32 vcc, v7, v9
	v_cndmask_b32_e64 v9, 0, 1, vcc
	v_cmp_gt_i32_e32 vcc, v7, v8
	s_waitcnt lgkmcnt(5)
	v_cmp_gt_i32_e64 s[4:5], v7, v12
	v_cndmask_b32_e64 v8, 0, 1, vcc
	v_cmp_gt_i32_e32 vcc, v7, v11
	v_cndmask_b32_e64 v11, 0, 1, s[4:5]
	v_cmp_gt_i32_e64 s[4:5], v7, v13
	v_cndmask_b32_e64 v12, 0, 1, s[4:5]
	s_waitcnt lgkmcnt(3)
	v_cmp_gt_i32_e64 s[4:5], v7, v17
	v_cndmask_b32_e64 v13, 0, 1, s[4:5]
	v_cmp_gt_i32_e64 s[4:5], v7, v16
	v_cndmask_b32_e64 v16, 0, 1, s[4:5]
	s_waitcnt lgkmcnt(1)
	v_cmp_gt_i32_e64 s[4:5], v7, v20
	v_cndmask_b32_e64 v17, 0, 1, s[4:5]
	v_cmp_gt_i32_e64 s[4:5], v7, v21
	v_cndmask_b32_e64 v20, 0, 1, s[4:5]
	v_cmp_gt_i32_e64 s[4:5], v7, v10
	v_addc_co_u32_e64 v4, s[4:5], v4, v8, s[4:5]
	v_addc_co_u32_e32 v5, vcc, v5, v9, vcc
	v_cmp_gt_i32_e32 vcc, v7, v14
	v_cmp_gt_i32_e64 s[4:5], v7, v15
	v_addc_co_u32_e64 v5, s[4:5], v5, v12, s[4:5]
	v_addc_co_u32_e32 v4, vcc, v4, v11, vcc
	v_cmp_gt_i32_e32 vcc, v7, v19
	v_cmp_gt_i32_e64 s[4:5], v7, v18
	v_addc_co_u32_e64 v4, s[4:5], v4, v16, s[4:5]
	v_addc_co_u32_e32 v5, vcc, v5, v13, vcc
	s_add_i32 s19, s19, 16
	s_add_i32 s20, s20, 64
	s_add_i32 s21, s21, -8
	s_waitcnt lgkmcnt(0)
	v_cmp_gt_i32_e32 vcc, v7, v22
	v_cmp_gt_i32_e64 s[4:5], v7, v23
	s_cmp_lg_u32 s21, 0
	v_addc_co_u32_e64 v5, s[4:5], v5, v20, s[4:5]
	v_addc_co_u32_e32 v4, vcc, v4, v17, vcc
	s_cbranch_scc1 .LBB55_92
; %bb.93:                               ;   in Loop: Header=BB55_89 Depth=1
	s_and_b64 vcc, exec, s[2:3]
	s_cbranch_vccz .LBB55_96
	s_branch .LBB55_98
.LBB55_94:                              ;   in Loop: Header=BB55_89 Depth=1
	v_mov_b32_e32 v4, s6
	s_mov_b32 s19, 0
	s_cbranch_execz .LBB55_88
	s_branch .LBB55_99
.LBB55_95:                              ;   in Loop: Header=BB55_89 Depth=1
	v_pk_mov_b32 v[4:5], s[6:7], s[6:7] op_sel:[0,1]
	s_mov_b32 s19, 0
	s_and_b64 vcc, exec, s[2:3]
	s_cbranch_vccnz .LBB55_98
.LBB55_96:                              ;   in Loop: Header=BB55_89 Depth=1
	s_lshl_b32 s4, s19, 2
	s_add_i32 s4, s4, 0
	s_mov_b32 s5, s17
.LBB55_97:                              ;   Parent Loop BB55_89 Depth=1
                                        ; =>  This Inner Loop Header: Depth=2
	v_mov_b32_e32 v8, s4
	ds_read2_b32 v[8:9], v8 offset1:1
	s_add_i32 s4, s4, 8
	s_add_i32 s5, s5, -8
	s_cmp_lg_u32 s5, 0
	s_waitcnt lgkmcnt(0)
	v_cmp_gt_i32_e32 vcc, v7, v9
	v_addc_co_u32_e32 v5, vcc, 0, v5, vcc
	v_cmp_gt_i32_e32 vcc, v7, v8
	v_addc_co_u32_e32 v4, vcc, 0, v4, vcc
	s_cbranch_scc1 .LBB55_97
.LBB55_98:                              ;   in Loop: Header=BB55_89 Depth=1
	v_add_u32_e32 v4, v4, v5
	s_mov_b32 s19, s15
	s_mov_b64 s[4:5], s[10:11]
	s_and_b64 vcc, exec, s[4:5]
	s_cbranch_vccz .LBB55_88
.LBB55_99:                              ;   in Loop: Header=BB55_89 Depth=1
	s_lshl_b32 s4, s19, 2
	s_add_i32 s4, s4, 0
.LBB55_100:                             ;   Parent Loop BB55_89 Depth=1
                                        ; =>  This Inner Loop Header: Depth=2
	v_mov_b32_e32 v5, s4
	ds_read_b32 v5, v5
	s_add_i32 s19, s19, 1
	s_add_i32 s4, s4, 4
	s_cmp_ge_i32 s19, s14
	s_waitcnt lgkmcnt(0)
	v_cmp_gt_i32_e32 vcc, v7, v5
	v_addc_co_u32_e32 v4, vcc, 0, v4, vcc
	s_cbranch_scc0 .LBB55_100
	s_branch .LBB55_88
.LBB55_101:
	s_endpgm
	.section	.rodata,"a",@progbits
	.p2align	6, 0x0
	.amdhsa_kernel _ZN9rocsparseL26csrgemm_fill_block_per_rowILj1024ELj32ELj2048ELj137ELj64Eii21rocsparse_complex_numIfEEEvT5_PKS3_S5_NS_24const_host_device_scalarIT6_EEPKT4_S5_PKS7_SB_S5_SD_S8_SB_S5_SD_SB_PS3_PS7_21rocsparse_index_base_SG_SG_SG_bbb
		.amdhsa_group_segment_fixed_size 0
		.amdhsa_private_segment_fixed_size 0
		.amdhsa_kernarg_size 156
		.amdhsa_user_sgpr_count 6
		.amdhsa_user_sgpr_private_segment_buffer 1
		.amdhsa_user_sgpr_dispatch_ptr 0
		.amdhsa_user_sgpr_queue_ptr 0
		.amdhsa_user_sgpr_kernarg_segment_ptr 1
		.amdhsa_user_sgpr_dispatch_id 0
		.amdhsa_user_sgpr_flat_scratch_init 0
		.amdhsa_user_sgpr_kernarg_preload_length 0
		.amdhsa_user_sgpr_kernarg_preload_offset 0
		.amdhsa_user_sgpr_private_segment_size 0
		.amdhsa_uses_dynamic_stack 0
		.amdhsa_system_sgpr_private_segment_wavefront_offset 0
		.amdhsa_system_sgpr_workgroup_id_x 1
		.amdhsa_system_sgpr_workgroup_id_y 0
		.amdhsa_system_sgpr_workgroup_id_z 0
		.amdhsa_system_sgpr_workgroup_info 0
		.amdhsa_system_vgpr_workitem_id 0
		.amdhsa_next_free_vgpr 24
		.amdhsa_next_free_sgpr 57
		.amdhsa_accum_offset 24
		.amdhsa_reserve_vcc 1
		.amdhsa_reserve_flat_scratch 0
		.amdhsa_float_round_mode_32 0
		.amdhsa_float_round_mode_16_64 0
		.amdhsa_float_denorm_mode_32 3
		.amdhsa_float_denorm_mode_16_64 3
		.amdhsa_dx10_clamp 1
		.amdhsa_ieee_mode 1
		.amdhsa_fp16_overflow 0
		.amdhsa_tg_split 0
		.amdhsa_exception_fp_ieee_invalid_op 0
		.amdhsa_exception_fp_denorm_src 0
		.amdhsa_exception_fp_ieee_div_zero 0
		.amdhsa_exception_fp_ieee_overflow 0
		.amdhsa_exception_fp_ieee_underflow 0
		.amdhsa_exception_fp_ieee_inexact 0
		.amdhsa_exception_int_div_zero 0
	.end_amdhsa_kernel
	.section	.text._ZN9rocsparseL26csrgemm_fill_block_per_rowILj1024ELj32ELj2048ELj137ELj64Eii21rocsparse_complex_numIfEEEvT5_PKS3_S5_NS_24const_host_device_scalarIT6_EEPKT4_S5_PKS7_SB_S5_SD_S8_SB_S5_SD_SB_PS3_PS7_21rocsparse_index_base_SG_SG_SG_bbb,"axG",@progbits,_ZN9rocsparseL26csrgemm_fill_block_per_rowILj1024ELj32ELj2048ELj137ELj64Eii21rocsparse_complex_numIfEEEvT5_PKS3_S5_NS_24const_host_device_scalarIT6_EEPKT4_S5_PKS7_SB_S5_SD_S8_SB_S5_SD_SB_PS3_PS7_21rocsparse_index_base_SG_SG_SG_bbb,comdat
.Lfunc_end55:
	.size	_ZN9rocsparseL26csrgemm_fill_block_per_rowILj1024ELj32ELj2048ELj137ELj64Eii21rocsparse_complex_numIfEEEvT5_PKS3_S5_NS_24const_host_device_scalarIT6_EEPKT4_S5_PKS7_SB_S5_SD_S8_SB_S5_SD_SB_PS3_PS7_21rocsparse_index_base_SG_SG_SG_bbb, .Lfunc_end55-_ZN9rocsparseL26csrgemm_fill_block_per_rowILj1024ELj32ELj2048ELj137ELj64Eii21rocsparse_complex_numIfEEEvT5_PKS3_S5_NS_24const_host_device_scalarIT6_EEPKT4_S5_PKS7_SB_S5_SD_S8_SB_S5_SD_SB_PS3_PS7_21rocsparse_index_base_SG_SG_SG_bbb
                                        ; -- End function
	.section	.AMDGPU.csdata,"",@progbits
; Kernel info:
; codeLenInByte = 3420
; NumSgprs: 61
; NumVgprs: 24
; NumAgprs: 0
; TotalNumVgprs: 24
; ScratchSize: 0
; MemoryBound: 0
; FloatMode: 240
; IeeeMode: 1
; LDSByteSize: 0 bytes/workgroup (compile time only)
; SGPRBlocks: 7
; VGPRBlocks: 2
; NumSGPRsForWavesPerEU: 61
; NumVGPRsForWavesPerEU: 24
; AccumOffset: 24
; Occupancy: 8
; WaveLimiterHint : 1
; COMPUTE_PGM_RSRC2:SCRATCH_EN: 0
; COMPUTE_PGM_RSRC2:USER_SGPR: 6
; COMPUTE_PGM_RSRC2:TRAP_HANDLER: 0
; COMPUTE_PGM_RSRC2:TGID_X_EN: 1
; COMPUTE_PGM_RSRC2:TGID_Y_EN: 0
; COMPUTE_PGM_RSRC2:TGID_Z_EN: 0
; COMPUTE_PGM_RSRC2:TIDIG_COMP_CNT: 0
; COMPUTE_PGM_RSRC3_GFX90A:ACCUM_OFFSET: 5
; COMPUTE_PGM_RSRC3_GFX90A:TG_SPLIT: 0
	.section	.text._ZN9rocsparseL26csrgemm_fill_block_per_rowILj1024ELj64ELj4096ELj137ELj32Eii21rocsparse_complex_numIfEEEvT5_PKS3_S5_NS_24const_host_device_scalarIT6_EEPKT4_S5_PKS7_SB_S5_SD_S8_SB_S5_SD_SB_PS3_PS7_21rocsparse_index_base_SG_SG_SG_bbb,"axG",@progbits,_ZN9rocsparseL26csrgemm_fill_block_per_rowILj1024ELj64ELj4096ELj137ELj32Eii21rocsparse_complex_numIfEEEvT5_PKS3_S5_NS_24const_host_device_scalarIT6_EEPKT4_S5_PKS7_SB_S5_SD_S8_SB_S5_SD_SB_PS3_PS7_21rocsparse_index_base_SG_SG_SG_bbb,comdat
	.globl	_ZN9rocsparseL26csrgemm_fill_block_per_rowILj1024ELj64ELj4096ELj137ELj32Eii21rocsparse_complex_numIfEEEvT5_PKS3_S5_NS_24const_host_device_scalarIT6_EEPKT4_S5_PKS7_SB_S5_SD_S8_SB_S5_SD_SB_PS3_PS7_21rocsparse_index_base_SG_SG_SG_bbb ; -- Begin function _ZN9rocsparseL26csrgemm_fill_block_per_rowILj1024ELj64ELj4096ELj137ELj32Eii21rocsparse_complex_numIfEEEvT5_PKS3_S5_NS_24const_host_device_scalarIT6_EEPKT4_S5_PKS7_SB_S5_SD_S8_SB_S5_SD_SB_PS3_PS7_21rocsparse_index_base_SG_SG_SG_bbb
	.p2align	8
	.type	_ZN9rocsparseL26csrgemm_fill_block_per_rowILj1024ELj64ELj4096ELj137ELj32Eii21rocsparse_complex_numIfEEEvT5_PKS3_S5_NS_24const_host_device_scalarIT6_EEPKT4_S5_PKS7_SB_S5_SD_S8_SB_S5_SD_SB_PS3_PS7_21rocsparse_index_base_SG_SG_SG_bbb,@function
_ZN9rocsparseL26csrgemm_fill_block_per_rowILj1024ELj64ELj4096ELj137ELj32Eii21rocsparse_complex_numIfEEEvT5_PKS3_S5_NS_24const_host_device_scalarIT6_EEPKT4_S5_PKS7_SB_S5_SD_S8_SB_S5_SD_SB_PS3_PS7_21rocsparse_index_base_SG_SG_SG_bbb: ; @_ZN9rocsparseL26csrgemm_fill_block_per_rowILj1024ELj64ELj4096ELj137ELj32Eii21rocsparse_complex_numIfEEEvT5_PKS3_S5_NS_24const_host_device_scalarIT6_EEPKT4_S5_PKS7_SB_S5_SD_S8_SB_S5_SD_SB_PS3_PS7_21rocsparse_index_base_SG_SG_SG_bbb
; %bb.0:
	s_load_dwordx8 s[64:71], s[4:5], 0x60
	s_load_dwordx8 s[8:15], s[4:5], 0x40
	s_load_dword s7, s[4:5], 0x98
	s_load_dwordx4 s[24:27], s[4:5], 0x8
	s_load_dwordx8 s[16:23], s[4:5], 0x20
	s_load_dwordx2 s[76:77], s[4:5], 0x80
	s_load_dwordx4 s[72:75], s[4:5], 0x88
	s_waitcnt lgkmcnt(0)
	s_bitcmp1_b32 s7, 0
	s_cselect_b64 s[30:31], -1, 0
	s_bitcmp1_b32 s7, 16
	s_cselect_b64 s[0:1], -1, 0
	s_xor_b64 s[0:1], s[0:1], -1
	v_cndmask_b32_e64 v1, 0, 1, s[0:1]
	s_mov_b32 s3, 0
	s_bitcmp0_b32 s7, 0
	v_cmp_ne_u32_e64 s[0:1], 1, v1
	s_mov_b32 s40, 0
	s_cbranch_scc1 .LBB56_5
; %bb.1:
	s_load_dwordx2 s[2:3], s[4:5], 0x18
	s_and_b64 vcc, exec, s[0:1]
	s_waitcnt lgkmcnt(0)
	s_mov_b32 s40, s2
	s_cbranch_vccnz .LBB56_3
; %bb.2:
	s_load_dword s40, s[2:3], 0x0
.LBB56_3:
	s_and_b64 vcc, exec, s[0:1]
	s_cbranch_vccnz .LBB56_5
; %bb.4:
	s_load_dword s3, s[2:3], 0x4
.LBB56_5:
	s_bitcmp1_b32 s7, 8
	s_cselect_b64 s[28:29], -1, 0
	s_bfe_u32 s2, s7, 0x10008
	s_mov_b32 s39, 0
	s_cmp_eq_u32 s2, 0
	s_mov_b32 s38, 0
	s_cbranch_scc1 .LBB56_11
; %bb.6:
	s_and_b64 vcc, exec, s[0:1]
	s_mov_b32 s38, s12
	s_cbranch_vccnz .LBB56_8
; %bb.7:
	s_load_dword s38, s[12:13], 0x0
.LBB56_8:
	s_and_b64 vcc, exec, s[0:1]
	s_cbranch_vccnz .LBB56_10
; %bb.9:
	s_load_dword s13, s[12:13], 0x4
.LBB56_10:
	s_waitcnt lgkmcnt(0)
	s_mov_b32 s39, s13
.LBB56_11:
	s_load_dword s33, s[4:5], 0x0
	v_lshl_add_u32 v1, v0, 3, 0
	v_add_u32_e32 v1, 0x4000, v1
	v_or_b32_e32 v6, 0xfffffc00, v0
	v_lshl_add_u32 v7, v0, 2, 0
	s_mov_b64 s[0:1], 0
	s_waitcnt lgkmcnt(0)
	v_mov_b32_e32 v2, s33
	v_mov_b32_e32 v3, 0
	s_movk_i32 s2, 0xbff
	v_mov_b32_e32 v4, v7
	v_mov_b32_e32 v5, v6
	;; [unrolled: 1-line block ×3, first 2 shown]
.LBB56_12:                              ; =>This Inner Loop Header: Depth=1
	v_add_u32_e32 v5, 0x400, v5
	v_cmp_lt_u32_e32 vcc, s2, v5
	ds_write_b32 v4, v2
	ds_write2_b32 v8, v3, v3 offset1:1
	v_add_u32_e32 v8, 0x2000, v8
	s_or_b64 s[0:1], vcc, s[0:1]
	v_add_u32_e32 v4, 0x1000, v4
	s_andn2_b64 exec, exec, s[0:1]
	s_cbranch_execnz .LBB56_12
; %bb.13:
	s_or_b64 exec, exec, s[0:1]
	s_waitcnt lgkmcnt(0)
	s_barrier
	s_load_dword s0, s[24:25], 0x0
	s_mov_b32 s1, 0
	s_waitcnt lgkmcnt(0)
	s_add_i32 s0, s0, s6
	s_lshl_b64 s[0:1], s[0:1], 2
	s_add_u32 s0, s26, s0
	s_addc_u32 s1, s27, s1
	s_load_dword s78, s[0:1], 0x0
	s_and_b64 vcc, exec, s[30:31]
	s_cbranch_vccz .LBB56_33
; %bb.14:
	s_waitcnt lgkmcnt(0)
	s_ashr_i32 s79, s78, 31
	s_lshl_b64 s[0:1], s[78:79], 2
	s_add_u32 s0, s16, s0
	s_addc_u32 s1, s17, s1
	s_load_dwordx2 s[0:1], s[0:1], 0x0
	v_lshrrev_b32_e32 v2, 6, v0
	v_subrev_u32_e32 v2, s72, v2
	s_waitcnt lgkmcnt(0)
	s_sub_i32 s2, s1, s72
	v_add_u32_e32 v2, s0, v2
	v_cmp_gt_i32_e32 vcc, s2, v2
	s_and_saveexec_b64 s[0:1], vcc
	s_cbranch_execz .LBB56_32
; %bb.15:
	v_and_b32_e32 v3, 63, v0
	v_subrev_u32_e32 v8, s73, v3
	s_mov_b64 s[4:5], 0
	v_mov_b32_e32 v9, s19
	v_mov_b32_e32 v10, s23
	s_movk_i32 s19, 0x89
	s_branch .LBB56_17
.LBB56_16:                              ;   in Loop: Header=BB56_17 Depth=1
	s_or_b64 exec, exec, s[6:7]
	v_add_u32_e32 v2, 16, v2
	v_cmp_le_i32_e32 vcc, s2, v2
	s_or_b64 s[4:5], vcc, s[4:5]
	s_andn2_b64 exec, exec, s[4:5]
	s_cbranch_execz .LBB56_32
.LBB56_17:                              ; =>This Loop Header: Depth=1
                                        ;     Child Loop BB56_20 Depth 2
                                        ;       Child Loop BB56_22 Depth 3
	v_ashrrev_i32_e32 v3, 31, v2
	v_lshlrev_b64 v[4:5], 2, v[2:3]
	v_add_co_u32_e32 v4, vcc, s18, v4
	v_addc_co_u32_e32 v5, vcc, v9, v5, vcc
	global_load_dword v4, v[4:5], off
	s_waitcnt vmcnt(0)
	v_subrev_u32_e32 v4, s72, v4
	v_ashrrev_i32_e32 v5, 31, v4
	v_lshlrev_b64 v[4:5], 2, v[4:5]
	v_add_co_u32_e32 v4, vcc, s22, v4
	v_addc_co_u32_e32 v5, vcc, v10, v5, vcc
	global_load_dwordx2 v[4:5], v[4:5], off
	s_waitcnt vmcnt(0)
	v_subrev_u32_e32 v11, s73, v5
	v_add_u32_e32 v4, v4, v8
	v_cmp_lt_i32_e32 vcc, v4, v11
	s_and_saveexec_b64 s[6:7], vcc
	s_cbranch_execz .LBB56_16
; %bb.18:                               ;   in Loop: Header=BB56_17 Depth=1
	v_lshlrev_b64 v[12:13], 3, v[2:3]
	v_mov_b32_e32 v3, s21
	v_add_co_u32_e32 v12, vcc, s20, v12
	v_addc_co_u32_e32 v13, vcc, v3, v13, vcc
	global_load_dwordx2 v[14:15], v[12:13], off
	s_mov_b64 s[12:13], 0
	s_waitcnt vmcnt(0)
	v_mul_f32_e64 v3, v15, -s3
	v_mul_f32_e32 v12, s40, v15
	v_fmac_f32_e32 v3, s40, v14
	v_fmac_f32_e32 v12, s3, v14
	s_branch .LBB56_20
.LBB56_19:                              ;   in Loop: Header=BB56_20 Depth=2
	s_or_b64 exec, exec, s[16:17]
	v_add_u32_e32 v4, 64, v4
	v_cmp_ge_i32_e32 vcc, v4, v11
	s_or_b64 s[12:13], vcc, s[12:13]
	s_andn2_b64 exec, exec, s[12:13]
	s_cbranch_execz .LBB56_16
.LBB56_20:                              ;   Parent Loop BB56_17 Depth=1
                                        ; =>  This Loop Header: Depth=2
                                        ;       Child Loop BB56_22 Depth 3
	v_ashrrev_i32_e32 v5, 31, v4
	v_lshlrev_b64 v[14:15], 2, v[4:5]
	v_mov_b32_e32 v13, s9
	v_add_co_u32_e32 v14, vcc, s8, v14
	v_addc_co_u32_e32 v15, vcc, v13, v15, vcc
	global_load_dword v13, v[14:15], off
	v_lshlrev_b64 v[14:15], 3, v[4:5]
	v_mov_b32_e32 v5, s11
	v_add_co_u32_e32 v14, vcc, s10, v14
	v_addc_co_u32_e32 v15, vcc, v5, v15, vcc
	global_load_dwordx2 v[16:17], v[14:15], off
	s_mov_b64 s[16:17], 0
	s_waitcnt vmcnt(1)
	v_subrev_u32_e32 v5, s73, v13
	v_mul_lo_u32 v15, v5, s19
	v_and_b32_e32 v15, 0xfff, v15
	s_waitcnt vmcnt(0)
	v_mul_f32_e64 v13, v17, -v12
	v_mul_f32_e32 v14, v3, v17
	v_fmac_f32_e32 v13, v3, v16
	v_fmac_f32_e32 v14, v12, v16
	s_branch .LBB56_22
.LBB56_21:                              ;   in Loop: Header=BB56_22 Depth=3
	s_or_b64 exec, exec, s[24:25]
	s_xor_b64 s[24:25], s[26:27], -1
	s_and_b64 s[24:25], exec, s[24:25]
	s_or_b64 s[16:17], s[24:25], s[16:17]
	s_andn2_b64 exec, exec, s[16:17]
	s_cbranch_execz .LBB56_19
.LBB56_22:                              ;   Parent Loop BB56_17 Depth=1
                                        ;     Parent Loop BB56_20 Depth=2
                                        ; =>    This Inner Loop Header: Depth=3
	v_lshl_add_u32 v16, v15, 2, 0
	ds_read_b32 v17, v16
                                        ; implicit-def: $sgpr26_sgpr27
	s_waitcnt lgkmcnt(0)
	v_cmp_ne_u32_e32 vcc, v17, v5
	s_and_saveexec_b64 s[24:25], vcc
	s_xor_b64 s[24:25], exec, s[24:25]
	s_cbranch_execz .LBB56_30
; %bb.23:                               ;   in Loop: Header=BB56_22 Depth=3
	v_cmp_ne_u32_e32 vcc, s33, v17
                                        ; implicit-def: $sgpr26_sgpr27
	s_and_saveexec_b64 s[30:31], vcc
	s_xor_b64 s[30:31], exec, s[30:31]
; %bb.24:                               ;   in Loop: Header=BB56_22 Depth=3
	v_add_u32_e32 v15, 1, v15
	v_and_b32_e32 v15, 0xfff, v15
	s_mov_b64 s[26:27], -1
                                        ; implicit-def: $vgpr16
; %bb.25:                               ;   in Loop: Header=BB56_22 Depth=3
	s_andn2_saveexec_b64 s[30:31], s[30:31]
	s_cbranch_execz .LBB56_29
; %bb.26:                               ;   in Loop: Header=BB56_22 Depth=3
	v_mov_b32_e32 v17, s33
	ds_cmpst_rtn_b32 v17, v16, v17, v5
	s_mov_b64 s[34:35], -1
	s_waitcnt lgkmcnt(0)
	v_cmp_eq_u32_e32 vcc, s33, v17
	s_and_saveexec_b64 s[36:37], vcc
	s_cbranch_execz .LBB56_28
; %bb.27:                               ;   in Loop: Header=BB56_22 Depth=3
	v_lshl_add_u32 v16, v15, 2, v16
	ds_add_f32 v16, v13 offset:16384
	ds_add_f32 v16, v14 offset:16388
	s_xor_b64 s[34:35], exec, -1
.LBB56_28:                              ;   in Loop: Header=BB56_22 Depth=3
	s_or_b64 exec, exec, s[36:37]
	s_andn2_b64 s[26:27], s[26:27], exec
	s_and_b64 s[34:35], s[34:35], exec
	s_or_b64 s[26:27], s[26:27], s[34:35]
.LBB56_29:                              ;   in Loop: Header=BB56_22 Depth=3
	s_or_b64 exec, exec, s[30:31]
	s_and_b64 s[26:27], s[26:27], exec
                                        ; implicit-def: $vgpr16
.LBB56_30:                              ;   in Loop: Header=BB56_22 Depth=3
	s_andn2_saveexec_b64 s[24:25], s[24:25]
	s_cbranch_execz .LBB56_21
; %bb.31:                               ;   in Loop: Header=BB56_22 Depth=3
	v_lshl_add_u32 v16, v15, 2, v16
	ds_add_f32 v16, v13 offset:16384
	ds_add_f32 v16, v14 offset:16388
	s_andn2_b64 s[26:27], s[26:27], exec
	s_branch .LBB56_21
.LBB56_32:
	s_or_b64 exec, exec, s[0:1]
.LBB56_33:
	s_andn2_b64 vcc, exec, s[28:29]
	s_cbranch_vccnz .LBB56_50
; %bb.34:
	s_waitcnt lgkmcnt(0)
	s_ashr_i32 s79, s78, 31
	s_lshl_b64 s[0:1], s[78:79], 2
	s_add_u32 s0, s14, s0
	s_addc_u32 s1, s15, s1
	s_load_dwordx2 s[0:1], s[0:1], 0x0
	v_subrev_u32_e32 v2, s75, v0
	s_waitcnt lgkmcnt(0)
	s_sub_i32 s16, s1, s75
	v_add_u32_e32 v2, s0, v2
	v_cmp_gt_i32_e32 vcc, s16, v2
	s_and_saveexec_b64 s[0:1], vcc
	s_cbranch_execz .LBB56_49
; %bb.35:
	s_mov_b64 s[2:3], 0
	v_mov_b32_e32 v4, s65
	v_mov_b32_e32 v5, s67
	s_movk_i32 s17, 0x89
	s_branch .LBB56_37
.LBB56_36:                              ;   in Loop: Header=BB56_37 Depth=1
	s_or_b64 exec, exec, s[4:5]
	v_add_u32_e32 v2, 0x400, v2
	v_cmp_le_i32_e32 vcc, s16, v2
	s_or_b64 s[2:3], vcc, s[2:3]
	s_andn2_b64 exec, exec, s[2:3]
	s_cbranch_execz .LBB56_49
.LBB56_37:                              ; =>This Loop Header: Depth=1
                                        ;     Child Loop BB56_39 Depth 2
	v_ashrrev_i32_e32 v3, 31, v2
	v_lshlrev_b64 v[8:9], 2, v[2:3]
	v_add_co_u32_e32 v8, vcc, s64, v8
	v_addc_co_u32_e32 v9, vcc, v4, v9, vcc
	global_load_dword v12, v[8:9], off
	v_lshlrev_b64 v[8:9], 3, v[2:3]
	v_add_co_u32_e32 v8, vcc, s66, v8
	v_addc_co_u32_e32 v9, vcc, v5, v9, vcc
	global_load_dwordx2 v[10:11], v[8:9], off
	s_mov_b64 s[4:5], 0
	s_waitcnt vmcnt(1)
	v_subrev_u32_e32 v3, s75, v12
	s_waitcnt vmcnt(0)
	v_mul_f32_e64 v8, v11, -s39
	v_mul_f32_e32 v9, s38, v11
	v_fmac_f32_e32 v8, s38, v10
	v_fmac_f32_e32 v9, s39, v10
	v_mul_lo_u32 v10, v3, s17
	v_and_b32_e32 v10, 0xfff, v10
	s_branch .LBB56_39
.LBB56_38:                              ;   in Loop: Header=BB56_39 Depth=2
	s_or_b64 exec, exec, s[6:7]
	s_xor_b64 s[6:7], s[8:9], -1
	s_and_b64 s[6:7], exec, s[6:7]
	s_or_b64 s[4:5], s[6:7], s[4:5]
	s_andn2_b64 exec, exec, s[4:5]
	s_cbranch_execz .LBB56_36
.LBB56_39:                              ;   Parent Loop BB56_37 Depth=1
                                        ; =>  This Inner Loop Header: Depth=2
	v_lshl_add_u32 v11, v10, 2, 0
	ds_read_b32 v12, v11
                                        ; implicit-def: $sgpr8_sgpr9
	s_waitcnt lgkmcnt(0)
	v_cmp_ne_u32_e32 vcc, v12, v3
	s_and_saveexec_b64 s[6:7], vcc
	s_xor_b64 s[6:7], exec, s[6:7]
	s_cbranch_execz .LBB56_47
; %bb.40:                               ;   in Loop: Header=BB56_39 Depth=2
	v_cmp_ne_u32_e32 vcc, s33, v12
                                        ; implicit-def: $sgpr8_sgpr9
	s_and_saveexec_b64 s[10:11], vcc
	s_xor_b64 s[10:11], exec, s[10:11]
; %bb.41:                               ;   in Loop: Header=BB56_39 Depth=2
	v_add_u32_e32 v10, 1, v10
	v_and_b32_e32 v10, 0xfff, v10
	s_mov_b64 s[8:9], -1
                                        ; implicit-def: $vgpr11
; %bb.42:                               ;   in Loop: Header=BB56_39 Depth=2
	s_andn2_saveexec_b64 s[10:11], s[10:11]
	s_cbranch_execz .LBB56_46
; %bb.43:                               ;   in Loop: Header=BB56_39 Depth=2
	v_mov_b32_e32 v12, s33
	ds_cmpst_rtn_b32 v12, v11, v12, v3
	s_mov_b64 s[12:13], -1
	s_waitcnt lgkmcnt(0)
	v_cmp_eq_u32_e32 vcc, s33, v12
	s_and_saveexec_b64 s[14:15], vcc
	s_cbranch_execz .LBB56_45
; %bb.44:                               ;   in Loop: Header=BB56_39 Depth=2
	v_lshl_add_u32 v11, v10, 2, v11
	ds_add_f32 v11, v8 offset:16384
	ds_add_f32 v11, v9 offset:16388
	s_xor_b64 s[12:13], exec, -1
.LBB56_45:                              ;   in Loop: Header=BB56_39 Depth=2
	s_or_b64 exec, exec, s[14:15]
	s_andn2_b64 s[8:9], s[8:9], exec
	s_and_b64 s[12:13], s[12:13], exec
	s_or_b64 s[8:9], s[8:9], s[12:13]
.LBB56_46:                              ;   in Loop: Header=BB56_39 Depth=2
	s_or_b64 exec, exec, s[10:11]
	s_and_b64 s[8:9], s[8:9], exec
                                        ; implicit-def: $vgpr11
.LBB56_47:                              ;   in Loop: Header=BB56_39 Depth=2
	s_andn2_saveexec_b64 s[6:7], s[6:7]
	s_cbranch_execz .LBB56_38
; %bb.48:                               ;   in Loop: Header=BB56_39 Depth=2
	v_lshl_add_u32 v11, v10, 2, v11
	ds_add_f32 v11, v8 offset:16384
	ds_add_f32 v11, v9 offset:16388
	s_andn2_b64 s[8:9], s[8:9], exec
	s_branch .LBB56_38
.LBB56_49:
	s_or_b64 exec, exec, s[0:1]
.LBB56_50:
	v_mbcnt_lo_u32_b32 v2, -1, 0
	v_mbcnt_hi_u32_b32 v2, -1, v2
	v_lshrrev_b32_e32 v4, 3, v0
	v_sub_u32_e32 v2, 63, v2
	v_and_b32_e32 v4, 0x7c, v4
	s_movk_i32 s0, 0x3ff
	s_movk_i32 s4, 0x5f
	;; [unrolled: 1-line block ×30, first 2 shown]
	v_mov_b32_e32 v8, 0
	v_lshrrev_b64 v[2:3], v2, -1
	v_add_u32_e32 v9, 0, v4
	v_cmp_eq_u32_e32 vcc, s0, v0
	v_cmp_lt_u32_e64 s[0:1], 31, v0
	v_cmp_lt_u32_e64 s[2:3], 63, v0
	;; [unrolled: 1-line block ×31, first 2 shown]
	s_mov_b64 s[66:67], 0
	s_movk_i32 s75, 0xbff
	v_mov_b32_e32 v10, 0
	s_waitcnt lgkmcnt(0)
	s_barrier
	s_branch .LBB56_52
.LBB56_51:                              ;   in Loop: Header=BB56_52 Depth=1
	s_or_b64 exec, exec, s[64:65]
	s_waitcnt lgkmcnt(0)
	s_barrier
	ds_read_b32 v4, v8 offset:49276
	v_add_u32_e32 v6, 0x400, v6
	v_cmp_lt_u32_e64 s[64:65], s75, v6
	v_add_u32_e32 v1, 0x2000, v1
	s_or_b64 s[66:67], s[64:65], s[66:67]
	s_waitcnt lgkmcnt(0)
	v_add_u32_e32 v10, v4, v10
	v_add_u32_e32 v7, 0x1000, v7
	s_andn2_b64 exec, exec, s[66:67]
	s_cbranch_execz .LBB56_118
.LBB56_52:                              ; =>This Inner Loop Header: Depth=1
	ds_read_b32 v11, v7
	ds_read2_b32 v[4:5], v1 offset1:1
	s_waitcnt lgkmcnt(0)
	s_barrier
	v_cmp_gt_i32_e64 s[64:65], s33, v11
	v_and_b32_e32 v13, s64, v2
	s_bcnt1_i32_b64 s72, s[64:65]
	v_and_b32_e32 v12, s65, v3
	v_bcnt_u32_b32 v13, v13, 0
	v_bcnt_u32_b32 v12, v12, v13
	v_mov_b32_e32 v13, s72
	ds_write_b32 v9, v13 offset:49152
	s_waitcnt lgkmcnt(0)
	s_barrier
	s_and_saveexec_b64 s[72:73], s[0:1]
	s_cbranch_execnz .LBB56_85
; %bb.53:                               ;   in Loop: Header=BB56_52 Depth=1
	s_or_b64 exec, exec, s[72:73]
	s_and_saveexec_b64 s[72:73], s[2:3]
	s_cbranch_execnz .LBB56_86
.LBB56_54:                              ;   in Loop: Header=BB56_52 Depth=1
	s_or_b64 exec, exec, s[72:73]
	s_and_saveexec_b64 s[72:73], s[4:5]
	s_cbranch_execnz .LBB56_87
.LBB56_55:                              ;   in Loop: Header=BB56_52 Depth=1
	s_or_b64 exec, exec, s[72:73]
	s_and_saveexec_b64 s[72:73], s[6:7]
	s_cbranch_execnz .LBB56_88
.LBB56_56:                              ;   in Loop: Header=BB56_52 Depth=1
	s_or_b64 exec, exec, s[72:73]
	s_and_saveexec_b64 s[72:73], s[8:9]
	s_cbranch_execnz .LBB56_89
.LBB56_57:                              ;   in Loop: Header=BB56_52 Depth=1
	s_or_b64 exec, exec, s[72:73]
	s_and_saveexec_b64 s[72:73], s[10:11]
	s_cbranch_execnz .LBB56_90
.LBB56_58:                              ;   in Loop: Header=BB56_52 Depth=1
	s_or_b64 exec, exec, s[72:73]
	s_and_saveexec_b64 s[72:73], s[12:13]
	s_cbranch_execnz .LBB56_91
.LBB56_59:                              ;   in Loop: Header=BB56_52 Depth=1
	s_or_b64 exec, exec, s[72:73]
	s_and_saveexec_b64 s[72:73], s[14:15]
	s_cbranch_execnz .LBB56_92
.LBB56_60:                              ;   in Loop: Header=BB56_52 Depth=1
	s_or_b64 exec, exec, s[72:73]
	s_and_saveexec_b64 s[72:73], s[16:17]
	s_cbranch_execnz .LBB56_93
.LBB56_61:                              ;   in Loop: Header=BB56_52 Depth=1
	s_or_b64 exec, exec, s[72:73]
	s_and_saveexec_b64 s[72:73], s[18:19]
	s_cbranch_execnz .LBB56_94
.LBB56_62:                              ;   in Loop: Header=BB56_52 Depth=1
	s_or_b64 exec, exec, s[72:73]
	s_and_saveexec_b64 s[72:73], s[20:21]
	s_cbranch_execnz .LBB56_95
.LBB56_63:                              ;   in Loop: Header=BB56_52 Depth=1
	s_or_b64 exec, exec, s[72:73]
	s_and_saveexec_b64 s[72:73], s[22:23]
	s_cbranch_execnz .LBB56_96
.LBB56_64:                              ;   in Loop: Header=BB56_52 Depth=1
	s_or_b64 exec, exec, s[72:73]
	s_and_saveexec_b64 s[72:73], s[24:25]
	s_cbranch_execnz .LBB56_97
.LBB56_65:                              ;   in Loop: Header=BB56_52 Depth=1
	s_or_b64 exec, exec, s[72:73]
	s_and_saveexec_b64 s[72:73], s[26:27]
	s_cbranch_execnz .LBB56_98
.LBB56_66:                              ;   in Loop: Header=BB56_52 Depth=1
	s_or_b64 exec, exec, s[72:73]
	s_and_saveexec_b64 s[72:73], s[28:29]
	s_cbranch_execnz .LBB56_99
.LBB56_67:                              ;   in Loop: Header=BB56_52 Depth=1
	s_or_b64 exec, exec, s[72:73]
	s_and_saveexec_b64 s[72:73], s[30:31]
	s_cbranch_execnz .LBB56_100
.LBB56_68:                              ;   in Loop: Header=BB56_52 Depth=1
	s_or_b64 exec, exec, s[72:73]
	s_and_saveexec_b64 s[72:73], s[34:35]
	s_cbranch_execnz .LBB56_101
.LBB56_69:                              ;   in Loop: Header=BB56_52 Depth=1
	s_or_b64 exec, exec, s[72:73]
	s_and_saveexec_b64 s[72:73], s[36:37]
	s_cbranch_execnz .LBB56_102
.LBB56_70:                              ;   in Loop: Header=BB56_52 Depth=1
	s_or_b64 exec, exec, s[72:73]
	s_and_saveexec_b64 s[72:73], s[38:39]
	s_cbranch_execnz .LBB56_103
.LBB56_71:                              ;   in Loop: Header=BB56_52 Depth=1
	s_or_b64 exec, exec, s[72:73]
	s_and_saveexec_b64 s[72:73], s[40:41]
	s_cbranch_execnz .LBB56_104
.LBB56_72:                              ;   in Loop: Header=BB56_52 Depth=1
	s_or_b64 exec, exec, s[72:73]
	s_and_saveexec_b64 s[72:73], s[42:43]
	s_cbranch_execnz .LBB56_105
.LBB56_73:                              ;   in Loop: Header=BB56_52 Depth=1
	s_or_b64 exec, exec, s[72:73]
	s_and_saveexec_b64 s[72:73], s[44:45]
	s_cbranch_execnz .LBB56_106
.LBB56_74:                              ;   in Loop: Header=BB56_52 Depth=1
	s_or_b64 exec, exec, s[72:73]
	s_and_saveexec_b64 s[72:73], s[46:47]
	s_cbranch_execnz .LBB56_107
.LBB56_75:                              ;   in Loop: Header=BB56_52 Depth=1
	s_or_b64 exec, exec, s[72:73]
	s_and_saveexec_b64 s[72:73], s[48:49]
	s_cbranch_execnz .LBB56_108
.LBB56_76:                              ;   in Loop: Header=BB56_52 Depth=1
	s_or_b64 exec, exec, s[72:73]
	s_and_saveexec_b64 s[72:73], s[50:51]
	s_cbranch_execnz .LBB56_109
.LBB56_77:                              ;   in Loop: Header=BB56_52 Depth=1
	s_or_b64 exec, exec, s[72:73]
	s_and_saveexec_b64 s[72:73], s[52:53]
	s_cbranch_execnz .LBB56_110
.LBB56_78:                              ;   in Loop: Header=BB56_52 Depth=1
	s_or_b64 exec, exec, s[72:73]
	s_and_saveexec_b64 s[72:73], s[54:55]
	s_cbranch_execnz .LBB56_111
.LBB56_79:                              ;   in Loop: Header=BB56_52 Depth=1
	s_or_b64 exec, exec, s[72:73]
	s_and_saveexec_b64 s[72:73], s[56:57]
	s_cbranch_execnz .LBB56_112
.LBB56_80:                              ;   in Loop: Header=BB56_52 Depth=1
	s_or_b64 exec, exec, s[72:73]
	s_and_saveexec_b64 s[72:73], s[58:59]
	s_cbranch_execnz .LBB56_113
.LBB56_81:                              ;   in Loop: Header=BB56_52 Depth=1
	s_or_b64 exec, exec, s[72:73]
	s_and_saveexec_b64 s[72:73], s[60:61]
	s_cbranch_execnz .LBB56_114
.LBB56_82:                              ;   in Loop: Header=BB56_52 Depth=1
	s_or_b64 exec, exec, s[72:73]
	s_and_saveexec_b64 s[72:73], s[62:63]
	s_cbranch_execnz .LBB56_115
.LBB56_83:                              ;   in Loop: Header=BB56_52 Depth=1
	s_or_b64 exec, exec, s[72:73]
	s_and_saveexec_b64 s[72:73], s[64:65]
	s_cbranch_execnz .LBB56_116
.LBB56_84:                              ;   in Loop: Header=BB56_52 Depth=1
	s_or_b64 exec, exec, s[72:73]
	s_and_saveexec_b64 s[64:65], vcc
	s_cbranch_execz .LBB56_51
	s_branch .LBB56_117
.LBB56_85:                              ;   in Loop: Header=BB56_52 Depth=1
	ds_read_b32 v13, v8 offset:49152
	s_waitcnt lgkmcnt(0)
	v_add_u32_e32 v12, v13, v12
	s_or_b64 exec, exec, s[72:73]
	s_and_saveexec_b64 s[72:73], s[2:3]
	s_cbranch_execz .LBB56_54
.LBB56_86:                              ;   in Loop: Header=BB56_52 Depth=1
	ds_read_b32 v13, v8 offset:49156
	s_waitcnt lgkmcnt(0)
	v_add_u32_e32 v12, v13, v12
	s_or_b64 exec, exec, s[72:73]
	s_and_saveexec_b64 s[72:73], s[4:5]
	s_cbranch_execz .LBB56_55
.LBB56_87:                              ;   in Loop: Header=BB56_52 Depth=1
	ds_read_b32 v13, v8 offset:49160
	s_waitcnt lgkmcnt(0)
	v_add_u32_e32 v12, v13, v12
	s_or_b64 exec, exec, s[72:73]
	s_and_saveexec_b64 s[72:73], s[6:7]
	s_cbranch_execz .LBB56_56
.LBB56_88:                              ;   in Loop: Header=BB56_52 Depth=1
	ds_read_b32 v13, v8 offset:49164
	s_waitcnt lgkmcnt(0)
	v_add_u32_e32 v12, v13, v12
	s_or_b64 exec, exec, s[72:73]
	s_and_saveexec_b64 s[72:73], s[8:9]
	s_cbranch_execz .LBB56_57
.LBB56_89:                              ;   in Loop: Header=BB56_52 Depth=1
	ds_read_b32 v13, v8 offset:49168
	s_waitcnt lgkmcnt(0)
	v_add_u32_e32 v12, v13, v12
	s_or_b64 exec, exec, s[72:73]
	s_and_saveexec_b64 s[72:73], s[10:11]
	s_cbranch_execz .LBB56_58
.LBB56_90:                              ;   in Loop: Header=BB56_52 Depth=1
	ds_read_b32 v13, v8 offset:49172
	s_waitcnt lgkmcnt(0)
	v_add_u32_e32 v12, v13, v12
	s_or_b64 exec, exec, s[72:73]
	s_and_saveexec_b64 s[72:73], s[12:13]
	s_cbranch_execz .LBB56_59
.LBB56_91:                              ;   in Loop: Header=BB56_52 Depth=1
	ds_read_b32 v13, v8 offset:49176
	s_waitcnt lgkmcnt(0)
	v_add_u32_e32 v12, v13, v12
	s_or_b64 exec, exec, s[72:73]
	s_and_saveexec_b64 s[72:73], s[14:15]
	s_cbranch_execz .LBB56_60
.LBB56_92:                              ;   in Loop: Header=BB56_52 Depth=1
	ds_read_b32 v13, v8 offset:49180
	s_waitcnt lgkmcnt(0)
	v_add_u32_e32 v12, v13, v12
	s_or_b64 exec, exec, s[72:73]
	s_and_saveexec_b64 s[72:73], s[16:17]
	s_cbranch_execz .LBB56_61
.LBB56_93:                              ;   in Loop: Header=BB56_52 Depth=1
	ds_read_b32 v13, v8 offset:49184
	s_waitcnt lgkmcnt(0)
	v_add_u32_e32 v12, v13, v12
	s_or_b64 exec, exec, s[72:73]
	s_and_saveexec_b64 s[72:73], s[18:19]
	s_cbranch_execz .LBB56_62
.LBB56_94:                              ;   in Loop: Header=BB56_52 Depth=1
	ds_read_b32 v13, v8 offset:49188
	s_waitcnt lgkmcnt(0)
	v_add_u32_e32 v12, v13, v12
	s_or_b64 exec, exec, s[72:73]
	s_and_saveexec_b64 s[72:73], s[20:21]
	s_cbranch_execz .LBB56_63
.LBB56_95:                              ;   in Loop: Header=BB56_52 Depth=1
	ds_read_b32 v13, v8 offset:49192
	s_waitcnt lgkmcnt(0)
	v_add_u32_e32 v12, v13, v12
	s_or_b64 exec, exec, s[72:73]
	s_and_saveexec_b64 s[72:73], s[22:23]
	s_cbranch_execz .LBB56_64
.LBB56_96:                              ;   in Loop: Header=BB56_52 Depth=1
	ds_read_b32 v13, v8 offset:49196
	s_waitcnt lgkmcnt(0)
	v_add_u32_e32 v12, v13, v12
	s_or_b64 exec, exec, s[72:73]
	s_and_saveexec_b64 s[72:73], s[24:25]
	s_cbranch_execz .LBB56_65
.LBB56_97:                              ;   in Loop: Header=BB56_52 Depth=1
	ds_read_b32 v13, v8 offset:49200
	s_waitcnt lgkmcnt(0)
	v_add_u32_e32 v12, v13, v12
	s_or_b64 exec, exec, s[72:73]
	s_and_saveexec_b64 s[72:73], s[26:27]
	s_cbranch_execz .LBB56_66
.LBB56_98:                              ;   in Loop: Header=BB56_52 Depth=1
	ds_read_b32 v13, v8 offset:49204
	s_waitcnt lgkmcnt(0)
	v_add_u32_e32 v12, v13, v12
	s_or_b64 exec, exec, s[72:73]
	s_and_saveexec_b64 s[72:73], s[28:29]
	s_cbranch_execz .LBB56_67
.LBB56_99:                              ;   in Loop: Header=BB56_52 Depth=1
	ds_read_b32 v13, v8 offset:49208
	s_waitcnt lgkmcnt(0)
	v_add_u32_e32 v12, v13, v12
	s_or_b64 exec, exec, s[72:73]
	s_and_saveexec_b64 s[72:73], s[30:31]
	s_cbranch_execz .LBB56_68
.LBB56_100:                             ;   in Loop: Header=BB56_52 Depth=1
	ds_read_b32 v13, v8 offset:49212
	s_waitcnt lgkmcnt(0)
	v_add_u32_e32 v12, v13, v12
	s_or_b64 exec, exec, s[72:73]
	s_and_saveexec_b64 s[72:73], s[34:35]
	s_cbranch_execz .LBB56_69
.LBB56_101:                             ;   in Loop: Header=BB56_52 Depth=1
	ds_read_b32 v13, v8 offset:49216
	s_waitcnt lgkmcnt(0)
	v_add_u32_e32 v12, v13, v12
	s_or_b64 exec, exec, s[72:73]
	s_and_saveexec_b64 s[72:73], s[36:37]
	s_cbranch_execz .LBB56_70
.LBB56_102:                             ;   in Loop: Header=BB56_52 Depth=1
	ds_read_b32 v13, v8 offset:49220
	s_waitcnt lgkmcnt(0)
	v_add_u32_e32 v12, v13, v12
	s_or_b64 exec, exec, s[72:73]
	s_and_saveexec_b64 s[72:73], s[38:39]
	s_cbranch_execz .LBB56_71
.LBB56_103:                             ;   in Loop: Header=BB56_52 Depth=1
	ds_read_b32 v13, v8 offset:49224
	s_waitcnt lgkmcnt(0)
	v_add_u32_e32 v12, v13, v12
	s_or_b64 exec, exec, s[72:73]
	s_and_saveexec_b64 s[72:73], s[40:41]
	s_cbranch_execz .LBB56_72
.LBB56_104:                             ;   in Loop: Header=BB56_52 Depth=1
	ds_read_b32 v13, v8 offset:49228
	s_waitcnt lgkmcnt(0)
	v_add_u32_e32 v12, v13, v12
	s_or_b64 exec, exec, s[72:73]
	s_and_saveexec_b64 s[72:73], s[42:43]
	s_cbranch_execz .LBB56_73
.LBB56_105:                             ;   in Loop: Header=BB56_52 Depth=1
	ds_read_b32 v13, v8 offset:49232
	s_waitcnt lgkmcnt(0)
	v_add_u32_e32 v12, v13, v12
	s_or_b64 exec, exec, s[72:73]
	s_and_saveexec_b64 s[72:73], s[44:45]
	s_cbranch_execz .LBB56_74
.LBB56_106:                             ;   in Loop: Header=BB56_52 Depth=1
	ds_read_b32 v13, v8 offset:49236
	s_waitcnt lgkmcnt(0)
	v_add_u32_e32 v12, v13, v12
	s_or_b64 exec, exec, s[72:73]
	s_and_saveexec_b64 s[72:73], s[46:47]
	s_cbranch_execz .LBB56_75
.LBB56_107:                             ;   in Loop: Header=BB56_52 Depth=1
	ds_read_b32 v13, v8 offset:49240
	s_waitcnt lgkmcnt(0)
	v_add_u32_e32 v12, v13, v12
	s_or_b64 exec, exec, s[72:73]
	s_and_saveexec_b64 s[72:73], s[48:49]
	s_cbranch_execz .LBB56_76
.LBB56_108:                             ;   in Loop: Header=BB56_52 Depth=1
	ds_read_b32 v13, v8 offset:49244
	s_waitcnt lgkmcnt(0)
	v_add_u32_e32 v12, v13, v12
	s_or_b64 exec, exec, s[72:73]
	s_and_saveexec_b64 s[72:73], s[50:51]
	s_cbranch_execz .LBB56_77
.LBB56_109:                             ;   in Loop: Header=BB56_52 Depth=1
	ds_read_b32 v13, v8 offset:49248
	s_waitcnt lgkmcnt(0)
	v_add_u32_e32 v12, v13, v12
	s_or_b64 exec, exec, s[72:73]
	s_and_saveexec_b64 s[72:73], s[52:53]
	s_cbranch_execz .LBB56_78
.LBB56_110:                             ;   in Loop: Header=BB56_52 Depth=1
	ds_read_b32 v13, v8 offset:49252
	s_waitcnt lgkmcnt(0)
	v_add_u32_e32 v12, v13, v12
	s_or_b64 exec, exec, s[72:73]
	s_and_saveexec_b64 s[72:73], s[54:55]
	s_cbranch_execz .LBB56_79
.LBB56_111:                             ;   in Loop: Header=BB56_52 Depth=1
	ds_read_b32 v13, v8 offset:49256
	s_waitcnt lgkmcnt(0)
	v_add_u32_e32 v12, v13, v12
	s_or_b64 exec, exec, s[72:73]
	s_and_saveexec_b64 s[72:73], s[56:57]
	s_cbranch_execz .LBB56_80
.LBB56_112:                             ;   in Loop: Header=BB56_52 Depth=1
	ds_read_b32 v13, v8 offset:49260
	s_waitcnt lgkmcnt(0)
	v_add_u32_e32 v12, v13, v12
	s_or_b64 exec, exec, s[72:73]
	s_and_saveexec_b64 s[72:73], s[58:59]
	s_cbranch_execz .LBB56_81
.LBB56_113:                             ;   in Loop: Header=BB56_52 Depth=1
	ds_read_b32 v13, v8 offset:49264
	s_waitcnt lgkmcnt(0)
	v_add_u32_e32 v12, v13, v12
	s_or_b64 exec, exec, s[72:73]
	s_and_saveexec_b64 s[72:73], s[60:61]
	s_cbranch_execz .LBB56_82
.LBB56_114:                             ;   in Loop: Header=BB56_52 Depth=1
	ds_read_b32 v13, v8 offset:49268
	s_waitcnt lgkmcnt(0)
	v_add_u32_e32 v12, v13, v12
	s_or_b64 exec, exec, s[72:73]
	s_and_saveexec_b64 s[72:73], s[62:63]
	s_cbranch_execz .LBB56_83
.LBB56_115:                             ;   in Loop: Header=BB56_52 Depth=1
	ds_read_b32 v13, v8 offset:49272
	s_waitcnt lgkmcnt(0)
	v_add_u32_e32 v12, v13, v12
	s_or_b64 exec, exec, s[72:73]
	s_and_saveexec_b64 s[72:73], s[64:65]
	s_cbranch_execz .LBB56_84
.LBB56_116:                             ;   in Loop: Header=BB56_52 Depth=1
	v_add3_u32 v13, v10, -1, v12
	v_lshl_add_u32 v14, v13, 2, 0
	v_lshl_add_u32 v13, v13, 3, 0
	v_add_u32_e32 v13, 0x4000, v13
	ds_write_b32 v14, v11
	ds_write2_b32 v13, v4, v5 offset1:1
	s_or_b64 exec, exec, s[72:73]
	s_and_saveexec_b64 s[64:65], vcc
	s_cbranch_execz .LBB56_51
.LBB56_117:                             ;   in Loop: Header=BB56_52 Depth=1
	ds_write_b32 v8, v12 offset:49276
	s_branch .LBB56_51
.LBB56_118:
	s_or_b64 exec, exec, s[66:67]
	s_ashr_i32 s79, s78, 31
	s_lshl_b64 s[0:1], s[78:79], 2
	s_add_u32 s0, s68, s0
	s_addc_u32 s1, s69, s1
	s_load_dwordx2 s[0:1], s[0:1], 0x0
	s_waitcnt lgkmcnt(0)
	s_sub_i32 s14, s1, s0
	v_cmp_gt_i32_e32 vcc, s14, v0
	s_and_saveexec_b64 s[2:3], vcc
	s_cbranch_execz .LBB56_133
; %bb.119:
	s_sub_i32 s6, s0, s74
	s_add_i32 s0, s14, -2
	s_lshr_b32 s1, s0, 1
	s_add_i32 s2, s1, 1
	s_cmp_gt_u32 s14, 1
	s_cselect_b64 s[8:9], -1, 0
	s_and_b32 s15, s14, -2
	s_and_b32 s4, s2, 7
	s_cmp_gt_u32 s0, 13
	s_cselect_b64 s[0:1], -1, 0
	s_and_b32 s16, s2, -8
	s_cmp_lg_u32 s4, 0
	s_cselect_b64 s[2:3], -1, 0
	v_cndmask_b32_e64 v1, 0, 1, s[0:1]
	s_cmp_lg_u32 s14, s15
	v_cmp_ne_u32_e64 s[0:1], 1, v1
	v_cndmask_b32_e64 v1, 0, 1, s[2:3]
	s_mov_b32 s7, 0
	s_cselect_b64 s[10:11], -1, 0
	s_lshl_b32 s17, s4, 3
	s_mov_b64 s[12:13], 0
	s_movk_i32 s18, 0x4000
	v_cmp_ne_u32_e64 s[2:3], 1, v1
	v_mov_b32_e32 v1, s71
	v_mov_b32_e32 v6, s77
	s_branch .LBB56_121
.LBB56_120:                             ;   in Loop: Header=BB56_121 Depth=1
	v_ashrrev_i32_e32 v5, 31, v4
	v_lshlrev_b64 v[8:9], 2, v[4:5]
	v_add_co_u32_e32 v8, vcc, s70, v8
	v_addc_co_u32_e32 v9, vcc, v1, v9, vcc
	v_lshlrev_b64 v[4:5], 3, v[4:5]
	v_add_co_u32_e32 v4, vcc, s76, v4
	v_addc_co_u32_e32 v5, vcc, v6, v5, vcc
	v_add_u32_e32 v0, 0x400, v0
	v_cmp_le_i32_e32 vcc, s14, v0
	s_waitcnt lgkmcnt(1)
	v_add_u32_e32 v7, s74, v7
	s_or_b64 s[12:13], vcc, s[12:13]
	global_store_dword v[8:9], v7, off
	s_waitcnt lgkmcnt(0)
	global_store_dwordx2 v[4:5], v[2:3], off
	s_andn2_b64 exec, exec, s[12:13]
	s_cbranch_execz .LBB56_133
.LBB56_121:                             ; =>This Loop Header: Depth=1
                                        ;     Child Loop BB56_124 Depth 2
                                        ;     Child Loop BB56_129 Depth 2
	;; [unrolled: 1-line block ×3, first 2 shown]
	v_lshlrev_b32_e32 v2, 2, v0
	v_add_u32_e32 v3, 0, v2
	v_add3_u32 v2, v3, v2, s18
	ds_read_b32 v7, v3
	ds_read2_b32 v[2:3], v2 offset1:1
	s_and_b64 vcc, exec, s[8:9]
	s_cbranch_vccz .LBB56_126
; %bb.122:                              ;   in Loop: Header=BB56_121 Depth=1
	s_and_b64 vcc, exec, s[0:1]
	s_cbranch_vccnz .LBB56_127
; %bb.123:                              ;   in Loop: Header=BB56_121 Depth=1
	s_mov_b32 s20, 0
	v_mov_b32_e32 v4, s6
	v_mov_b32_e32 v5, 0
	s_mov_b32 s21, s16
	s_mov_b32 s19, 0
.LBB56_124:                             ;   Parent Loop BB56_121 Depth=1
                                        ; =>  This Inner Loop Header: Depth=2
	v_mov_b32_e32 v22, s20
	ds_read2_b32 v[8:9], v22 offset1:1
	ds_read2_b32 v[10:11], v22 offset0:2 offset1:3
	ds_read2_b32 v[12:13], v22 offset0:4 offset1:5
	;; [unrolled: 1-line block ×7, first 2 shown]
	s_waitcnt lgkmcnt(7)
	v_cmp_gt_i32_e32 vcc, v7, v9
	v_cndmask_b32_e64 v9, 0, 1, vcc
	v_cmp_gt_i32_e32 vcc, v7, v8
	s_waitcnt lgkmcnt(5)
	v_cmp_gt_i32_e64 s[4:5], v7, v12
	v_cndmask_b32_e64 v8, 0, 1, vcc
	v_cmp_gt_i32_e32 vcc, v7, v11
	v_cndmask_b32_e64 v11, 0, 1, s[4:5]
	v_cmp_gt_i32_e64 s[4:5], v7, v13
	v_cndmask_b32_e64 v12, 0, 1, s[4:5]
	s_waitcnt lgkmcnt(3)
	v_cmp_gt_i32_e64 s[4:5], v7, v17
	v_cndmask_b32_e64 v13, 0, 1, s[4:5]
	v_cmp_gt_i32_e64 s[4:5], v7, v16
	v_cndmask_b32_e64 v16, 0, 1, s[4:5]
	s_waitcnt lgkmcnt(1)
	v_cmp_gt_i32_e64 s[4:5], v7, v20
	v_cndmask_b32_e64 v17, 0, 1, s[4:5]
	v_cmp_gt_i32_e64 s[4:5], v7, v21
	v_cndmask_b32_e64 v20, 0, 1, s[4:5]
	v_cmp_gt_i32_e64 s[4:5], v7, v10
	v_addc_co_u32_e64 v4, s[4:5], v4, v8, s[4:5]
	v_addc_co_u32_e32 v5, vcc, v5, v9, vcc
	v_cmp_gt_i32_e32 vcc, v7, v14
	v_cmp_gt_i32_e64 s[4:5], v7, v15
	v_addc_co_u32_e64 v5, s[4:5], v5, v12, s[4:5]
	v_addc_co_u32_e32 v4, vcc, v4, v11, vcc
	v_cmp_gt_i32_e32 vcc, v7, v19
	v_cmp_gt_i32_e64 s[4:5], v7, v18
	v_addc_co_u32_e64 v4, s[4:5], v4, v16, s[4:5]
	v_addc_co_u32_e32 v5, vcc, v5, v13, vcc
	s_add_i32 s19, s19, 16
	s_add_i32 s20, s20, 64
	s_add_i32 s21, s21, -8
	s_waitcnt lgkmcnt(0)
	v_cmp_gt_i32_e32 vcc, v7, v22
	v_cmp_gt_i32_e64 s[4:5], v7, v23
	s_cmp_lg_u32 s21, 0
	v_addc_co_u32_e64 v5, s[4:5], v5, v20, s[4:5]
	v_addc_co_u32_e32 v4, vcc, v4, v17, vcc
	s_cbranch_scc1 .LBB56_124
; %bb.125:                              ;   in Loop: Header=BB56_121 Depth=1
	s_and_b64 vcc, exec, s[2:3]
	s_cbranch_vccz .LBB56_128
	s_branch .LBB56_130
.LBB56_126:                             ;   in Loop: Header=BB56_121 Depth=1
	v_mov_b32_e32 v4, s6
	s_mov_b32 s19, 0
	s_cbranch_execz .LBB56_120
	s_branch .LBB56_131
.LBB56_127:                             ;   in Loop: Header=BB56_121 Depth=1
	v_pk_mov_b32 v[4:5], s[6:7], s[6:7] op_sel:[0,1]
	s_mov_b32 s19, 0
	s_and_b64 vcc, exec, s[2:3]
	s_cbranch_vccnz .LBB56_130
.LBB56_128:                             ;   in Loop: Header=BB56_121 Depth=1
	s_lshl_b32 s4, s19, 2
	s_add_i32 s4, s4, 0
	s_mov_b32 s5, s17
.LBB56_129:                             ;   Parent Loop BB56_121 Depth=1
                                        ; =>  This Inner Loop Header: Depth=2
	v_mov_b32_e32 v8, s4
	ds_read2_b32 v[8:9], v8 offset1:1
	s_add_i32 s4, s4, 8
	s_add_i32 s5, s5, -8
	s_cmp_lg_u32 s5, 0
	s_waitcnt lgkmcnt(0)
	v_cmp_gt_i32_e32 vcc, v7, v9
	v_addc_co_u32_e32 v5, vcc, 0, v5, vcc
	v_cmp_gt_i32_e32 vcc, v7, v8
	v_addc_co_u32_e32 v4, vcc, 0, v4, vcc
	s_cbranch_scc1 .LBB56_129
.LBB56_130:                             ;   in Loop: Header=BB56_121 Depth=1
	v_add_u32_e32 v4, v4, v5
	s_mov_b32 s19, s15
	s_mov_b64 s[4:5], s[10:11]
	s_and_b64 vcc, exec, s[4:5]
	s_cbranch_vccz .LBB56_120
.LBB56_131:                             ;   in Loop: Header=BB56_121 Depth=1
	s_lshl_b32 s4, s19, 2
	s_add_i32 s4, s4, 0
.LBB56_132:                             ;   Parent Loop BB56_121 Depth=1
                                        ; =>  This Inner Loop Header: Depth=2
	v_mov_b32_e32 v5, s4
	ds_read_b32 v5, v5
	s_add_i32 s19, s19, 1
	s_add_i32 s4, s4, 4
	s_cmp_ge_i32 s19, s14
	s_waitcnt lgkmcnt(0)
	v_cmp_gt_i32_e32 vcc, v7, v5
	v_addc_co_u32_e32 v4, vcc, 0, v4, vcc
	s_cbranch_scc0 .LBB56_132
	s_branch .LBB56_120
.LBB56_133:
	s_endpgm
	.section	.rodata,"a",@progbits
	.p2align	6, 0x0
	.amdhsa_kernel _ZN9rocsparseL26csrgemm_fill_block_per_rowILj1024ELj64ELj4096ELj137ELj32Eii21rocsparse_complex_numIfEEEvT5_PKS3_S5_NS_24const_host_device_scalarIT6_EEPKT4_S5_PKS7_SB_S5_SD_S8_SB_S5_SD_SB_PS3_PS7_21rocsparse_index_base_SG_SG_SG_bbb
		.amdhsa_group_segment_fixed_size 0
		.amdhsa_private_segment_fixed_size 0
		.amdhsa_kernarg_size 156
		.amdhsa_user_sgpr_count 6
		.amdhsa_user_sgpr_private_segment_buffer 1
		.amdhsa_user_sgpr_dispatch_ptr 0
		.amdhsa_user_sgpr_queue_ptr 0
		.amdhsa_user_sgpr_kernarg_segment_ptr 1
		.amdhsa_user_sgpr_dispatch_id 0
		.amdhsa_user_sgpr_flat_scratch_init 0
		.amdhsa_user_sgpr_kernarg_preload_length 0
		.amdhsa_user_sgpr_kernarg_preload_offset 0
		.amdhsa_user_sgpr_private_segment_size 0
		.amdhsa_uses_dynamic_stack 0
		.amdhsa_system_sgpr_private_segment_wavefront_offset 0
		.amdhsa_system_sgpr_workgroup_id_x 1
		.amdhsa_system_sgpr_workgroup_id_y 0
		.amdhsa_system_sgpr_workgroup_id_z 0
		.amdhsa_system_sgpr_workgroup_info 0
		.amdhsa_system_vgpr_workitem_id 0
		.amdhsa_next_free_vgpr 24
		.amdhsa_next_free_sgpr 80
		.amdhsa_accum_offset 24
		.amdhsa_reserve_vcc 1
		.amdhsa_reserve_flat_scratch 0
		.amdhsa_float_round_mode_32 0
		.amdhsa_float_round_mode_16_64 0
		.amdhsa_float_denorm_mode_32 3
		.amdhsa_float_denorm_mode_16_64 3
		.amdhsa_dx10_clamp 1
		.amdhsa_ieee_mode 1
		.amdhsa_fp16_overflow 0
		.amdhsa_tg_split 0
		.amdhsa_exception_fp_ieee_invalid_op 0
		.amdhsa_exception_fp_denorm_src 0
		.amdhsa_exception_fp_ieee_div_zero 0
		.amdhsa_exception_fp_ieee_overflow 0
		.amdhsa_exception_fp_ieee_underflow 0
		.amdhsa_exception_fp_ieee_inexact 0
		.amdhsa_exception_int_div_zero 0
	.end_amdhsa_kernel
	.section	.text._ZN9rocsparseL26csrgemm_fill_block_per_rowILj1024ELj64ELj4096ELj137ELj32Eii21rocsparse_complex_numIfEEEvT5_PKS3_S5_NS_24const_host_device_scalarIT6_EEPKT4_S5_PKS7_SB_S5_SD_S8_SB_S5_SD_SB_PS3_PS7_21rocsparse_index_base_SG_SG_SG_bbb,"axG",@progbits,_ZN9rocsparseL26csrgemm_fill_block_per_rowILj1024ELj64ELj4096ELj137ELj32Eii21rocsparse_complex_numIfEEEvT5_PKS3_S5_NS_24const_host_device_scalarIT6_EEPKT4_S5_PKS7_SB_S5_SD_S8_SB_S5_SD_SB_PS3_PS7_21rocsparse_index_base_SG_SG_SG_bbb,comdat
.Lfunc_end56:
	.size	_ZN9rocsparseL26csrgemm_fill_block_per_rowILj1024ELj64ELj4096ELj137ELj32Eii21rocsparse_complex_numIfEEEvT5_PKS3_S5_NS_24const_host_device_scalarIT6_EEPKT4_S5_PKS7_SB_S5_SD_S8_SB_S5_SD_SB_PS3_PS7_21rocsparse_index_base_SG_SG_SG_bbb, .Lfunc_end56-_ZN9rocsparseL26csrgemm_fill_block_per_rowILj1024ELj64ELj4096ELj137ELj32Eii21rocsparse_complex_numIfEEEvT5_PKS3_S5_NS_24const_host_device_scalarIT6_EEPKT4_S5_PKS7_SB_S5_SD_S8_SB_S5_SD_SB_PS3_PS7_21rocsparse_index_base_SG_SG_SG_bbb
                                        ; -- End function
	.section	.AMDGPU.csdata,"",@progbits
; Kernel info:
; codeLenInByte = 4256
; NumSgprs: 84
; NumVgprs: 24
; NumAgprs: 0
; TotalNumVgprs: 24
; ScratchSize: 0
; MemoryBound: 0
; FloatMode: 240
; IeeeMode: 1
; LDSByteSize: 0 bytes/workgroup (compile time only)
; SGPRBlocks: 10
; VGPRBlocks: 2
; NumSGPRsForWavesPerEU: 84
; NumVGPRsForWavesPerEU: 24
; AccumOffset: 24
; Occupancy: 8
; WaveLimiterHint : 1
; COMPUTE_PGM_RSRC2:SCRATCH_EN: 0
; COMPUTE_PGM_RSRC2:USER_SGPR: 6
; COMPUTE_PGM_RSRC2:TRAP_HANDLER: 0
; COMPUTE_PGM_RSRC2:TGID_X_EN: 1
; COMPUTE_PGM_RSRC2:TGID_Y_EN: 0
; COMPUTE_PGM_RSRC2:TGID_Z_EN: 0
; COMPUTE_PGM_RSRC2:TIDIG_COMP_CNT: 0
; COMPUTE_PGM_RSRC3_GFX90A:ACCUM_OFFSET: 5
; COMPUTE_PGM_RSRC3_GFX90A:TG_SPLIT: 0
	.section	.text._ZN9rocsparseL26csrgemm_fill_block_per_rowILj1024ELj64ELj4096ELj137ELj64Eii21rocsparse_complex_numIfEEEvT5_PKS3_S5_NS_24const_host_device_scalarIT6_EEPKT4_S5_PKS7_SB_S5_SD_S8_SB_S5_SD_SB_PS3_PS7_21rocsparse_index_base_SG_SG_SG_bbb,"axG",@progbits,_ZN9rocsparseL26csrgemm_fill_block_per_rowILj1024ELj64ELj4096ELj137ELj64Eii21rocsparse_complex_numIfEEEvT5_PKS3_S5_NS_24const_host_device_scalarIT6_EEPKT4_S5_PKS7_SB_S5_SD_S8_SB_S5_SD_SB_PS3_PS7_21rocsparse_index_base_SG_SG_SG_bbb,comdat
	.globl	_ZN9rocsparseL26csrgemm_fill_block_per_rowILj1024ELj64ELj4096ELj137ELj64Eii21rocsparse_complex_numIfEEEvT5_PKS3_S5_NS_24const_host_device_scalarIT6_EEPKT4_S5_PKS7_SB_S5_SD_S8_SB_S5_SD_SB_PS3_PS7_21rocsparse_index_base_SG_SG_SG_bbb ; -- Begin function _ZN9rocsparseL26csrgemm_fill_block_per_rowILj1024ELj64ELj4096ELj137ELj64Eii21rocsparse_complex_numIfEEEvT5_PKS3_S5_NS_24const_host_device_scalarIT6_EEPKT4_S5_PKS7_SB_S5_SD_S8_SB_S5_SD_SB_PS3_PS7_21rocsparse_index_base_SG_SG_SG_bbb
	.p2align	8
	.type	_ZN9rocsparseL26csrgemm_fill_block_per_rowILj1024ELj64ELj4096ELj137ELj64Eii21rocsparse_complex_numIfEEEvT5_PKS3_S5_NS_24const_host_device_scalarIT6_EEPKT4_S5_PKS7_SB_S5_SD_S8_SB_S5_SD_SB_PS3_PS7_21rocsparse_index_base_SG_SG_SG_bbb,@function
_ZN9rocsparseL26csrgemm_fill_block_per_rowILj1024ELj64ELj4096ELj137ELj64Eii21rocsparse_complex_numIfEEEvT5_PKS3_S5_NS_24const_host_device_scalarIT6_EEPKT4_S5_PKS7_SB_S5_SD_S8_SB_S5_SD_SB_PS3_PS7_21rocsparse_index_base_SG_SG_SG_bbb: ; @_ZN9rocsparseL26csrgemm_fill_block_per_rowILj1024ELj64ELj4096ELj137ELj64Eii21rocsparse_complex_numIfEEEvT5_PKS3_S5_NS_24const_host_device_scalarIT6_EEPKT4_S5_PKS7_SB_S5_SD_S8_SB_S5_SD_SB_PS3_PS7_21rocsparse_index_base_SG_SG_SG_bbb
; %bb.0:
	s_load_dwordx8 s[36:43], s[4:5], 0x60
	s_load_dwordx8 s[8:15], s[4:5], 0x40
	s_load_dword s7, s[4:5], 0x98
	s_load_dwordx4 s[24:27], s[4:5], 0x8
	s_load_dwordx8 s[16:23], s[4:5], 0x20
	s_load_dwordx2 s[34:35], s[4:5], 0x80
	s_load_dwordx4 s[44:47], s[4:5], 0x88
	s_waitcnt lgkmcnt(0)
	s_bitcmp1_b32 s7, 0
	s_cselect_b64 s[30:31], -1, 0
	s_bitcmp1_b32 s7, 16
	s_cselect_b64 s[0:1], -1, 0
	s_xor_b64 s[0:1], s[0:1], -1
	v_cndmask_b32_e64 v1, 0, 1, s[0:1]
	s_mov_b32 s3, 0
	s_bitcmp0_b32 s7, 0
	v_cmp_ne_u32_e64 s[0:1], 1, v1
	s_mov_b32 s56, 0
	s_cbranch_scc1 .LBB57_5
; %bb.1:
	s_load_dwordx2 s[2:3], s[4:5], 0x18
	s_and_b64 vcc, exec, s[0:1]
	s_waitcnt lgkmcnt(0)
	s_mov_b32 s56, s2
	s_cbranch_vccnz .LBB57_3
; %bb.2:
	s_load_dword s56, s[2:3], 0x0
.LBB57_3:
	s_and_b64 vcc, exec, s[0:1]
	s_cbranch_vccnz .LBB57_5
; %bb.4:
	s_load_dword s3, s[2:3], 0x4
.LBB57_5:
	s_bitcmp1_b32 s7, 8
	s_cselect_b64 s[28:29], -1, 0
	s_bfe_u32 s2, s7, 0x10008
	s_mov_b32 s55, 0
	s_cmp_eq_u32 s2, 0
	s_mov_b32 s54, 0
	s_cbranch_scc1 .LBB57_11
; %bb.6:
	s_and_b64 vcc, exec, s[0:1]
	s_mov_b32 s54, s12
	s_cbranch_vccnz .LBB57_8
; %bb.7:
	s_load_dword s54, s[12:13], 0x0
.LBB57_8:
	s_and_b64 vcc, exec, s[0:1]
	s_cbranch_vccnz .LBB57_10
; %bb.9:
	s_load_dword s13, s[12:13], 0x4
.LBB57_10:
	s_waitcnt lgkmcnt(0)
	s_mov_b32 s55, s13
.LBB57_11:
	s_load_dword s33, s[4:5], 0x0
	v_lshl_add_u32 v1, v0, 3, 0
	v_add_u32_e32 v1, 0x4000, v1
	v_or_b32_e32 v6, 0xfffffc00, v0
	v_lshl_add_u32 v7, v0, 2, 0
	s_mov_b64 s[0:1], 0
	s_waitcnt lgkmcnt(0)
	v_mov_b32_e32 v2, s33
	v_mov_b32_e32 v3, 0
	s_movk_i32 s2, 0xbff
	v_mov_b32_e32 v4, v7
	v_mov_b32_e32 v5, v6
	;; [unrolled: 1-line block ×3, first 2 shown]
.LBB57_12:                              ; =>This Inner Loop Header: Depth=1
	v_add_u32_e32 v5, 0x400, v5
	v_cmp_lt_u32_e32 vcc, s2, v5
	ds_write_b32 v4, v2
	ds_write2_b32 v8, v3, v3 offset1:1
	v_add_u32_e32 v8, 0x2000, v8
	s_or_b64 s[0:1], vcc, s[0:1]
	v_add_u32_e32 v4, 0x1000, v4
	s_andn2_b64 exec, exec, s[0:1]
	s_cbranch_execnz .LBB57_12
; %bb.13:
	s_or_b64 exec, exec, s[0:1]
	s_waitcnt lgkmcnt(0)
	s_barrier
	s_load_dword s0, s[24:25], 0x0
	s_mov_b32 s1, 0
	v_lshrrev_b32_e32 v8, 6, v0
	s_waitcnt lgkmcnt(0)
	s_add_i32 s0, s0, s6
	s_lshl_b64 s[0:1], s[0:1], 2
	s_add_u32 s0, s26, s0
	s_addc_u32 s1, s27, s1
	s_load_dword s48, s[0:1], 0x0
	s_and_b64 vcc, exec, s[30:31]
	s_cbranch_vccz .LBB57_33
; %bb.14:
	s_waitcnt lgkmcnt(0)
	s_ashr_i32 s49, s48, 31
	s_lshl_b64 s[0:1], s[48:49], 2
	s_add_u32 s0, s16, s0
	s_addc_u32 s1, s17, s1
	s_load_dwordx2 s[0:1], s[0:1], 0x0
	v_subrev_u32_e32 v2, s44, v8
	s_waitcnt lgkmcnt(0)
	s_sub_i32 s2, s1, s44
	v_add_u32_e32 v2, s0, v2
	v_cmp_gt_i32_e32 vcc, s2, v2
	s_and_saveexec_b64 s[0:1], vcc
	s_cbranch_execz .LBB57_32
; %bb.15:
	v_and_b32_e32 v3, 63, v0
	v_subrev_u32_e32 v9, s45, v3
	s_mov_b64 s[4:5], 0
	v_mov_b32_e32 v10, s19
	v_mov_b32_e32 v11, s23
	s_movk_i32 s19, 0x89
	s_branch .LBB57_17
.LBB57_16:                              ;   in Loop: Header=BB57_17 Depth=1
	s_or_b64 exec, exec, s[6:7]
	v_add_u32_e32 v2, 16, v2
	v_cmp_le_i32_e32 vcc, s2, v2
	s_or_b64 s[4:5], vcc, s[4:5]
	s_andn2_b64 exec, exec, s[4:5]
	s_cbranch_execz .LBB57_32
.LBB57_17:                              ; =>This Loop Header: Depth=1
                                        ;     Child Loop BB57_20 Depth 2
                                        ;       Child Loop BB57_22 Depth 3
	v_ashrrev_i32_e32 v3, 31, v2
	v_lshlrev_b64 v[4:5], 2, v[2:3]
	v_add_co_u32_e32 v4, vcc, s18, v4
	v_addc_co_u32_e32 v5, vcc, v10, v5, vcc
	global_load_dword v4, v[4:5], off
	s_waitcnt vmcnt(0)
	v_subrev_u32_e32 v4, s44, v4
	v_ashrrev_i32_e32 v5, 31, v4
	v_lshlrev_b64 v[4:5], 2, v[4:5]
	v_add_co_u32_e32 v4, vcc, s22, v4
	v_addc_co_u32_e32 v5, vcc, v11, v5, vcc
	global_load_dwordx2 v[4:5], v[4:5], off
	s_waitcnt vmcnt(0)
	v_subrev_u32_e32 v12, s45, v5
	v_add_u32_e32 v4, v4, v9
	v_cmp_lt_i32_e32 vcc, v4, v12
	s_and_saveexec_b64 s[6:7], vcc
	s_cbranch_execz .LBB57_16
; %bb.18:                               ;   in Loop: Header=BB57_17 Depth=1
	v_lshlrev_b64 v[14:15], 3, v[2:3]
	v_mov_b32_e32 v3, s21
	v_add_co_u32_e32 v14, vcc, s20, v14
	v_addc_co_u32_e32 v15, vcc, v3, v15, vcc
	global_load_dwordx2 v[14:15], v[14:15], off
	s_mov_b64 s[12:13], 0
	s_waitcnt vmcnt(0)
	v_mul_f32_e64 v3, v15, -s3
	v_mul_f32_e32 v13, s56, v15
	v_fmac_f32_e32 v3, s56, v14
	v_fmac_f32_e32 v13, s3, v14
	s_branch .LBB57_20
.LBB57_19:                              ;   in Loop: Header=BB57_20 Depth=2
	s_or_b64 exec, exec, s[16:17]
	v_add_u32_e32 v4, 64, v4
	v_cmp_ge_i32_e32 vcc, v4, v12
	s_or_b64 s[12:13], vcc, s[12:13]
	s_andn2_b64 exec, exec, s[12:13]
	s_cbranch_execz .LBB57_16
.LBB57_20:                              ;   Parent Loop BB57_17 Depth=1
                                        ; =>  This Loop Header: Depth=2
                                        ;       Child Loop BB57_22 Depth 3
	v_ashrrev_i32_e32 v5, 31, v4
	v_lshlrev_b64 v[14:15], 2, v[4:5]
	v_mov_b32_e32 v16, s9
	v_add_co_u32_e32 v14, vcc, s8, v14
	v_addc_co_u32_e32 v15, vcc, v16, v15, vcc
	global_load_dword v18, v[14:15], off
	v_lshlrev_b64 v[14:15], 3, v[4:5]
	v_mov_b32_e32 v5, s11
	v_add_co_u32_e32 v14, vcc, s10, v14
	v_addc_co_u32_e32 v15, vcc, v5, v15, vcc
	global_load_dwordx2 v[16:17], v[14:15], off
	s_mov_b64 s[16:17], 0
	s_waitcnt vmcnt(1)
	v_subrev_u32_e32 v5, s45, v18
	s_waitcnt vmcnt(0)
	v_mul_f32_e64 v14, v17, -v13
	v_mul_f32_e32 v15, v3, v17
	v_fmac_f32_e32 v14, v3, v16
	v_fmac_f32_e32 v15, v13, v16
	v_mul_lo_u32 v16, v5, s19
	v_and_b32_e32 v16, 0xfff, v16
	s_branch .LBB57_22
.LBB57_21:                              ;   in Loop: Header=BB57_22 Depth=3
	s_or_b64 exec, exec, s[24:25]
	s_xor_b64 s[24:25], s[26:27], -1
	s_and_b64 s[24:25], exec, s[24:25]
	s_or_b64 s[16:17], s[24:25], s[16:17]
	s_andn2_b64 exec, exec, s[16:17]
	s_cbranch_execz .LBB57_19
.LBB57_22:                              ;   Parent Loop BB57_17 Depth=1
                                        ;     Parent Loop BB57_20 Depth=2
                                        ; =>    This Inner Loop Header: Depth=3
	v_lshl_add_u32 v17, v16, 2, 0
	ds_read_b32 v18, v17
                                        ; implicit-def: $sgpr26_sgpr27
	s_waitcnt lgkmcnt(0)
	v_cmp_ne_u32_e32 vcc, v18, v5
	s_and_saveexec_b64 s[24:25], vcc
	s_xor_b64 s[24:25], exec, s[24:25]
	s_cbranch_execz .LBB57_30
; %bb.23:                               ;   in Loop: Header=BB57_22 Depth=3
	v_cmp_ne_u32_e32 vcc, s33, v18
                                        ; implicit-def: $sgpr26_sgpr27
	s_and_saveexec_b64 s[30:31], vcc
	s_xor_b64 s[30:31], exec, s[30:31]
; %bb.24:                               ;   in Loop: Header=BB57_22 Depth=3
	v_add_u32_e32 v16, 1, v16
	v_and_b32_e32 v16, 0xfff, v16
	s_mov_b64 s[26:27], -1
                                        ; implicit-def: $vgpr17
; %bb.25:                               ;   in Loop: Header=BB57_22 Depth=3
	s_andn2_saveexec_b64 s[30:31], s[30:31]
	s_cbranch_execz .LBB57_29
; %bb.26:                               ;   in Loop: Header=BB57_22 Depth=3
	v_mov_b32_e32 v18, s33
	ds_cmpst_rtn_b32 v18, v17, v18, v5
	s_mov_b64 s[50:51], -1
	s_waitcnt lgkmcnt(0)
	v_cmp_eq_u32_e32 vcc, s33, v18
	s_and_saveexec_b64 s[52:53], vcc
	s_cbranch_execz .LBB57_28
; %bb.27:                               ;   in Loop: Header=BB57_22 Depth=3
	v_lshl_add_u32 v17, v16, 2, v17
	ds_add_f32 v17, v14 offset:16384
	ds_add_f32 v17, v15 offset:16388
	s_xor_b64 s[50:51], exec, -1
.LBB57_28:                              ;   in Loop: Header=BB57_22 Depth=3
	s_or_b64 exec, exec, s[52:53]
	s_andn2_b64 s[26:27], s[26:27], exec
	s_and_b64 s[50:51], s[50:51], exec
	s_or_b64 s[26:27], s[26:27], s[50:51]
.LBB57_29:                              ;   in Loop: Header=BB57_22 Depth=3
	s_or_b64 exec, exec, s[30:31]
	s_and_b64 s[26:27], s[26:27], exec
                                        ; implicit-def: $vgpr17
.LBB57_30:                              ;   in Loop: Header=BB57_22 Depth=3
	s_andn2_saveexec_b64 s[24:25], s[24:25]
	s_cbranch_execz .LBB57_21
; %bb.31:                               ;   in Loop: Header=BB57_22 Depth=3
	v_lshl_add_u32 v17, v16, 2, v17
	ds_add_f32 v17, v14 offset:16384
	ds_add_f32 v17, v15 offset:16388
	s_andn2_b64 s[26:27], s[26:27], exec
	s_branch .LBB57_21
.LBB57_32:
	s_or_b64 exec, exec, s[0:1]
.LBB57_33:
	s_andn2_b64 vcc, exec, s[28:29]
	s_cbranch_vccnz .LBB57_50
; %bb.34:
	s_waitcnt lgkmcnt(0)
	s_ashr_i32 s49, s48, 31
	s_lshl_b64 s[0:1], s[48:49], 2
	s_add_u32 s0, s14, s0
	s_addc_u32 s1, s15, s1
	s_load_dwordx2 s[0:1], s[0:1], 0x0
	v_subrev_u32_e32 v2, s47, v0
	s_waitcnt lgkmcnt(0)
	s_sub_i32 s16, s1, s47
	v_add_u32_e32 v2, s0, v2
	v_cmp_gt_i32_e32 vcc, s16, v2
	s_and_saveexec_b64 s[0:1], vcc
	s_cbranch_execz .LBB57_49
; %bb.35:
	s_mov_b64 s[2:3], 0
	v_mov_b32_e32 v4, s37
	v_mov_b32_e32 v5, s39
	s_movk_i32 s17, 0x89
	s_branch .LBB57_37
.LBB57_36:                              ;   in Loop: Header=BB57_37 Depth=1
	s_or_b64 exec, exec, s[4:5]
	v_add_u32_e32 v2, 0x400, v2
	v_cmp_le_i32_e32 vcc, s16, v2
	s_or_b64 s[2:3], vcc, s[2:3]
	s_andn2_b64 exec, exec, s[2:3]
	s_cbranch_execz .LBB57_49
.LBB57_37:                              ; =>This Loop Header: Depth=1
                                        ;     Child Loop BB57_39 Depth 2
	v_ashrrev_i32_e32 v3, 31, v2
	v_lshlrev_b64 v[10:11], 2, v[2:3]
	v_add_co_u32_e32 v10, vcc, s36, v10
	v_addc_co_u32_e32 v11, vcc, v4, v11, vcc
	global_load_dword v9, v[10:11], off
	v_lshlrev_b64 v[10:11], 3, v[2:3]
	v_add_co_u32_e32 v10, vcc, s38, v10
	v_addc_co_u32_e32 v11, vcc, v5, v11, vcc
	global_load_dwordx2 v[12:13], v[10:11], off
	s_mov_b64 s[4:5], 0
	s_waitcnt vmcnt(1)
	v_subrev_u32_e32 v3, s47, v9
	v_mul_lo_u32 v11, v3, s17
	v_and_b32_e32 v11, 0xfff, v11
	s_waitcnt vmcnt(0)
	v_mul_f32_e64 v9, v13, -s55
	v_mul_f32_e32 v10, s54, v13
	v_fmac_f32_e32 v9, s54, v12
	v_fmac_f32_e32 v10, s55, v12
	s_branch .LBB57_39
.LBB57_38:                              ;   in Loop: Header=BB57_39 Depth=2
	s_or_b64 exec, exec, s[6:7]
	s_xor_b64 s[6:7], s[8:9], -1
	s_and_b64 s[6:7], exec, s[6:7]
	s_or_b64 s[4:5], s[6:7], s[4:5]
	s_andn2_b64 exec, exec, s[4:5]
	s_cbranch_execz .LBB57_36
.LBB57_39:                              ;   Parent Loop BB57_37 Depth=1
                                        ; =>  This Inner Loop Header: Depth=2
	v_lshl_add_u32 v12, v11, 2, 0
	ds_read_b32 v13, v12
                                        ; implicit-def: $sgpr8_sgpr9
	s_waitcnt lgkmcnt(0)
	v_cmp_ne_u32_e32 vcc, v13, v3
	s_and_saveexec_b64 s[6:7], vcc
	s_xor_b64 s[6:7], exec, s[6:7]
	s_cbranch_execz .LBB57_47
; %bb.40:                               ;   in Loop: Header=BB57_39 Depth=2
	v_cmp_ne_u32_e32 vcc, s33, v13
                                        ; implicit-def: $sgpr8_sgpr9
	s_and_saveexec_b64 s[10:11], vcc
	s_xor_b64 s[10:11], exec, s[10:11]
; %bb.41:                               ;   in Loop: Header=BB57_39 Depth=2
	v_add_u32_e32 v11, 1, v11
	v_and_b32_e32 v11, 0xfff, v11
	s_mov_b64 s[8:9], -1
                                        ; implicit-def: $vgpr12
; %bb.42:                               ;   in Loop: Header=BB57_39 Depth=2
	s_andn2_saveexec_b64 s[10:11], s[10:11]
	s_cbranch_execz .LBB57_46
; %bb.43:                               ;   in Loop: Header=BB57_39 Depth=2
	v_mov_b32_e32 v13, s33
	ds_cmpst_rtn_b32 v13, v12, v13, v3
	s_mov_b64 s[12:13], -1
	s_waitcnt lgkmcnt(0)
	v_cmp_eq_u32_e32 vcc, s33, v13
	s_and_saveexec_b64 s[14:15], vcc
	s_cbranch_execz .LBB57_45
; %bb.44:                               ;   in Loop: Header=BB57_39 Depth=2
	v_lshl_add_u32 v12, v11, 2, v12
	ds_add_f32 v12, v9 offset:16384
	ds_add_f32 v12, v10 offset:16388
	s_xor_b64 s[12:13], exec, -1
.LBB57_45:                              ;   in Loop: Header=BB57_39 Depth=2
	s_or_b64 exec, exec, s[14:15]
	s_andn2_b64 s[8:9], s[8:9], exec
	s_and_b64 s[12:13], s[12:13], exec
	s_or_b64 s[8:9], s[8:9], s[12:13]
.LBB57_46:                              ;   in Loop: Header=BB57_39 Depth=2
	s_or_b64 exec, exec, s[10:11]
	s_and_b64 s[8:9], s[8:9], exec
                                        ; implicit-def: $vgpr12
.LBB57_47:                              ;   in Loop: Header=BB57_39 Depth=2
	s_andn2_saveexec_b64 s[6:7], s[6:7]
	s_cbranch_execz .LBB57_38
; %bb.48:                               ;   in Loop: Header=BB57_39 Depth=2
	v_lshl_add_u32 v12, v11, 2, v12
	ds_add_f32 v12, v9 offset:16384
	ds_add_f32 v12, v10 offset:16388
	s_andn2_b64 s[8:9], s[8:9], exec
	s_branch .LBB57_38
.LBB57_49:
	s_or_b64 exec, exec, s[0:1]
.LBB57_50:
	v_mbcnt_lo_u32_b32 v2, -1, 0
	v_mbcnt_hi_u32_b32 v2, -1, v2
	v_sub_u32_e32 v2, 63, v2
	s_movk_i32 s0, 0x3ff
	s_movk_i32 s2, 0x7f
	;; [unrolled: 1-line block ×15, first 2 shown]
	v_mov_b32_e32 v9, 0
	v_lshrrev_b64 v[2:3], v2, -1
	v_lshl_add_u32 v8, v8, 2, 0
	v_cmp_eq_u32_e32 vcc, s0, v0
	v_cmp_lt_u32_e64 s[0:1], 63, v0
	v_cmp_lt_u32_e64 s[2:3], s2, v0
	;; [unrolled: 1-line block ×15, first 2 shown]
	s_mov_b64 s[36:37], 0
	s_movk_i32 s44, 0xbff
	v_mov_b32_e32 v10, 0
	s_waitcnt lgkmcnt(0)
	s_barrier
	s_branch .LBB57_52
.LBB57_51:                              ;   in Loop: Header=BB57_52 Depth=1
	s_or_b64 exec, exec, s[30:31]
	s_waitcnt lgkmcnt(0)
	s_barrier
	ds_read_b32 v4, v9 offset:49212
	v_add_u32_e32 v6, 0x400, v6
	v_cmp_lt_u32_e64 s[30:31], s44, v6
	v_add_u32_e32 v1, 0x2000, v1
	s_or_b64 s[36:37], s[30:31], s[36:37]
	s_waitcnt lgkmcnt(0)
	v_add_u32_e32 v10, v4, v10
	v_add_u32_e32 v7, 0x1000, v7
	s_andn2_b64 exec, exec, s[36:37]
	s_cbranch_execz .LBB57_86
.LBB57_52:                              ; =>This Inner Loop Header: Depth=1
	ds_read_b32 v11, v7
	ds_read2_b32 v[4:5], v1 offset1:1
	s_waitcnt lgkmcnt(0)
	s_barrier
	v_cmp_gt_i32_e64 s[30:31], s33, v11
	v_and_b32_e32 v13, s30, v2
	s_bcnt1_i32_b64 s38, s[30:31]
	v_and_b32_e32 v12, s31, v3
	v_bcnt_u32_b32 v13, v13, 0
	v_bcnt_u32_b32 v12, v12, v13
	v_mov_b32_e32 v13, s38
	ds_write_b32 v8, v13 offset:49152
	s_waitcnt lgkmcnt(0)
	s_barrier
	s_and_saveexec_b64 s[38:39], s[0:1]
	s_cbranch_execnz .LBB57_69
; %bb.53:                               ;   in Loop: Header=BB57_52 Depth=1
	s_or_b64 exec, exec, s[38:39]
	s_and_saveexec_b64 s[38:39], s[2:3]
	s_cbranch_execnz .LBB57_70
.LBB57_54:                              ;   in Loop: Header=BB57_52 Depth=1
	s_or_b64 exec, exec, s[38:39]
	s_and_saveexec_b64 s[38:39], s[4:5]
	s_cbranch_execnz .LBB57_71
.LBB57_55:                              ;   in Loop: Header=BB57_52 Depth=1
	s_or_b64 exec, exec, s[38:39]
	s_and_saveexec_b64 s[38:39], s[6:7]
	s_cbranch_execnz .LBB57_72
.LBB57_56:                              ;   in Loop: Header=BB57_52 Depth=1
	s_or_b64 exec, exec, s[38:39]
	s_and_saveexec_b64 s[38:39], s[8:9]
	s_cbranch_execnz .LBB57_73
.LBB57_57:                              ;   in Loop: Header=BB57_52 Depth=1
	s_or_b64 exec, exec, s[38:39]
	s_and_saveexec_b64 s[38:39], s[10:11]
	s_cbranch_execnz .LBB57_74
.LBB57_58:                              ;   in Loop: Header=BB57_52 Depth=1
	s_or_b64 exec, exec, s[38:39]
	s_and_saveexec_b64 s[38:39], s[12:13]
	s_cbranch_execnz .LBB57_75
.LBB57_59:                              ;   in Loop: Header=BB57_52 Depth=1
	s_or_b64 exec, exec, s[38:39]
	s_and_saveexec_b64 s[38:39], s[14:15]
	s_cbranch_execnz .LBB57_76
.LBB57_60:                              ;   in Loop: Header=BB57_52 Depth=1
	s_or_b64 exec, exec, s[38:39]
	s_and_saveexec_b64 s[38:39], s[16:17]
	s_cbranch_execnz .LBB57_77
.LBB57_61:                              ;   in Loop: Header=BB57_52 Depth=1
	s_or_b64 exec, exec, s[38:39]
	s_and_saveexec_b64 s[38:39], s[18:19]
	s_cbranch_execnz .LBB57_78
.LBB57_62:                              ;   in Loop: Header=BB57_52 Depth=1
	s_or_b64 exec, exec, s[38:39]
	s_and_saveexec_b64 s[38:39], s[20:21]
	s_cbranch_execnz .LBB57_79
.LBB57_63:                              ;   in Loop: Header=BB57_52 Depth=1
	s_or_b64 exec, exec, s[38:39]
	s_and_saveexec_b64 s[38:39], s[22:23]
	s_cbranch_execnz .LBB57_80
.LBB57_64:                              ;   in Loop: Header=BB57_52 Depth=1
	s_or_b64 exec, exec, s[38:39]
	s_and_saveexec_b64 s[38:39], s[24:25]
	s_cbranch_execnz .LBB57_81
.LBB57_65:                              ;   in Loop: Header=BB57_52 Depth=1
	s_or_b64 exec, exec, s[38:39]
	s_and_saveexec_b64 s[38:39], s[26:27]
	s_cbranch_execnz .LBB57_82
.LBB57_66:                              ;   in Loop: Header=BB57_52 Depth=1
	s_or_b64 exec, exec, s[38:39]
	s_and_saveexec_b64 s[38:39], s[28:29]
	s_cbranch_execnz .LBB57_83
.LBB57_67:                              ;   in Loop: Header=BB57_52 Depth=1
	s_or_b64 exec, exec, s[38:39]
	s_and_saveexec_b64 s[38:39], s[30:31]
	s_cbranch_execnz .LBB57_84
.LBB57_68:                              ;   in Loop: Header=BB57_52 Depth=1
	s_or_b64 exec, exec, s[38:39]
	s_and_saveexec_b64 s[30:31], vcc
	s_cbranch_execz .LBB57_51
	s_branch .LBB57_85
.LBB57_69:                              ;   in Loop: Header=BB57_52 Depth=1
	ds_read_b32 v13, v9 offset:49152
	s_waitcnt lgkmcnt(0)
	v_add_u32_e32 v12, v13, v12
	s_or_b64 exec, exec, s[38:39]
	s_and_saveexec_b64 s[38:39], s[2:3]
	s_cbranch_execz .LBB57_54
.LBB57_70:                              ;   in Loop: Header=BB57_52 Depth=1
	ds_read_b32 v13, v9 offset:49156
	s_waitcnt lgkmcnt(0)
	v_add_u32_e32 v12, v13, v12
	s_or_b64 exec, exec, s[38:39]
	s_and_saveexec_b64 s[38:39], s[4:5]
	s_cbranch_execz .LBB57_55
.LBB57_71:                              ;   in Loop: Header=BB57_52 Depth=1
	ds_read_b32 v13, v9 offset:49160
	s_waitcnt lgkmcnt(0)
	v_add_u32_e32 v12, v13, v12
	s_or_b64 exec, exec, s[38:39]
	s_and_saveexec_b64 s[38:39], s[6:7]
	s_cbranch_execz .LBB57_56
.LBB57_72:                              ;   in Loop: Header=BB57_52 Depth=1
	ds_read_b32 v13, v9 offset:49164
	s_waitcnt lgkmcnt(0)
	v_add_u32_e32 v12, v13, v12
	s_or_b64 exec, exec, s[38:39]
	s_and_saveexec_b64 s[38:39], s[8:9]
	s_cbranch_execz .LBB57_57
.LBB57_73:                              ;   in Loop: Header=BB57_52 Depth=1
	ds_read_b32 v13, v9 offset:49168
	s_waitcnt lgkmcnt(0)
	v_add_u32_e32 v12, v13, v12
	s_or_b64 exec, exec, s[38:39]
	s_and_saveexec_b64 s[38:39], s[10:11]
	s_cbranch_execz .LBB57_58
.LBB57_74:                              ;   in Loop: Header=BB57_52 Depth=1
	ds_read_b32 v13, v9 offset:49172
	s_waitcnt lgkmcnt(0)
	v_add_u32_e32 v12, v13, v12
	s_or_b64 exec, exec, s[38:39]
	s_and_saveexec_b64 s[38:39], s[12:13]
	s_cbranch_execz .LBB57_59
.LBB57_75:                              ;   in Loop: Header=BB57_52 Depth=1
	ds_read_b32 v13, v9 offset:49176
	s_waitcnt lgkmcnt(0)
	v_add_u32_e32 v12, v13, v12
	s_or_b64 exec, exec, s[38:39]
	s_and_saveexec_b64 s[38:39], s[14:15]
	s_cbranch_execz .LBB57_60
.LBB57_76:                              ;   in Loop: Header=BB57_52 Depth=1
	ds_read_b32 v13, v9 offset:49180
	s_waitcnt lgkmcnt(0)
	v_add_u32_e32 v12, v13, v12
	s_or_b64 exec, exec, s[38:39]
	s_and_saveexec_b64 s[38:39], s[16:17]
	s_cbranch_execz .LBB57_61
.LBB57_77:                              ;   in Loop: Header=BB57_52 Depth=1
	ds_read_b32 v13, v9 offset:49184
	s_waitcnt lgkmcnt(0)
	v_add_u32_e32 v12, v13, v12
	s_or_b64 exec, exec, s[38:39]
	s_and_saveexec_b64 s[38:39], s[18:19]
	s_cbranch_execz .LBB57_62
.LBB57_78:                              ;   in Loop: Header=BB57_52 Depth=1
	ds_read_b32 v13, v9 offset:49188
	s_waitcnt lgkmcnt(0)
	v_add_u32_e32 v12, v13, v12
	s_or_b64 exec, exec, s[38:39]
	s_and_saveexec_b64 s[38:39], s[20:21]
	s_cbranch_execz .LBB57_63
.LBB57_79:                              ;   in Loop: Header=BB57_52 Depth=1
	ds_read_b32 v13, v9 offset:49192
	s_waitcnt lgkmcnt(0)
	v_add_u32_e32 v12, v13, v12
	s_or_b64 exec, exec, s[38:39]
	s_and_saveexec_b64 s[38:39], s[22:23]
	s_cbranch_execz .LBB57_64
.LBB57_80:                              ;   in Loop: Header=BB57_52 Depth=1
	ds_read_b32 v13, v9 offset:49196
	s_waitcnt lgkmcnt(0)
	v_add_u32_e32 v12, v13, v12
	s_or_b64 exec, exec, s[38:39]
	s_and_saveexec_b64 s[38:39], s[24:25]
	s_cbranch_execz .LBB57_65
.LBB57_81:                              ;   in Loop: Header=BB57_52 Depth=1
	ds_read_b32 v13, v9 offset:49200
	s_waitcnt lgkmcnt(0)
	v_add_u32_e32 v12, v13, v12
	s_or_b64 exec, exec, s[38:39]
	s_and_saveexec_b64 s[38:39], s[26:27]
	s_cbranch_execz .LBB57_66
.LBB57_82:                              ;   in Loop: Header=BB57_52 Depth=1
	ds_read_b32 v13, v9 offset:49204
	s_waitcnt lgkmcnt(0)
	v_add_u32_e32 v12, v13, v12
	s_or_b64 exec, exec, s[38:39]
	s_and_saveexec_b64 s[38:39], s[28:29]
	s_cbranch_execz .LBB57_67
.LBB57_83:                              ;   in Loop: Header=BB57_52 Depth=1
	ds_read_b32 v13, v9 offset:49208
	s_waitcnt lgkmcnt(0)
	v_add_u32_e32 v12, v13, v12
	s_or_b64 exec, exec, s[38:39]
	s_and_saveexec_b64 s[38:39], s[30:31]
	s_cbranch_execz .LBB57_68
.LBB57_84:                              ;   in Loop: Header=BB57_52 Depth=1
	v_add3_u32 v13, v10, -1, v12
	v_lshl_add_u32 v14, v13, 2, 0
	v_lshl_add_u32 v13, v13, 3, 0
	v_add_u32_e32 v13, 0x4000, v13
	ds_write_b32 v14, v11
	ds_write2_b32 v13, v4, v5 offset1:1
	s_or_b64 exec, exec, s[38:39]
	s_and_saveexec_b64 s[30:31], vcc
	s_cbranch_execz .LBB57_51
.LBB57_85:                              ;   in Loop: Header=BB57_52 Depth=1
	ds_write_b32 v9, v12 offset:49212
	s_branch .LBB57_51
.LBB57_86:
	s_or_b64 exec, exec, s[36:37]
	s_ashr_i32 s49, s48, 31
	s_lshl_b64 s[0:1], s[48:49], 2
	s_add_u32 s0, s40, s0
	s_addc_u32 s1, s41, s1
	s_load_dwordx2 s[0:1], s[0:1], 0x0
	s_waitcnt lgkmcnt(0)
	s_sub_i32 s14, s1, s0
	v_cmp_gt_i32_e32 vcc, s14, v0
	s_and_saveexec_b64 s[2:3], vcc
	s_cbranch_execz .LBB57_101
; %bb.87:
	s_sub_i32 s6, s0, s46
	s_add_i32 s0, s14, -2
	s_lshr_b32 s1, s0, 1
	s_add_i32 s2, s1, 1
	s_cmp_gt_u32 s14, 1
	s_cselect_b64 s[8:9], -1, 0
	s_and_b32 s15, s14, -2
	s_and_b32 s4, s2, 7
	s_cmp_gt_u32 s0, 13
	s_cselect_b64 s[0:1], -1, 0
	s_and_b32 s16, s2, -8
	s_cmp_lg_u32 s4, 0
	s_cselect_b64 s[2:3], -1, 0
	v_cndmask_b32_e64 v1, 0, 1, s[0:1]
	s_cmp_lg_u32 s14, s15
	v_cmp_ne_u32_e64 s[0:1], 1, v1
	v_cndmask_b32_e64 v1, 0, 1, s[2:3]
	s_mov_b32 s7, 0
	s_cselect_b64 s[10:11], -1, 0
	s_lshl_b32 s17, s4, 3
	s_mov_b64 s[12:13], 0
	s_movk_i32 s18, 0x4000
	v_cmp_ne_u32_e64 s[2:3], 1, v1
	v_mov_b32_e32 v1, s43
	v_mov_b32_e32 v6, s35
	s_branch .LBB57_89
.LBB57_88:                              ;   in Loop: Header=BB57_89 Depth=1
	v_ashrrev_i32_e32 v5, 31, v4
	v_lshlrev_b64 v[8:9], 2, v[4:5]
	v_add_co_u32_e32 v8, vcc, s42, v8
	v_addc_co_u32_e32 v9, vcc, v1, v9, vcc
	v_lshlrev_b64 v[4:5], 3, v[4:5]
	v_add_co_u32_e32 v4, vcc, s34, v4
	v_addc_co_u32_e32 v5, vcc, v6, v5, vcc
	v_add_u32_e32 v0, 0x400, v0
	v_cmp_le_i32_e32 vcc, s14, v0
	s_waitcnt lgkmcnt(1)
	v_add_u32_e32 v7, s46, v7
	s_or_b64 s[12:13], vcc, s[12:13]
	global_store_dword v[8:9], v7, off
	s_waitcnt lgkmcnt(0)
	global_store_dwordx2 v[4:5], v[2:3], off
	s_andn2_b64 exec, exec, s[12:13]
	s_cbranch_execz .LBB57_101
.LBB57_89:                              ; =>This Loop Header: Depth=1
                                        ;     Child Loop BB57_92 Depth 2
                                        ;     Child Loop BB57_97 Depth 2
	;; [unrolled: 1-line block ×3, first 2 shown]
	v_lshlrev_b32_e32 v2, 2, v0
	v_add_u32_e32 v3, 0, v2
	v_add3_u32 v2, v3, v2, s18
	ds_read_b32 v7, v3
	ds_read2_b32 v[2:3], v2 offset1:1
	s_and_b64 vcc, exec, s[8:9]
	s_cbranch_vccz .LBB57_94
; %bb.90:                               ;   in Loop: Header=BB57_89 Depth=1
	s_and_b64 vcc, exec, s[0:1]
	s_cbranch_vccnz .LBB57_95
; %bb.91:                               ;   in Loop: Header=BB57_89 Depth=1
	s_mov_b32 s20, 0
	v_mov_b32_e32 v4, s6
	v_mov_b32_e32 v5, 0
	s_mov_b32 s21, s16
	s_mov_b32 s19, 0
.LBB57_92:                              ;   Parent Loop BB57_89 Depth=1
                                        ; =>  This Inner Loop Header: Depth=2
	v_mov_b32_e32 v22, s20
	ds_read2_b32 v[8:9], v22 offset1:1
	ds_read2_b32 v[10:11], v22 offset0:2 offset1:3
	ds_read2_b32 v[12:13], v22 offset0:4 offset1:5
	;; [unrolled: 1-line block ×7, first 2 shown]
	s_waitcnt lgkmcnt(7)
	v_cmp_gt_i32_e32 vcc, v7, v9
	v_cndmask_b32_e64 v9, 0, 1, vcc
	v_cmp_gt_i32_e32 vcc, v7, v8
	s_waitcnt lgkmcnt(5)
	v_cmp_gt_i32_e64 s[4:5], v7, v12
	v_cndmask_b32_e64 v8, 0, 1, vcc
	v_cmp_gt_i32_e32 vcc, v7, v11
	v_cndmask_b32_e64 v11, 0, 1, s[4:5]
	v_cmp_gt_i32_e64 s[4:5], v7, v13
	v_cndmask_b32_e64 v12, 0, 1, s[4:5]
	s_waitcnt lgkmcnt(3)
	v_cmp_gt_i32_e64 s[4:5], v7, v17
	v_cndmask_b32_e64 v13, 0, 1, s[4:5]
	v_cmp_gt_i32_e64 s[4:5], v7, v16
	v_cndmask_b32_e64 v16, 0, 1, s[4:5]
	s_waitcnt lgkmcnt(1)
	v_cmp_gt_i32_e64 s[4:5], v7, v20
	v_cndmask_b32_e64 v17, 0, 1, s[4:5]
	v_cmp_gt_i32_e64 s[4:5], v7, v21
	v_cndmask_b32_e64 v20, 0, 1, s[4:5]
	v_cmp_gt_i32_e64 s[4:5], v7, v10
	v_addc_co_u32_e64 v4, s[4:5], v4, v8, s[4:5]
	v_addc_co_u32_e32 v5, vcc, v5, v9, vcc
	v_cmp_gt_i32_e32 vcc, v7, v14
	v_cmp_gt_i32_e64 s[4:5], v7, v15
	v_addc_co_u32_e64 v5, s[4:5], v5, v12, s[4:5]
	v_addc_co_u32_e32 v4, vcc, v4, v11, vcc
	v_cmp_gt_i32_e32 vcc, v7, v19
	v_cmp_gt_i32_e64 s[4:5], v7, v18
	v_addc_co_u32_e64 v4, s[4:5], v4, v16, s[4:5]
	v_addc_co_u32_e32 v5, vcc, v5, v13, vcc
	s_add_i32 s19, s19, 16
	s_add_i32 s20, s20, 64
	s_add_i32 s21, s21, -8
	s_waitcnt lgkmcnt(0)
	v_cmp_gt_i32_e32 vcc, v7, v22
	v_cmp_gt_i32_e64 s[4:5], v7, v23
	s_cmp_lg_u32 s21, 0
	v_addc_co_u32_e64 v5, s[4:5], v5, v20, s[4:5]
	v_addc_co_u32_e32 v4, vcc, v4, v17, vcc
	s_cbranch_scc1 .LBB57_92
; %bb.93:                               ;   in Loop: Header=BB57_89 Depth=1
	s_and_b64 vcc, exec, s[2:3]
	s_cbranch_vccz .LBB57_96
	s_branch .LBB57_98
.LBB57_94:                              ;   in Loop: Header=BB57_89 Depth=1
	v_mov_b32_e32 v4, s6
	s_mov_b32 s19, 0
	s_cbranch_execz .LBB57_88
	s_branch .LBB57_99
.LBB57_95:                              ;   in Loop: Header=BB57_89 Depth=1
	v_pk_mov_b32 v[4:5], s[6:7], s[6:7] op_sel:[0,1]
	s_mov_b32 s19, 0
	s_and_b64 vcc, exec, s[2:3]
	s_cbranch_vccnz .LBB57_98
.LBB57_96:                              ;   in Loop: Header=BB57_89 Depth=1
	s_lshl_b32 s4, s19, 2
	s_add_i32 s4, s4, 0
	s_mov_b32 s5, s17
.LBB57_97:                              ;   Parent Loop BB57_89 Depth=1
                                        ; =>  This Inner Loop Header: Depth=2
	v_mov_b32_e32 v8, s4
	ds_read2_b32 v[8:9], v8 offset1:1
	s_add_i32 s4, s4, 8
	s_add_i32 s5, s5, -8
	s_cmp_lg_u32 s5, 0
	s_waitcnt lgkmcnt(0)
	v_cmp_gt_i32_e32 vcc, v7, v9
	v_addc_co_u32_e32 v5, vcc, 0, v5, vcc
	v_cmp_gt_i32_e32 vcc, v7, v8
	v_addc_co_u32_e32 v4, vcc, 0, v4, vcc
	s_cbranch_scc1 .LBB57_97
.LBB57_98:                              ;   in Loop: Header=BB57_89 Depth=1
	v_add_u32_e32 v4, v4, v5
	s_mov_b32 s19, s15
	s_mov_b64 s[4:5], s[10:11]
	s_and_b64 vcc, exec, s[4:5]
	s_cbranch_vccz .LBB57_88
.LBB57_99:                              ;   in Loop: Header=BB57_89 Depth=1
	s_lshl_b32 s4, s19, 2
	s_add_i32 s4, s4, 0
.LBB57_100:                             ;   Parent Loop BB57_89 Depth=1
                                        ; =>  This Inner Loop Header: Depth=2
	v_mov_b32_e32 v5, s4
	ds_read_b32 v5, v5
	s_add_i32 s19, s19, 1
	s_add_i32 s4, s4, 4
	s_cmp_ge_i32 s19, s14
	s_waitcnt lgkmcnt(0)
	v_cmp_gt_i32_e32 vcc, v7, v5
	v_addc_co_u32_e32 v4, vcc, 0, v4, vcc
	s_cbranch_scc0 .LBB57_100
	s_branch .LBB57_88
.LBB57_101:
	s_endpgm
	.section	.rodata,"a",@progbits
	.p2align	6, 0x0
	.amdhsa_kernel _ZN9rocsparseL26csrgemm_fill_block_per_rowILj1024ELj64ELj4096ELj137ELj64Eii21rocsparse_complex_numIfEEEvT5_PKS3_S5_NS_24const_host_device_scalarIT6_EEPKT4_S5_PKS7_SB_S5_SD_S8_SB_S5_SD_SB_PS3_PS7_21rocsparse_index_base_SG_SG_SG_bbb
		.amdhsa_group_segment_fixed_size 0
		.amdhsa_private_segment_fixed_size 0
		.amdhsa_kernarg_size 156
		.amdhsa_user_sgpr_count 6
		.amdhsa_user_sgpr_private_segment_buffer 1
		.amdhsa_user_sgpr_dispatch_ptr 0
		.amdhsa_user_sgpr_queue_ptr 0
		.amdhsa_user_sgpr_kernarg_segment_ptr 1
		.amdhsa_user_sgpr_dispatch_id 0
		.amdhsa_user_sgpr_flat_scratch_init 0
		.amdhsa_user_sgpr_kernarg_preload_length 0
		.amdhsa_user_sgpr_kernarg_preload_offset 0
		.amdhsa_user_sgpr_private_segment_size 0
		.amdhsa_uses_dynamic_stack 0
		.amdhsa_system_sgpr_private_segment_wavefront_offset 0
		.amdhsa_system_sgpr_workgroup_id_x 1
		.amdhsa_system_sgpr_workgroup_id_y 0
		.amdhsa_system_sgpr_workgroup_id_z 0
		.amdhsa_system_sgpr_workgroup_info 0
		.amdhsa_system_vgpr_workitem_id 0
		.amdhsa_next_free_vgpr 24
		.amdhsa_next_free_sgpr 57
		.amdhsa_accum_offset 24
		.amdhsa_reserve_vcc 1
		.amdhsa_reserve_flat_scratch 0
		.amdhsa_float_round_mode_32 0
		.amdhsa_float_round_mode_16_64 0
		.amdhsa_float_denorm_mode_32 3
		.amdhsa_float_denorm_mode_16_64 3
		.amdhsa_dx10_clamp 1
		.amdhsa_ieee_mode 1
		.amdhsa_fp16_overflow 0
		.amdhsa_tg_split 0
		.amdhsa_exception_fp_ieee_invalid_op 0
		.amdhsa_exception_fp_denorm_src 0
		.amdhsa_exception_fp_ieee_div_zero 0
		.amdhsa_exception_fp_ieee_overflow 0
		.amdhsa_exception_fp_ieee_underflow 0
		.amdhsa_exception_fp_ieee_inexact 0
		.amdhsa_exception_int_div_zero 0
	.end_amdhsa_kernel
	.section	.text._ZN9rocsparseL26csrgemm_fill_block_per_rowILj1024ELj64ELj4096ELj137ELj64Eii21rocsparse_complex_numIfEEEvT5_PKS3_S5_NS_24const_host_device_scalarIT6_EEPKT4_S5_PKS7_SB_S5_SD_S8_SB_S5_SD_SB_PS3_PS7_21rocsparse_index_base_SG_SG_SG_bbb,"axG",@progbits,_ZN9rocsparseL26csrgemm_fill_block_per_rowILj1024ELj64ELj4096ELj137ELj64Eii21rocsparse_complex_numIfEEEvT5_PKS3_S5_NS_24const_host_device_scalarIT6_EEPKT4_S5_PKS7_SB_S5_SD_S8_SB_S5_SD_SB_PS3_PS7_21rocsparse_index_base_SG_SG_SG_bbb,comdat
.Lfunc_end57:
	.size	_ZN9rocsparseL26csrgemm_fill_block_per_rowILj1024ELj64ELj4096ELj137ELj64Eii21rocsparse_complex_numIfEEEvT5_PKS3_S5_NS_24const_host_device_scalarIT6_EEPKT4_S5_PKS7_SB_S5_SD_S8_SB_S5_SD_SB_PS3_PS7_21rocsparse_index_base_SG_SG_SG_bbb, .Lfunc_end57-_ZN9rocsparseL26csrgemm_fill_block_per_rowILj1024ELj64ELj4096ELj137ELj64Eii21rocsparse_complex_numIfEEEvT5_PKS3_S5_NS_24const_host_device_scalarIT6_EEPKT4_S5_PKS7_SB_S5_SD_S8_SB_S5_SD_SB_PS3_PS7_21rocsparse_index_base_SG_SG_SG_bbb
                                        ; -- End function
	.section	.AMDGPU.csdata,"",@progbits
; Kernel info:
; codeLenInByte = 3420
; NumSgprs: 61
; NumVgprs: 24
; NumAgprs: 0
; TotalNumVgprs: 24
; ScratchSize: 0
; MemoryBound: 0
; FloatMode: 240
; IeeeMode: 1
; LDSByteSize: 0 bytes/workgroup (compile time only)
; SGPRBlocks: 7
; VGPRBlocks: 2
; NumSGPRsForWavesPerEU: 61
; NumVGPRsForWavesPerEU: 24
; AccumOffset: 24
; Occupancy: 8
; WaveLimiterHint : 1
; COMPUTE_PGM_RSRC2:SCRATCH_EN: 0
; COMPUTE_PGM_RSRC2:USER_SGPR: 6
; COMPUTE_PGM_RSRC2:TRAP_HANDLER: 0
; COMPUTE_PGM_RSRC2:TGID_X_EN: 1
; COMPUTE_PGM_RSRC2:TGID_Y_EN: 0
; COMPUTE_PGM_RSRC2:TGID_Z_EN: 0
; COMPUTE_PGM_RSRC2:TIDIG_COMP_CNT: 0
; COMPUTE_PGM_RSRC3_GFX90A:ACCUM_OFFSET: 5
; COMPUTE_PGM_RSRC3_GFX90A:TG_SPLIT: 0
	.section	.text._ZN9rocsparseL26csrgemm_fill_block_per_rowILj1024ELj64ELj8192ELj137ELj32Eii21rocsparse_complex_numIfEEEvT5_PKS3_S5_NS_24const_host_device_scalarIT6_EEPKT4_S5_PKS7_SB_S5_SD_S8_SB_S5_SD_SB_PS3_PS7_21rocsparse_index_base_SG_SG_SG_bbb,"axG",@progbits,_ZN9rocsparseL26csrgemm_fill_block_per_rowILj1024ELj64ELj8192ELj137ELj32Eii21rocsparse_complex_numIfEEEvT5_PKS3_S5_NS_24const_host_device_scalarIT6_EEPKT4_S5_PKS7_SB_S5_SD_S8_SB_S5_SD_SB_PS3_PS7_21rocsparse_index_base_SG_SG_SG_bbb,comdat
	.globl	_ZN9rocsparseL26csrgemm_fill_block_per_rowILj1024ELj64ELj8192ELj137ELj32Eii21rocsparse_complex_numIfEEEvT5_PKS3_S5_NS_24const_host_device_scalarIT6_EEPKT4_S5_PKS7_SB_S5_SD_S8_SB_S5_SD_SB_PS3_PS7_21rocsparse_index_base_SG_SG_SG_bbb ; -- Begin function _ZN9rocsparseL26csrgemm_fill_block_per_rowILj1024ELj64ELj8192ELj137ELj32Eii21rocsparse_complex_numIfEEEvT5_PKS3_S5_NS_24const_host_device_scalarIT6_EEPKT4_S5_PKS7_SB_S5_SD_S8_SB_S5_SD_SB_PS3_PS7_21rocsparse_index_base_SG_SG_SG_bbb
	.p2align	8
	.type	_ZN9rocsparseL26csrgemm_fill_block_per_rowILj1024ELj64ELj8192ELj137ELj32Eii21rocsparse_complex_numIfEEEvT5_PKS3_S5_NS_24const_host_device_scalarIT6_EEPKT4_S5_PKS7_SB_S5_SD_S8_SB_S5_SD_SB_PS3_PS7_21rocsparse_index_base_SG_SG_SG_bbb,@function
_ZN9rocsparseL26csrgemm_fill_block_per_rowILj1024ELj64ELj8192ELj137ELj32Eii21rocsparse_complex_numIfEEEvT5_PKS3_S5_NS_24const_host_device_scalarIT6_EEPKT4_S5_PKS7_SB_S5_SD_S8_SB_S5_SD_SB_PS3_PS7_21rocsparse_index_base_SG_SG_SG_bbb: ; @_ZN9rocsparseL26csrgemm_fill_block_per_rowILj1024ELj64ELj8192ELj137ELj32Eii21rocsparse_complex_numIfEEEvT5_PKS3_S5_NS_24const_host_device_scalarIT6_EEPKT4_S5_PKS7_SB_S5_SD_S8_SB_S5_SD_SB_PS3_PS7_21rocsparse_index_base_SG_SG_SG_bbb
; %bb.0:
	s_load_dwordx8 s[44:51], s[4:5], 0x60
	s_load_dwordx8 s[8:15], s[4:5], 0x40
	s_load_dword s7, s[4:5], 0x98
	s_load_dwordx4 s[24:27], s[4:5], 0x8
	s_load_dwordx8 s[16:23], s[4:5], 0x20
	s_load_dwordx2 s[0:1], s[4:5], 0x80
                                        ; implicit-def: $vgpr24 : SGPR spill to VGPR lane
	s_load_dwordx4 s[72:75], s[4:5], 0x88
	s_waitcnt lgkmcnt(0)
	s_bitcmp1_b32 s7, 0
	s_cselect_b64 s[30:31], -1, 0
	s_bitcmp1_b32 s7, 16
	v_writelane_b32 v24, s0, 0
	v_writelane_b32 v24, s1, 1
	s_cselect_b64 s[0:1], -1, 0
	s_xor_b64 s[0:1], s[0:1], -1
	v_cndmask_b32_e64 v1, 0, 1, s[0:1]
	s_mov_b32 s3, 0
	s_bitcmp0_b32 s7, 0
	v_cmp_ne_u32_e64 s[0:1], 1, v1
	s_mov_b32 s40, 0
	s_cbranch_scc1 .LBB58_5
; %bb.1:
	s_load_dwordx2 s[2:3], s[4:5], 0x18
	s_and_b64 vcc, exec, s[0:1]
	s_waitcnt lgkmcnt(0)
	s_mov_b32 s40, s2
	s_cbranch_vccnz .LBB58_3
; %bb.2:
	s_load_dword s40, s[2:3], 0x0
.LBB58_3:
	s_and_b64 vcc, exec, s[0:1]
	s_cbranch_vccnz .LBB58_5
; %bb.4:
	s_load_dword s3, s[2:3], 0x4
.LBB58_5:
	s_bitcmp1_b32 s7, 8
	s_cselect_b64 s[28:29], -1, 0
	s_bfe_u32 s2, s7, 0x10008
	s_mov_b32 s39, 0
	s_cmp_eq_u32 s2, 0
	s_mov_b32 s38, 0
	s_cbranch_scc1 .LBB58_11
; %bb.6:
	s_and_b64 vcc, exec, s[0:1]
	s_mov_b32 s38, s12
	s_cbranch_vccnz .LBB58_8
; %bb.7:
	s_load_dword s38, s[12:13], 0x0
.LBB58_8:
	s_and_b64 vcc, exec, s[0:1]
	s_cbranch_vccnz .LBB58_10
; %bb.9:
	s_load_dword s13, s[12:13], 0x4
.LBB58_10:
	s_waitcnt lgkmcnt(0)
	s_mov_b32 s39, s13
.LBB58_11:
	s_load_dword s33, s[4:5], 0x0
	v_lshlrev_b32_e32 v2, 2, v0
	s_mov_b32 s0, 0x8000
	v_add_u32_e32 v1, 0, v2
	v_add3_u32 v2, v1, v2, s0
	v_mov_b32_e32 v4, 0
	s_waitcnt lgkmcnt(0)
	v_mov_b32_e32 v3, s33
	ds_write2_b32 v2, v4, v4 offset1:1
	v_mov_b32_e32 v2, s33
	s_add_i32 s0, 0, 0x8000
	ds_write2st64_b32 v1, v3, v2 offset1:16
	v_lshl_add_u32 v2, v0, 3, s0
	v_add_u32_e32 v3, 0x2000, v2
	v_add_u32_e32 v5, 0x4000, v2
	ds_write2_b32 v3, v4, v4 offset1:1
	v_mov_b32_e32 v3, s33
	ds_write2_b32 v5, v4, v4 offset1:1
	v_mov_b32_e32 v5, s33
	ds_write2st64_b32 v1, v3, v5 offset0:32 offset1:48
	v_add_u32_e32 v3, 0x6000, v2
	v_add_u32_e32 v5, 0x8000, v2
	ds_write2_b32 v3, v4, v4 offset1:1
	v_mov_b32_e32 v3, s33
	ds_write2_b32 v5, v4, v4 offset1:1
	v_mov_b32_e32 v5, s33
	ds_write2st64_b32 v1, v3, v5 offset0:64 offset1:80
	v_add_u32_e32 v3, 0xa000, v2
	v_add_u32_e32 v5, 0xc000, v2
	ds_write2_b32 v3, v4, v4 offset1:1
	v_mov_b32_e32 v3, s33
	ds_write2_b32 v5, v4, v4 offset1:1
	v_mov_b32_e32 v5, s33
	v_add_u32_e32 v2, 0xe000, v2
	ds_write2st64_b32 v1, v3, v5 offset0:96 offset1:112
	ds_write2_b32 v2, v4, v4 offset1:1
	s_waitcnt lgkmcnt(0)
	s_barrier
	s_load_dword s0, s[24:25], 0x0
	s_mov_b32 s1, 0
	s_waitcnt lgkmcnt(0)
	s_add_i32 s0, s0, s6
	s_lshl_b64 s[0:1], s[0:1], 2
	s_add_u32 s0, s26, s0
	s_addc_u32 s1, s27, s1
	s_load_dword s52, s[0:1], 0x0
	s_andn2_b64 vcc, exec, s[30:31]
	s_cbranch_vccnz .LBB58_31
; %bb.12:
	s_waitcnt lgkmcnt(0)
	s_ashr_i32 s53, s52, 31
	s_lshl_b64 s[0:1], s[52:53], 2
	s_add_u32 s0, s16, s0
	s_addc_u32 s1, s17, s1
	s_load_dwordx2 s[0:1], s[0:1], 0x0
	v_lshrrev_b32_e32 v2, 6, v0
	v_subrev_u32_e32 v2, s72, v2
	s_waitcnt lgkmcnt(0)
	s_sub_i32 s2, s1, s72
	v_add_u32_e32 v2, s0, v2
	v_cmp_gt_i32_e32 vcc, s2, v2
	s_and_saveexec_b64 s[0:1], vcc
	s_cbranch_execz .LBB58_30
; %bb.13:
	v_and_b32_e32 v3, 63, v0
	v_subrev_u32_e32 v6, s73, v3
	s_mov_b64 s[4:5], 0
	v_mov_b32_e32 v7, s19
	v_mov_b32_e32 v8, s23
	s_movk_i32 s19, 0x89
	s_branch .LBB58_15
.LBB58_14:                              ;   in Loop: Header=BB58_15 Depth=1
	s_or_b64 exec, exec, s[6:7]
	v_add_u32_e32 v2, 16, v2
	v_cmp_le_i32_e32 vcc, s2, v2
	s_or_b64 s[4:5], vcc, s[4:5]
	s_andn2_b64 exec, exec, s[4:5]
	s_cbranch_execz .LBB58_30
.LBB58_15:                              ; =>This Loop Header: Depth=1
                                        ;     Child Loop BB58_18 Depth 2
                                        ;       Child Loop BB58_20 Depth 3
	v_ashrrev_i32_e32 v3, 31, v2
	v_lshlrev_b64 v[4:5], 2, v[2:3]
	v_add_co_u32_e32 v4, vcc, s18, v4
	v_addc_co_u32_e32 v5, vcc, v7, v5, vcc
	global_load_dword v4, v[4:5], off
	s_waitcnt vmcnt(0)
	v_subrev_u32_e32 v4, s72, v4
	v_ashrrev_i32_e32 v5, 31, v4
	v_lshlrev_b64 v[4:5], 2, v[4:5]
	v_add_co_u32_e32 v4, vcc, s22, v4
	v_addc_co_u32_e32 v5, vcc, v8, v5, vcc
	global_load_dwordx2 v[4:5], v[4:5], off
	s_waitcnt vmcnt(0)
	v_subrev_u32_e32 v9, s73, v5
	v_add_u32_e32 v4, v4, v6
	v_cmp_lt_i32_e32 vcc, v4, v9
	s_and_saveexec_b64 s[6:7], vcc
	s_cbranch_execz .LBB58_14
; %bb.16:                               ;   in Loop: Header=BB58_15 Depth=1
	v_lshlrev_b64 v[10:11], 3, v[2:3]
	v_mov_b32_e32 v3, s21
	v_add_co_u32_e32 v10, vcc, s20, v10
	v_addc_co_u32_e32 v11, vcc, v3, v11, vcc
	global_load_dwordx2 v[12:13], v[10:11], off
	s_mov_b64 s[12:13], 0
	s_waitcnt vmcnt(0)
	v_mul_f32_e64 v3, v13, -s3
	v_mul_f32_e32 v10, s40, v13
	v_fmac_f32_e32 v3, s40, v12
	v_fmac_f32_e32 v10, s3, v12
	s_branch .LBB58_18
.LBB58_17:                              ;   in Loop: Header=BB58_18 Depth=2
	s_or_b64 exec, exec, s[16:17]
	v_add_u32_e32 v4, 64, v4
	v_cmp_ge_i32_e32 vcc, v4, v9
	s_or_b64 s[12:13], vcc, s[12:13]
	s_andn2_b64 exec, exec, s[12:13]
	s_cbranch_execz .LBB58_14
.LBB58_18:                              ;   Parent Loop BB58_15 Depth=1
                                        ; =>  This Loop Header: Depth=2
                                        ;       Child Loop BB58_20 Depth 3
	v_ashrrev_i32_e32 v5, 31, v4
	v_lshlrev_b64 v[12:13], 2, v[4:5]
	v_mov_b32_e32 v11, s9
	v_add_co_u32_e32 v12, vcc, s8, v12
	v_addc_co_u32_e32 v13, vcc, v11, v13, vcc
	global_load_dword v11, v[12:13], off
	v_lshlrev_b64 v[12:13], 3, v[4:5]
	v_mov_b32_e32 v5, s11
	v_add_co_u32_e32 v12, vcc, s10, v12
	v_addc_co_u32_e32 v13, vcc, v5, v13, vcc
	global_load_dwordx2 v[14:15], v[12:13], off
	s_mov_b64 s[16:17], 0
	s_waitcnt vmcnt(1)
	v_subrev_u32_e32 v5, s73, v11
	v_mul_lo_u32 v13, v5, s19
	v_and_b32_e32 v13, 0x1fff, v13
	s_waitcnt vmcnt(0)
	v_mul_f32_e64 v11, v15, -v10
	v_mul_f32_e32 v12, v3, v15
	v_fmac_f32_e32 v11, v3, v14
	v_fmac_f32_e32 v12, v10, v14
	s_branch .LBB58_20
.LBB58_19:                              ;   in Loop: Header=BB58_20 Depth=3
	s_or_b64 exec, exec, s[24:25]
	s_xor_b64 s[24:25], s[26:27], -1
	s_and_b64 s[24:25], exec, s[24:25]
	s_or_b64 s[16:17], s[24:25], s[16:17]
	s_andn2_b64 exec, exec, s[16:17]
	s_cbranch_execz .LBB58_17
.LBB58_20:                              ;   Parent Loop BB58_15 Depth=1
                                        ;     Parent Loop BB58_18 Depth=2
                                        ; =>    This Inner Loop Header: Depth=3
	v_lshl_add_u32 v14, v13, 2, 0
	ds_read_b32 v15, v14
                                        ; implicit-def: $sgpr26_sgpr27
	s_waitcnt lgkmcnt(0)
	v_cmp_ne_u32_e32 vcc, v15, v5
	s_and_saveexec_b64 s[24:25], vcc
	s_xor_b64 s[24:25], exec, s[24:25]
	s_cbranch_execz .LBB58_28
; %bb.21:                               ;   in Loop: Header=BB58_20 Depth=3
	v_cmp_ne_u32_e32 vcc, s33, v15
                                        ; implicit-def: $sgpr26_sgpr27
	s_and_saveexec_b64 s[30:31], vcc
	s_xor_b64 s[30:31], exec, s[30:31]
; %bb.22:                               ;   in Loop: Header=BB58_20 Depth=3
	v_add_u32_e32 v13, 1, v13
	v_and_b32_e32 v13, 0x1fff, v13
	s_mov_b64 s[26:27], -1
                                        ; implicit-def: $vgpr14
; %bb.23:                               ;   in Loop: Header=BB58_20 Depth=3
	s_andn2_saveexec_b64 s[30:31], s[30:31]
	s_cbranch_execz .LBB58_27
; %bb.24:                               ;   in Loop: Header=BB58_20 Depth=3
	v_mov_b32_e32 v15, s33
	ds_cmpst_rtn_b32 v15, v14, v15, v5
	s_mov_b64 s[34:35], -1
	s_waitcnt lgkmcnt(0)
	v_cmp_eq_u32_e32 vcc, s33, v15
	s_and_saveexec_b64 s[36:37], vcc
	s_cbranch_execz .LBB58_26
; %bb.25:                               ;   in Loop: Header=BB58_20 Depth=3
	v_lshl_add_u32 v14, v13, 2, v14
	ds_add_f32 v14, v11 offset:32768
	ds_add_f32 v14, v12 offset:32772
	s_xor_b64 s[34:35], exec, -1
.LBB58_26:                              ;   in Loop: Header=BB58_20 Depth=3
	s_or_b64 exec, exec, s[36:37]
	s_andn2_b64 s[26:27], s[26:27], exec
	s_and_b64 s[34:35], s[34:35], exec
	s_or_b64 s[26:27], s[26:27], s[34:35]
.LBB58_27:                              ;   in Loop: Header=BB58_20 Depth=3
	s_or_b64 exec, exec, s[30:31]
	s_and_b64 s[26:27], s[26:27], exec
                                        ; implicit-def: $vgpr14
.LBB58_28:                              ;   in Loop: Header=BB58_20 Depth=3
	s_andn2_saveexec_b64 s[24:25], s[24:25]
	s_cbranch_execz .LBB58_19
; %bb.29:                               ;   in Loop: Header=BB58_20 Depth=3
	v_lshl_add_u32 v14, v13, 2, v14
	ds_add_f32 v14, v11 offset:32768
	ds_add_f32 v14, v12 offset:32772
	s_andn2_b64 s[26:27], s[26:27], exec
	s_branch .LBB58_19
.LBB58_30:
	s_or_b64 exec, exec, s[0:1]
.LBB58_31:
	s_andn2_b64 vcc, exec, s[28:29]
	s_cbranch_vccnz .LBB58_48
; %bb.32:
	s_waitcnt lgkmcnt(0)
	s_ashr_i32 s53, s52, 31
	s_lshl_b64 s[0:1], s[52:53], 2
	s_add_u32 s0, s14, s0
	s_addc_u32 s1, s15, s1
	s_load_dwordx2 s[0:1], s[0:1], 0x0
	v_subrev_u32_e32 v2, s75, v0
	s_waitcnt lgkmcnt(0)
	s_sub_i32 s16, s1, s75
	v_add_u32_e32 v2, s0, v2
	v_cmp_gt_i32_e32 vcc, s16, v2
	s_and_saveexec_b64 s[0:1], vcc
	s_cbranch_execz .LBB58_47
; %bb.33:
	s_mov_b64 s[2:3], 0
	v_mov_b32_e32 v4, s45
	v_mov_b32_e32 v5, s47
	s_movk_i32 s17, 0x89
	s_branch .LBB58_35
.LBB58_34:                              ;   in Loop: Header=BB58_35 Depth=1
	s_or_b64 exec, exec, s[4:5]
	v_add_u32_e32 v2, 0x400, v2
	v_cmp_le_i32_e32 vcc, s16, v2
	s_or_b64 s[2:3], vcc, s[2:3]
	s_andn2_b64 exec, exec, s[2:3]
	s_cbranch_execz .LBB58_47
.LBB58_35:                              ; =>This Loop Header: Depth=1
                                        ;     Child Loop BB58_37 Depth 2
	v_ashrrev_i32_e32 v3, 31, v2
	v_lshlrev_b64 v[6:7], 2, v[2:3]
	v_add_co_u32_e32 v6, vcc, s44, v6
	v_addc_co_u32_e32 v7, vcc, v4, v7, vcc
	global_load_dword v10, v[6:7], off
	v_lshlrev_b64 v[6:7], 3, v[2:3]
	v_add_co_u32_e32 v6, vcc, s46, v6
	v_addc_co_u32_e32 v7, vcc, v5, v7, vcc
	global_load_dwordx2 v[8:9], v[6:7], off
	s_mov_b64 s[4:5], 0
	s_waitcnt vmcnt(1)
	v_subrev_u32_e32 v3, s75, v10
	s_waitcnt vmcnt(0)
	v_mul_f32_e64 v6, v9, -s39
	v_mul_f32_e32 v7, s38, v9
	v_fmac_f32_e32 v6, s38, v8
	v_fmac_f32_e32 v7, s39, v8
	v_mul_lo_u32 v8, v3, s17
	v_and_b32_e32 v8, 0x1fff, v8
	s_branch .LBB58_37
.LBB58_36:                              ;   in Loop: Header=BB58_37 Depth=2
	s_or_b64 exec, exec, s[6:7]
	s_xor_b64 s[6:7], s[8:9], -1
	s_and_b64 s[6:7], exec, s[6:7]
	s_or_b64 s[4:5], s[6:7], s[4:5]
	s_andn2_b64 exec, exec, s[4:5]
	s_cbranch_execz .LBB58_34
.LBB58_37:                              ;   Parent Loop BB58_35 Depth=1
                                        ; =>  This Inner Loop Header: Depth=2
	v_lshl_add_u32 v9, v8, 2, 0
	ds_read_b32 v10, v9
                                        ; implicit-def: $sgpr8_sgpr9
	s_waitcnt lgkmcnt(0)
	v_cmp_ne_u32_e32 vcc, v10, v3
	s_and_saveexec_b64 s[6:7], vcc
	s_xor_b64 s[6:7], exec, s[6:7]
	s_cbranch_execz .LBB58_45
; %bb.38:                               ;   in Loop: Header=BB58_37 Depth=2
	v_cmp_ne_u32_e32 vcc, s33, v10
                                        ; implicit-def: $sgpr8_sgpr9
	s_and_saveexec_b64 s[10:11], vcc
	s_xor_b64 s[10:11], exec, s[10:11]
; %bb.39:                               ;   in Loop: Header=BB58_37 Depth=2
	v_add_u32_e32 v8, 1, v8
	v_and_b32_e32 v8, 0x1fff, v8
	s_mov_b64 s[8:9], -1
                                        ; implicit-def: $vgpr9
; %bb.40:                               ;   in Loop: Header=BB58_37 Depth=2
	s_andn2_saveexec_b64 s[10:11], s[10:11]
	s_cbranch_execz .LBB58_44
; %bb.41:                               ;   in Loop: Header=BB58_37 Depth=2
	v_mov_b32_e32 v10, s33
	ds_cmpst_rtn_b32 v10, v9, v10, v3
	s_mov_b64 s[12:13], -1
	s_waitcnt lgkmcnt(0)
	v_cmp_eq_u32_e32 vcc, s33, v10
	s_and_saveexec_b64 s[14:15], vcc
	s_cbranch_execz .LBB58_43
; %bb.42:                               ;   in Loop: Header=BB58_37 Depth=2
	v_lshl_add_u32 v9, v8, 2, v9
	ds_add_f32 v9, v6 offset:32768
	ds_add_f32 v9, v7 offset:32772
	s_xor_b64 s[12:13], exec, -1
.LBB58_43:                              ;   in Loop: Header=BB58_37 Depth=2
	s_or_b64 exec, exec, s[14:15]
	s_andn2_b64 s[8:9], s[8:9], exec
	s_and_b64 s[12:13], s[12:13], exec
	s_or_b64 s[8:9], s[8:9], s[12:13]
.LBB58_44:                              ;   in Loop: Header=BB58_37 Depth=2
	s_or_b64 exec, exec, s[10:11]
	s_and_b64 s[8:9], s[8:9], exec
                                        ; implicit-def: $vgpr9
.LBB58_45:                              ;   in Loop: Header=BB58_37 Depth=2
	s_andn2_saveexec_b64 s[6:7], s[6:7]
	s_cbranch_execz .LBB58_36
; %bb.46:                               ;   in Loop: Header=BB58_37 Depth=2
	v_lshl_add_u32 v9, v8, 2, v9
	ds_add_f32 v9, v6 offset:32768
	ds_add_f32 v9, v7 offset:32772
	s_andn2_b64 s[8:9], s[8:9], exec
	s_branch .LBB58_36
.LBB58_47:
	s_or_b64 exec, exec, s[0:1]
.LBB58_48:
	s_waitcnt lgkmcnt(0)
	v_writelane_b32 v24, s52, 2
	v_writelane_b32 v24, s53, 3
	;; [unrolled: 1-line block ×10, first 2 shown]
	s_add_i32 s0, 0, 0x18000
	v_writelane_b32 v24, s0, 12
	s_add_i32 s60, 0, 0x18004
	v_writelane_b32 v24, s60, 13
	;; [unrolled: 2-line block ×5, first 2 shown]
	s_add_i32 s60, 0, 0x18014
	v_lshrrev_b32_e32 v4, 3, v0
	v_writelane_b32 v24, s60, 17
	s_add_i32 s60, 0, 0x18018
	v_mbcnt_lo_u32_b32 v2, -1, 0
	v_and_b32_e32 v4, 0x7c, v4
	v_writelane_b32 v24, s60, 18
	s_add_i32 s60, 0, 0x1801c
	v_mbcnt_hi_u32_b32 v2, -1, v2
	v_add_u32_e32 v7, s0, v4
	s_movk_i32 s0, 0x3ff
	v_writelane_b32 v24, s60, 19
	s_add_i32 s60, 0, 0x18020
	v_sub_u32_e32 v2, 63, v2
	v_cmp_eq_u32_e32 vcc, s0, v0
	s_movk_i32 s0, 0x5f
	s_movk_i32 s2, 0x7f
	;; [unrolled: 1-line block ×29, first 2 shown]
	v_lshl_add_u32 v4, v0, 3, 0
	v_writelane_b32 v24, s60, 20
	s_add_i32 s60, 0, 0x18024
	v_mov_b32_e32 v6, 0
	v_lshrrev_b64 v[2:3], v2, -1
	v_cmp_lt_u32_e64 s[0:1], s0, v0
	v_cmp_lt_u32_e64 s[2:3], s2, v0
	;; [unrolled: 1-line block ×29, first 2 shown]
	v_add_u32_e32 v8, 0x8000, v4
	v_or_b32_e32 v9, 0xfffffc00, v0
	v_writelane_b32 v24, s60, 21
	s_add_i32 s88, 0, 0x18028
	s_add_i32 s89, 0, 0x1802c
	;; [unrolled: 1-line block ×22, first 2 shown]
	s_movk_i32 s85, 0x1bff
	v_cmp_lt_u32_e64 s[60:61], 31, v0
	v_cmp_lt_u32_e64 s[62:63], 63, v0
	s_mov_b64 s[66:67], 0
	s_barrier
	s_branch .LBB58_50
.LBB58_49:                              ;   in Loop: Header=BB58_50 Depth=1
	s_or_b64 exec, exec, s[64:65]
	v_mov_b32_e32 v4, s84
	s_waitcnt lgkmcnt(0)
	s_barrier
	ds_read_b32 v4, v4
	v_add_u32_e32 v9, 0x400, v9
	v_cmp_lt_u32_e64 s[64:65], s85, v9
	v_add_u32_e32 v8, 0x2000, v8
	s_or_b64 s[66:67], s[64:65], s[66:67]
	s_waitcnt lgkmcnt(0)
	v_add_u32_e32 v6, v4, v6
	v_add_u32_e32 v1, 0x1000, v1
	s_andn2_b64 exec, exec, s[66:67]
	s_cbranch_execz .LBB58_116
.LBB58_50:                              ; =>This Inner Loop Header: Depth=1
	ds_read_b32 v10, v1
	ds_read2_b32 v[4:5], v8 offset1:1
	s_waitcnt lgkmcnt(0)
	s_barrier
	v_cmp_gt_i32_e64 s[64:65], s33, v10
	v_and_b32_e32 v12, s64, v2
	s_bcnt1_i32_b64 s72, s[64:65]
	v_and_b32_e32 v11, s65, v3
	v_bcnt_u32_b32 v12, v12, 0
	v_bcnt_u32_b32 v11, v11, v12
	v_mov_b32_e32 v12, s72
	ds_write_b32 v7, v12
	s_waitcnt lgkmcnt(0)
	s_barrier
	s_and_saveexec_b64 s[72:73], s[60:61]
	s_cbranch_execnz .LBB58_83
; %bb.51:                               ;   in Loop: Header=BB58_50 Depth=1
	s_or_b64 exec, exec, s[72:73]
	s_and_saveexec_b64 s[72:73], s[62:63]
	s_cbranch_execnz .LBB58_84
.LBB58_52:                              ;   in Loop: Header=BB58_50 Depth=1
	s_or_b64 exec, exec, s[72:73]
	s_and_saveexec_b64 s[72:73], s[0:1]
	s_cbranch_execnz .LBB58_85
.LBB58_53:                              ;   in Loop: Header=BB58_50 Depth=1
	s_or_b64 exec, exec, s[72:73]
	s_and_saveexec_b64 s[72:73], s[2:3]
	s_cbranch_execnz .LBB58_86
.LBB58_54:                              ;   in Loop: Header=BB58_50 Depth=1
	s_or_b64 exec, exec, s[72:73]
	s_and_saveexec_b64 s[72:73], s[4:5]
	s_cbranch_execnz .LBB58_87
.LBB58_55:                              ;   in Loop: Header=BB58_50 Depth=1
	s_or_b64 exec, exec, s[72:73]
	s_and_saveexec_b64 s[72:73], s[6:7]
	s_cbranch_execnz .LBB58_88
.LBB58_56:                              ;   in Loop: Header=BB58_50 Depth=1
	s_or_b64 exec, exec, s[72:73]
	s_and_saveexec_b64 s[72:73], s[8:9]
	s_cbranch_execnz .LBB58_89
.LBB58_57:                              ;   in Loop: Header=BB58_50 Depth=1
	s_or_b64 exec, exec, s[72:73]
	s_and_saveexec_b64 s[72:73], s[10:11]
	s_cbranch_execnz .LBB58_90
.LBB58_58:                              ;   in Loop: Header=BB58_50 Depth=1
	s_or_b64 exec, exec, s[72:73]
	s_and_saveexec_b64 s[72:73], s[12:13]
	s_cbranch_execnz .LBB58_91
.LBB58_59:                              ;   in Loop: Header=BB58_50 Depth=1
	s_or_b64 exec, exec, s[72:73]
	s_and_saveexec_b64 s[72:73], s[14:15]
	s_cbranch_execnz .LBB58_92
.LBB58_60:                              ;   in Loop: Header=BB58_50 Depth=1
	s_or_b64 exec, exec, s[72:73]
	s_and_saveexec_b64 s[72:73], s[16:17]
	s_cbranch_execnz .LBB58_93
.LBB58_61:                              ;   in Loop: Header=BB58_50 Depth=1
	s_or_b64 exec, exec, s[72:73]
	s_and_saveexec_b64 s[72:73], s[18:19]
	s_cbranch_execnz .LBB58_94
.LBB58_62:                              ;   in Loop: Header=BB58_50 Depth=1
	s_or_b64 exec, exec, s[72:73]
	s_and_saveexec_b64 s[72:73], s[20:21]
	s_cbranch_execnz .LBB58_95
.LBB58_63:                              ;   in Loop: Header=BB58_50 Depth=1
	s_or_b64 exec, exec, s[72:73]
	s_and_saveexec_b64 s[72:73], s[22:23]
	s_cbranch_execnz .LBB58_96
.LBB58_64:                              ;   in Loop: Header=BB58_50 Depth=1
	s_or_b64 exec, exec, s[72:73]
	s_and_saveexec_b64 s[72:73], s[24:25]
	s_cbranch_execnz .LBB58_97
.LBB58_65:                              ;   in Loop: Header=BB58_50 Depth=1
	s_or_b64 exec, exec, s[72:73]
	s_and_saveexec_b64 s[72:73], s[26:27]
	s_cbranch_execnz .LBB58_98
.LBB58_66:                              ;   in Loop: Header=BB58_50 Depth=1
	s_or_b64 exec, exec, s[72:73]
	s_and_saveexec_b64 s[72:73], s[28:29]
	s_cbranch_execnz .LBB58_99
.LBB58_67:                              ;   in Loop: Header=BB58_50 Depth=1
	s_or_b64 exec, exec, s[72:73]
	s_and_saveexec_b64 s[72:73], s[30:31]
	s_cbranch_execnz .LBB58_100
.LBB58_68:                              ;   in Loop: Header=BB58_50 Depth=1
	s_or_b64 exec, exec, s[72:73]
	s_and_saveexec_b64 s[72:73], s[34:35]
	s_cbranch_execnz .LBB58_101
.LBB58_69:                              ;   in Loop: Header=BB58_50 Depth=1
	s_or_b64 exec, exec, s[72:73]
	s_and_saveexec_b64 s[72:73], s[36:37]
	s_cbranch_execnz .LBB58_102
.LBB58_70:                              ;   in Loop: Header=BB58_50 Depth=1
	s_or_b64 exec, exec, s[72:73]
	s_and_saveexec_b64 s[72:73], s[38:39]
	s_cbranch_execnz .LBB58_103
.LBB58_71:                              ;   in Loop: Header=BB58_50 Depth=1
	s_or_b64 exec, exec, s[72:73]
	s_and_saveexec_b64 s[72:73], s[40:41]
	s_cbranch_execnz .LBB58_104
.LBB58_72:                              ;   in Loop: Header=BB58_50 Depth=1
	s_or_b64 exec, exec, s[72:73]
	s_and_saveexec_b64 s[72:73], s[42:43]
	s_cbranch_execnz .LBB58_105
.LBB58_73:                              ;   in Loop: Header=BB58_50 Depth=1
	s_or_b64 exec, exec, s[72:73]
	s_and_saveexec_b64 s[72:73], s[44:45]
	s_cbranch_execnz .LBB58_106
.LBB58_74:                              ;   in Loop: Header=BB58_50 Depth=1
	s_or_b64 exec, exec, s[72:73]
	s_and_saveexec_b64 s[72:73], s[46:47]
	s_cbranch_execnz .LBB58_107
.LBB58_75:                              ;   in Loop: Header=BB58_50 Depth=1
	s_or_b64 exec, exec, s[72:73]
	s_and_saveexec_b64 s[72:73], s[48:49]
	s_cbranch_execnz .LBB58_108
.LBB58_76:                              ;   in Loop: Header=BB58_50 Depth=1
	s_or_b64 exec, exec, s[72:73]
	s_and_saveexec_b64 s[72:73], s[50:51]
	s_cbranch_execnz .LBB58_109
.LBB58_77:                              ;   in Loop: Header=BB58_50 Depth=1
	s_or_b64 exec, exec, s[72:73]
	s_and_saveexec_b64 s[72:73], s[52:53]
	s_cbranch_execnz .LBB58_110
.LBB58_78:                              ;   in Loop: Header=BB58_50 Depth=1
	s_or_b64 exec, exec, s[72:73]
	s_and_saveexec_b64 s[72:73], s[54:55]
	s_cbranch_execnz .LBB58_111
.LBB58_79:                              ;   in Loop: Header=BB58_50 Depth=1
	s_or_b64 exec, exec, s[72:73]
	s_and_saveexec_b64 s[72:73], s[56:57]
	s_cbranch_execnz .LBB58_112
.LBB58_80:                              ;   in Loop: Header=BB58_50 Depth=1
	s_or_b64 exec, exec, s[72:73]
	s_and_saveexec_b64 s[72:73], s[58:59]
	s_cbranch_execnz .LBB58_113
.LBB58_81:                              ;   in Loop: Header=BB58_50 Depth=1
	s_or_b64 exec, exec, s[72:73]
	s_and_saveexec_b64 s[72:73], s[64:65]
	s_cbranch_execnz .LBB58_114
.LBB58_82:                              ;   in Loop: Header=BB58_50 Depth=1
	s_or_b64 exec, exec, s[72:73]
	s_and_saveexec_b64 s[64:65], vcc
	s_cbranch_execz .LBB58_49
	s_branch .LBB58_115
.LBB58_83:                              ;   in Loop: Header=BB58_50 Depth=1
	v_readlane_b32 s86, v24, 12
	v_mov_b32_e32 v12, s86
	ds_read_b32 v12, v12
	s_waitcnt lgkmcnt(0)
	v_add_u32_e32 v11, v12, v11
	s_or_b64 exec, exec, s[72:73]
	s_and_saveexec_b64 s[72:73], s[62:63]
	s_cbranch_execz .LBB58_52
.LBB58_84:                              ;   in Loop: Header=BB58_50 Depth=1
	v_readlane_b32 s86, v24, 13
	v_mov_b32_e32 v12, s86
	ds_read_b32 v12, v12
	s_waitcnt lgkmcnt(0)
	v_add_u32_e32 v11, v12, v11
	s_or_b64 exec, exec, s[72:73]
	s_and_saveexec_b64 s[72:73], s[0:1]
	s_cbranch_execz .LBB58_53
.LBB58_85:                              ;   in Loop: Header=BB58_50 Depth=1
	v_readlane_b32 s86, v24, 14
	v_mov_b32_e32 v12, s86
	ds_read_b32 v12, v12
	s_waitcnt lgkmcnt(0)
	v_add_u32_e32 v11, v12, v11
	s_or_b64 exec, exec, s[72:73]
	s_and_saveexec_b64 s[72:73], s[2:3]
	s_cbranch_execz .LBB58_54
.LBB58_86:                              ;   in Loop: Header=BB58_50 Depth=1
	v_readlane_b32 s86, v24, 15
	v_mov_b32_e32 v12, s86
	ds_read_b32 v12, v12
	s_waitcnt lgkmcnt(0)
	v_add_u32_e32 v11, v12, v11
	s_or_b64 exec, exec, s[72:73]
	s_and_saveexec_b64 s[72:73], s[4:5]
	s_cbranch_execz .LBB58_55
.LBB58_87:                              ;   in Loop: Header=BB58_50 Depth=1
	v_readlane_b32 s86, v24, 16
	v_mov_b32_e32 v12, s86
	ds_read_b32 v12, v12
	s_waitcnt lgkmcnt(0)
	v_add_u32_e32 v11, v12, v11
	s_or_b64 exec, exec, s[72:73]
	s_and_saveexec_b64 s[72:73], s[6:7]
	s_cbranch_execz .LBB58_56
.LBB58_88:                              ;   in Loop: Header=BB58_50 Depth=1
	v_readlane_b32 s86, v24, 17
	v_mov_b32_e32 v12, s86
	ds_read_b32 v12, v12
	s_waitcnt lgkmcnt(0)
	v_add_u32_e32 v11, v12, v11
	s_or_b64 exec, exec, s[72:73]
	s_and_saveexec_b64 s[72:73], s[8:9]
	s_cbranch_execz .LBB58_57
.LBB58_89:                              ;   in Loop: Header=BB58_50 Depth=1
	v_readlane_b32 s86, v24, 18
	v_mov_b32_e32 v12, s86
	ds_read_b32 v12, v12
	s_waitcnt lgkmcnt(0)
	v_add_u32_e32 v11, v12, v11
	s_or_b64 exec, exec, s[72:73]
	s_and_saveexec_b64 s[72:73], s[10:11]
	s_cbranch_execz .LBB58_58
.LBB58_90:                              ;   in Loop: Header=BB58_50 Depth=1
	v_readlane_b32 s86, v24, 19
	v_mov_b32_e32 v12, s86
	ds_read_b32 v12, v12
	s_waitcnt lgkmcnt(0)
	v_add_u32_e32 v11, v12, v11
	s_or_b64 exec, exec, s[72:73]
	s_and_saveexec_b64 s[72:73], s[12:13]
	s_cbranch_execz .LBB58_59
.LBB58_91:                              ;   in Loop: Header=BB58_50 Depth=1
	v_readlane_b32 s86, v24, 20
	v_mov_b32_e32 v12, s86
	ds_read_b32 v12, v12
	s_waitcnt lgkmcnt(0)
	v_add_u32_e32 v11, v12, v11
	s_or_b64 exec, exec, s[72:73]
	s_and_saveexec_b64 s[72:73], s[14:15]
	s_cbranch_execz .LBB58_60
.LBB58_92:                              ;   in Loop: Header=BB58_50 Depth=1
	v_readlane_b32 s86, v24, 21
	v_mov_b32_e32 v12, s86
	ds_read_b32 v12, v12
	s_waitcnt lgkmcnt(0)
	v_add_u32_e32 v11, v12, v11
	s_or_b64 exec, exec, s[72:73]
	s_and_saveexec_b64 s[72:73], s[16:17]
	s_cbranch_execz .LBB58_61
.LBB58_93:                              ;   in Loop: Header=BB58_50 Depth=1
	v_mov_b32_e32 v12, s88
	ds_read_b32 v12, v12
	s_waitcnt lgkmcnt(0)
	v_add_u32_e32 v11, v12, v11
	s_or_b64 exec, exec, s[72:73]
	s_and_saveexec_b64 s[72:73], s[18:19]
	s_cbranch_execz .LBB58_62
.LBB58_94:                              ;   in Loop: Header=BB58_50 Depth=1
	v_mov_b32_e32 v12, s89
	ds_read_b32 v12, v12
	s_waitcnt lgkmcnt(0)
	v_add_u32_e32 v11, v12, v11
	s_or_b64 exec, exec, s[72:73]
	s_and_saveexec_b64 s[72:73], s[20:21]
	s_cbranch_execz .LBB58_63
.LBB58_95:                              ;   in Loop: Header=BB58_50 Depth=1
	v_mov_b32_e32 v12, s90
	ds_read_b32 v12, v12
	s_waitcnt lgkmcnt(0)
	v_add_u32_e32 v11, v12, v11
	s_or_b64 exec, exec, s[72:73]
	s_and_saveexec_b64 s[72:73], s[22:23]
	s_cbranch_execz .LBB58_64
.LBB58_96:                              ;   in Loop: Header=BB58_50 Depth=1
	v_mov_b32_e32 v12, s91
	ds_read_b32 v12, v12
	s_waitcnt lgkmcnt(0)
	v_add_u32_e32 v11, v12, v11
	s_or_b64 exec, exec, s[72:73]
	s_and_saveexec_b64 s[72:73], s[24:25]
	s_cbranch_execz .LBB58_65
.LBB58_97:                              ;   in Loop: Header=BB58_50 Depth=1
	v_mov_b32_e32 v12, s92
	ds_read_b32 v12, v12
	s_waitcnt lgkmcnt(0)
	v_add_u32_e32 v11, v12, v11
	s_or_b64 exec, exec, s[72:73]
	s_and_saveexec_b64 s[72:73], s[26:27]
	s_cbranch_execz .LBB58_66
.LBB58_98:                              ;   in Loop: Header=BB58_50 Depth=1
	v_mov_b32_e32 v12, s93
	ds_read_b32 v12, v12
	s_waitcnt lgkmcnt(0)
	v_add_u32_e32 v11, v12, v11
	s_or_b64 exec, exec, s[72:73]
	s_and_saveexec_b64 s[72:73], s[28:29]
	s_cbranch_execz .LBB58_67
.LBB58_99:                              ;   in Loop: Header=BB58_50 Depth=1
	v_mov_b32_e32 v12, s94
	ds_read_b32 v12, v12
	s_waitcnt lgkmcnt(0)
	v_add_u32_e32 v11, v12, v11
	s_or_b64 exec, exec, s[72:73]
	s_and_saveexec_b64 s[72:73], s[30:31]
	s_cbranch_execz .LBB58_68
.LBB58_100:                             ;   in Loop: Header=BB58_50 Depth=1
	v_mov_b32_e32 v12, s95
	ds_read_b32 v12, v12
	s_waitcnt lgkmcnt(0)
	v_add_u32_e32 v11, v12, v11
	s_or_b64 exec, exec, s[72:73]
	s_and_saveexec_b64 s[72:73], s[34:35]
	s_cbranch_execz .LBB58_69
.LBB58_101:                             ;   in Loop: Header=BB58_50 Depth=1
	v_mov_b32_e32 v12, s76
	ds_read_b32 v12, v12
	s_waitcnt lgkmcnt(0)
	v_add_u32_e32 v11, v12, v11
	s_or_b64 exec, exec, s[72:73]
	s_and_saveexec_b64 s[72:73], s[36:37]
	s_cbranch_execz .LBB58_70
.LBB58_102:                             ;   in Loop: Header=BB58_50 Depth=1
	v_mov_b32_e32 v12, s77
	ds_read_b32 v12, v12
	s_waitcnt lgkmcnt(0)
	v_add_u32_e32 v11, v12, v11
	s_or_b64 exec, exec, s[72:73]
	s_and_saveexec_b64 s[72:73], s[38:39]
	s_cbranch_execz .LBB58_71
.LBB58_103:                             ;   in Loop: Header=BB58_50 Depth=1
	v_mov_b32_e32 v12, s78
	ds_read_b32 v12, v12
	s_waitcnt lgkmcnt(0)
	v_add_u32_e32 v11, v12, v11
	s_or_b64 exec, exec, s[72:73]
	s_and_saveexec_b64 s[72:73], s[40:41]
	s_cbranch_execz .LBB58_72
.LBB58_104:                             ;   in Loop: Header=BB58_50 Depth=1
	v_mov_b32_e32 v12, s68
	ds_read_b32 v12, v12
	s_waitcnt lgkmcnt(0)
	v_add_u32_e32 v11, v12, v11
	s_or_b64 exec, exec, s[72:73]
	s_and_saveexec_b64 s[72:73], s[42:43]
	s_cbranch_execz .LBB58_73
.LBB58_105:                             ;   in Loop: Header=BB58_50 Depth=1
	v_mov_b32_e32 v12, s69
	ds_read_b32 v12, v12
	s_waitcnt lgkmcnt(0)
	v_add_u32_e32 v11, v12, v11
	s_or_b64 exec, exec, s[72:73]
	s_and_saveexec_b64 s[72:73], s[44:45]
	s_cbranch_execz .LBB58_74
.LBB58_106:                             ;   in Loop: Header=BB58_50 Depth=1
	v_mov_b32_e32 v12, s70
	ds_read_b32 v12, v12
	s_waitcnt lgkmcnt(0)
	v_add_u32_e32 v11, v12, v11
	s_or_b64 exec, exec, s[72:73]
	s_and_saveexec_b64 s[72:73], s[46:47]
	s_cbranch_execz .LBB58_75
.LBB58_107:                             ;   in Loop: Header=BB58_50 Depth=1
	v_mov_b32_e32 v12, s71
	ds_read_b32 v12, v12
	s_waitcnt lgkmcnt(0)
	v_add_u32_e32 v11, v12, v11
	s_or_b64 exec, exec, s[72:73]
	s_and_saveexec_b64 s[72:73], s[48:49]
	s_cbranch_execz .LBB58_76
.LBB58_108:                             ;   in Loop: Header=BB58_50 Depth=1
	v_mov_b32_e32 v12, s75
	ds_read_b32 v12, v12
	s_waitcnt lgkmcnt(0)
	v_add_u32_e32 v11, v12, v11
	s_or_b64 exec, exec, s[72:73]
	s_and_saveexec_b64 s[72:73], s[50:51]
	s_cbranch_execz .LBB58_77
.LBB58_109:                             ;   in Loop: Header=BB58_50 Depth=1
	v_mov_b32_e32 v12, s79
	ds_read_b32 v12, v12
	s_waitcnt lgkmcnt(0)
	v_add_u32_e32 v11, v12, v11
	s_or_b64 exec, exec, s[72:73]
	s_and_saveexec_b64 s[72:73], s[52:53]
	s_cbranch_execz .LBB58_78
.LBB58_110:                             ;   in Loop: Header=BB58_50 Depth=1
	v_mov_b32_e32 v12, s80
	ds_read_b32 v12, v12
	s_waitcnt lgkmcnt(0)
	v_add_u32_e32 v11, v12, v11
	s_or_b64 exec, exec, s[72:73]
	s_and_saveexec_b64 s[72:73], s[54:55]
	s_cbranch_execz .LBB58_79
.LBB58_111:                             ;   in Loop: Header=BB58_50 Depth=1
	v_mov_b32_e32 v12, s81
	ds_read_b32 v12, v12
	s_waitcnt lgkmcnt(0)
	v_add_u32_e32 v11, v12, v11
	s_or_b64 exec, exec, s[72:73]
	s_and_saveexec_b64 s[72:73], s[56:57]
	s_cbranch_execz .LBB58_80
.LBB58_112:                             ;   in Loop: Header=BB58_50 Depth=1
	v_mov_b32_e32 v12, s82
	ds_read_b32 v12, v12
	s_waitcnt lgkmcnt(0)
	v_add_u32_e32 v11, v12, v11
	s_or_b64 exec, exec, s[72:73]
	s_and_saveexec_b64 s[72:73], s[58:59]
	s_cbranch_execz .LBB58_81
.LBB58_113:                             ;   in Loop: Header=BB58_50 Depth=1
	v_mov_b32_e32 v12, s83
	ds_read_b32 v12, v12
	s_waitcnt lgkmcnt(0)
	v_add_u32_e32 v11, v12, v11
	s_or_b64 exec, exec, s[72:73]
	s_and_saveexec_b64 s[72:73], s[64:65]
	s_cbranch_execz .LBB58_82
.LBB58_114:                             ;   in Loop: Header=BB58_50 Depth=1
	v_add3_u32 v12, v6, -1, v11
	v_lshl_add_u32 v13, v12, 2, 0
	v_lshl_add_u32 v12, v12, 3, 0
	v_add_u32_e32 v12, 0x8000, v12
	ds_write_b32 v13, v10
	ds_write2_b32 v12, v4, v5 offset1:1
	s_or_b64 exec, exec, s[72:73]
	s_and_saveexec_b64 s[64:65], vcc
	s_cbranch_execz .LBB58_49
.LBB58_115:                             ;   in Loop: Header=BB58_50 Depth=1
	v_mov_b32_e32 v4, s84
	ds_write_b32 v4, v11
	s_branch .LBB58_49
.LBB58_116:
	s_or_b64 exec, exec, s[66:67]
	v_readlane_b32 s0, v24, 2
	v_readlane_b32 s1, v24, 3
	s_ashr_i32 s1, s0, 31
	v_readlane_b32 s16, v24, 4
	s_lshl_b64 s[0:1], s[0:1], 2
	v_readlane_b32 s20, v24, 8
	v_readlane_b32 s21, v24, 9
	s_add_u32 s0, s20, s0
	s_addc_u32 s1, s21, s1
	s_load_dwordx2 s[0:1], s[0:1], 0x0
	v_readlane_b32 s22, v24, 10
	v_readlane_b32 s23, v24, 11
	;; [unrolled: 1-line block ×4, first 2 shown]
	s_waitcnt lgkmcnt(0)
	s_sub_i32 s14, s1, s0
	v_cmp_gt_i32_e32 vcc, s14, v0
	v_readlane_b32 s19, v24, 7
	s_and_saveexec_b64 s[2:3], vcc
	s_cbranch_execz .LBB58_131
; %bb.117:
	s_sub_i32 s6, s0, s74
	s_add_i32 s0, s14, -2
	s_lshr_b32 s1, s0, 1
	s_add_i32 s2, s1, 1
	s_cmp_gt_u32 s14, 1
	s_cselect_b64 s[8:9], -1, 0
	s_and_b32 s15, s14, -2
	s_and_b32 s4, s2, 7
	s_cmp_gt_u32 s0, 13
	s_cselect_b64 s[0:1], -1, 0
	s_and_b32 s16, s2, -8
	s_cmp_lg_u32 s4, 0
	s_cselect_b64 s[2:3], -1, 0
	s_cmp_lg_u32 s14, s15
	s_cselect_b64 s[10:11], -1, 0
	s_lshl_b32 s17, s4, 3
	v_cndmask_b32_e64 v1, 0, 1, s[0:1]
	v_readlane_b32 s4, v24, 0
	v_cmp_ne_u32_e64 s[0:1], 1, v1
	v_cndmask_b32_e64 v1, 0, 1, s[2:3]
	v_readlane_b32 s5, v24, 1
	s_mov_b32 s7, 0
	s_mov_b64 s[12:13], 0
	s_mov_b32 s18, 0x8000
	v_cmp_ne_u32_e64 s[2:3], 1, v1
	v_mov_b32_e32 v1, s23
	v_mov_b32_e32 v6, s5
	s_branch .LBB58_119
.LBB58_118:                             ;   in Loop: Header=BB58_119 Depth=1
	v_ashrrev_i32_e32 v5, 31, v4
	v_lshlrev_b64 v[8:9], 2, v[4:5]
	v_add_co_u32_e32 v8, vcc, s22, v8
	v_addc_co_u32_e32 v9, vcc, v1, v9, vcc
	v_lshlrev_b64 v[4:5], 3, v[4:5]
	v_readlane_b32 s4, v24, 0
	v_add_co_u32_e32 v4, vcc, s4, v4
	v_addc_co_u32_e32 v5, vcc, v6, v5, vcc
	v_add_u32_e32 v0, 0x400, v0
	v_cmp_le_i32_e32 vcc, s14, v0
	s_waitcnt lgkmcnt(1)
	v_add_u32_e32 v7, s74, v7
	s_or_b64 s[12:13], vcc, s[12:13]
	global_store_dword v[8:9], v7, off
	v_readlane_b32 s5, v24, 1
	s_waitcnt lgkmcnt(0)
	global_store_dwordx2 v[4:5], v[2:3], off
	s_andn2_b64 exec, exec, s[12:13]
	s_cbranch_execz .LBB58_131
.LBB58_119:                             ; =>This Loop Header: Depth=1
                                        ;     Child Loop BB58_122 Depth 2
                                        ;     Child Loop BB58_127 Depth 2
	;; [unrolled: 1-line block ×3, first 2 shown]
	v_lshlrev_b32_e32 v2, 2, v0
	v_add_u32_e32 v3, 0, v2
	v_add3_u32 v2, v3, v2, s18
	ds_read_b32 v7, v3
	ds_read2_b32 v[2:3], v2 offset1:1
	s_and_b64 vcc, exec, s[8:9]
	s_cbranch_vccz .LBB58_124
; %bb.120:                              ;   in Loop: Header=BB58_119 Depth=1
	s_and_b64 vcc, exec, s[0:1]
	s_cbranch_vccnz .LBB58_125
; %bb.121:                              ;   in Loop: Header=BB58_119 Depth=1
	s_mov_b32 s20, 0
	v_mov_b32_e32 v4, s6
	v_mov_b32_e32 v5, 0
	s_mov_b32 s21, s16
	s_mov_b32 s19, 0
.LBB58_122:                             ;   Parent Loop BB58_119 Depth=1
                                        ; =>  This Inner Loop Header: Depth=2
	v_mov_b32_e32 v22, s20
	ds_read2_b32 v[8:9], v22 offset1:1
	ds_read2_b32 v[10:11], v22 offset0:2 offset1:3
	ds_read2_b32 v[12:13], v22 offset0:4 offset1:5
	;; [unrolled: 1-line block ×7, first 2 shown]
	s_waitcnt lgkmcnt(7)
	v_cmp_gt_i32_e32 vcc, v7, v9
	v_cndmask_b32_e64 v9, 0, 1, vcc
	v_cmp_gt_i32_e32 vcc, v7, v8
	s_waitcnt lgkmcnt(5)
	v_cmp_gt_i32_e64 s[4:5], v7, v12
	v_cndmask_b32_e64 v8, 0, 1, vcc
	v_cmp_gt_i32_e32 vcc, v7, v11
	v_cndmask_b32_e64 v11, 0, 1, s[4:5]
	v_cmp_gt_i32_e64 s[4:5], v7, v13
	v_cndmask_b32_e64 v12, 0, 1, s[4:5]
	s_waitcnt lgkmcnt(3)
	v_cmp_gt_i32_e64 s[4:5], v7, v17
	v_cndmask_b32_e64 v13, 0, 1, s[4:5]
	v_cmp_gt_i32_e64 s[4:5], v7, v16
	v_cndmask_b32_e64 v16, 0, 1, s[4:5]
	s_waitcnt lgkmcnt(1)
	v_cmp_gt_i32_e64 s[4:5], v7, v20
	v_cndmask_b32_e64 v17, 0, 1, s[4:5]
	v_cmp_gt_i32_e64 s[4:5], v7, v21
	v_cndmask_b32_e64 v20, 0, 1, s[4:5]
	v_cmp_gt_i32_e64 s[4:5], v7, v10
	v_addc_co_u32_e64 v4, s[4:5], v4, v8, s[4:5]
	v_addc_co_u32_e32 v5, vcc, v5, v9, vcc
	v_cmp_gt_i32_e32 vcc, v7, v14
	v_cmp_gt_i32_e64 s[4:5], v7, v15
	v_addc_co_u32_e64 v5, s[4:5], v5, v12, s[4:5]
	v_addc_co_u32_e32 v4, vcc, v4, v11, vcc
	v_cmp_gt_i32_e32 vcc, v7, v19
	v_cmp_gt_i32_e64 s[4:5], v7, v18
	v_addc_co_u32_e64 v4, s[4:5], v4, v16, s[4:5]
	v_addc_co_u32_e32 v5, vcc, v5, v13, vcc
	s_add_i32 s19, s19, 16
	s_add_i32 s20, s20, 64
	s_add_i32 s21, s21, -8
	s_waitcnt lgkmcnt(0)
	v_cmp_gt_i32_e32 vcc, v7, v22
	v_cmp_gt_i32_e64 s[4:5], v7, v23
	s_cmp_lg_u32 s21, 0
	v_addc_co_u32_e64 v5, s[4:5], v5, v20, s[4:5]
	v_addc_co_u32_e32 v4, vcc, v4, v17, vcc
	s_cbranch_scc1 .LBB58_122
; %bb.123:                              ;   in Loop: Header=BB58_119 Depth=1
	s_and_b64 vcc, exec, s[2:3]
	s_cbranch_vccz .LBB58_126
	s_branch .LBB58_128
.LBB58_124:                             ;   in Loop: Header=BB58_119 Depth=1
	v_mov_b32_e32 v4, s6
	s_mov_b32 s19, 0
	s_cbranch_execz .LBB58_118
	s_branch .LBB58_129
.LBB58_125:                             ;   in Loop: Header=BB58_119 Depth=1
	v_pk_mov_b32 v[4:5], s[6:7], s[6:7] op_sel:[0,1]
	s_mov_b32 s19, 0
	s_and_b64 vcc, exec, s[2:3]
	s_cbranch_vccnz .LBB58_128
.LBB58_126:                             ;   in Loop: Header=BB58_119 Depth=1
	s_lshl_b32 s4, s19, 2
	s_add_i32 s4, s4, 0
	s_mov_b32 s5, s17
.LBB58_127:                             ;   Parent Loop BB58_119 Depth=1
                                        ; =>  This Inner Loop Header: Depth=2
	v_mov_b32_e32 v8, s4
	ds_read2_b32 v[8:9], v8 offset1:1
	s_add_i32 s4, s4, 8
	s_add_i32 s5, s5, -8
	s_cmp_lg_u32 s5, 0
	s_waitcnt lgkmcnt(0)
	v_cmp_gt_i32_e32 vcc, v7, v9
	v_addc_co_u32_e32 v5, vcc, 0, v5, vcc
	v_cmp_gt_i32_e32 vcc, v7, v8
	v_addc_co_u32_e32 v4, vcc, 0, v4, vcc
	s_cbranch_scc1 .LBB58_127
.LBB58_128:                             ;   in Loop: Header=BB58_119 Depth=1
	v_add_u32_e32 v4, v4, v5
	s_mov_b32 s19, s15
	s_mov_b64 s[4:5], s[10:11]
	s_and_b64 vcc, exec, s[4:5]
	s_cbranch_vccz .LBB58_118
.LBB58_129:                             ;   in Loop: Header=BB58_119 Depth=1
	s_lshl_b32 s4, s19, 2
	s_add_i32 s4, s4, 0
.LBB58_130:                             ;   Parent Loop BB58_119 Depth=1
                                        ; =>  This Inner Loop Header: Depth=2
	v_mov_b32_e32 v5, s4
	ds_read_b32 v5, v5
	s_add_i32 s19, s19, 1
	s_add_i32 s4, s4, 4
	s_cmp_ge_i32 s19, s14
	s_waitcnt lgkmcnt(0)
	v_cmp_gt_i32_e32 vcc, v7, v5
	v_addc_co_u32_e32 v4, vcc, 0, v4, vcc
	s_cbranch_scc0 .LBB58_130
	s_branch .LBB58_118
.LBB58_131:
	s_endpgm
	.section	.rodata,"a",@progbits
	.p2align	6, 0x0
	.amdhsa_kernel _ZN9rocsparseL26csrgemm_fill_block_per_rowILj1024ELj64ELj8192ELj137ELj32Eii21rocsparse_complex_numIfEEEvT5_PKS3_S5_NS_24const_host_device_scalarIT6_EEPKT4_S5_PKS7_SB_S5_SD_S8_SB_S5_SD_SB_PS3_PS7_21rocsparse_index_base_SG_SG_SG_bbb
		.amdhsa_group_segment_fixed_size 0
		.amdhsa_private_segment_fixed_size 0
		.amdhsa_kernarg_size 156
		.amdhsa_user_sgpr_count 6
		.amdhsa_user_sgpr_private_segment_buffer 1
		.amdhsa_user_sgpr_dispatch_ptr 0
		.amdhsa_user_sgpr_queue_ptr 0
		.amdhsa_user_sgpr_kernarg_segment_ptr 1
		.amdhsa_user_sgpr_dispatch_id 0
		.amdhsa_user_sgpr_flat_scratch_init 0
		.amdhsa_user_sgpr_kernarg_preload_length 0
		.amdhsa_user_sgpr_kernarg_preload_offset 0
		.amdhsa_user_sgpr_private_segment_size 0
		.amdhsa_uses_dynamic_stack 0
		.amdhsa_system_sgpr_private_segment_wavefront_offset 0
		.amdhsa_system_sgpr_workgroup_id_x 1
		.amdhsa_system_sgpr_workgroup_id_y 0
		.amdhsa_system_sgpr_workgroup_id_z 0
		.amdhsa_system_sgpr_workgroup_info 0
		.amdhsa_system_vgpr_workitem_id 0
		.amdhsa_next_free_vgpr 25
		.amdhsa_next_free_sgpr 96
		.amdhsa_accum_offset 28
		.amdhsa_reserve_vcc 1
		.amdhsa_reserve_flat_scratch 0
		.amdhsa_float_round_mode_32 0
		.amdhsa_float_round_mode_16_64 0
		.amdhsa_float_denorm_mode_32 3
		.amdhsa_float_denorm_mode_16_64 3
		.amdhsa_dx10_clamp 1
		.amdhsa_ieee_mode 1
		.amdhsa_fp16_overflow 0
		.amdhsa_tg_split 0
		.amdhsa_exception_fp_ieee_invalid_op 0
		.amdhsa_exception_fp_denorm_src 0
		.amdhsa_exception_fp_ieee_div_zero 0
		.amdhsa_exception_fp_ieee_overflow 0
		.amdhsa_exception_fp_ieee_underflow 0
		.amdhsa_exception_fp_ieee_inexact 0
		.amdhsa_exception_int_div_zero 0
	.end_amdhsa_kernel
	.section	.text._ZN9rocsparseL26csrgemm_fill_block_per_rowILj1024ELj64ELj8192ELj137ELj32Eii21rocsparse_complex_numIfEEEvT5_PKS3_S5_NS_24const_host_device_scalarIT6_EEPKT4_S5_PKS7_SB_S5_SD_S8_SB_S5_SD_SB_PS3_PS7_21rocsparse_index_base_SG_SG_SG_bbb,"axG",@progbits,_ZN9rocsparseL26csrgemm_fill_block_per_rowILj1024ELj64ELj8192ELj137ELj32Eii21rocsparse_complex_numIfEEEvT5_PKS3_S5_NS_24const_host_device_scalarIT6_EEPKT4_S5_PKS7_SB_S5_SD_S8_SB_S5_SD_SB_PS3_PS7_21rocsparse_index_base_SG_SG_SG_bbb,comdat
.Lfunc_end58:
	.size	_ZN9rocsparseL26csrgemm_fill_block_per_rowILj1024ELj64ELj8192ELj137ELj32Eii21rocsparse_complex_numIfEEEvT5_PKS3_S5_NS_24const_host_device_scalarIT6_EEPKT4_S5_PKS7_SB_S5_SD_S8_SB_S5_SD_SB_PS3_PS7_21rocsparse_index_base_SG_SG_SG_bbb, .Lfunc_end58-_ZN9rocsparseL26csrgemm_fill_block_per_rowILj1024ELj64ELj8192ELj137ELj32Eii21rocsparse_complex_numIfEEEvT5_PKS3_S5_NS_24const_host_device_scalarIT6_EEPKT4_S5_PKS7_SB_S5_SD_S8_SB_S5_SD_SB_PS3_PS7_21rocsparse_index_base_SG_SG_SG_bbb
                                        ; -- End function
	.section	.AMDGPU.csdata,"",@progbits
; Kernel info:
; codeLenInByte = 5144
; NumSgprs: 100
; NumVgprs: 25
; NumAgprs: 0
; TotalNumVgprs: 25
; ScratchSize: 0
; MemoryBound: 0
; FloatMode: 240
; IeeeMode: 1
; LDSByteSize: 0 bytes/workgroup (compile time only)
; SGPRBlocks: 12
; VGPRBlocks: 3
; NumSGPRsForWavesPerEU: 100
; NumVGPRsForWavesPerEU: 25
; AccumOffset: 28
; Occupancy: 8
; WaveLimiterHint : 1
; COMPUTE_PGM_RSRC2:SCRATCH_EN: 0
; COMPUTE_PGM_RSRC2:USER_SGPR: 6
; COMPUTE_PGM_RSRC2:TRAP_HANDLER: 0
; COMPUTE_PGM_RSRC2:TGID_X_EN: 1
; COMPUTE_PGM_RSRC2:TGID_Y_EN: 0
; COMPUTE_PGM_RSRC2:TGID_Z_EN: 0
; COMPUTE_PGM_RSRC2:TIDIG_COMP_CNT: 0
; COMPUTE_PGM_RSRC3_GFX90A:ACCUM_OFFSET: 6
; COMPUTE_PGM_RSRC3_GFX90A:TG_SPLIT: 0
	.section	.text._ZN9rocsparseL26csrgemm_fill_block_per_rowILj1024ELj64ELj8192ELj137ELj64Eii21rocsparse_complex_numIfEEEvT5_PKS3_S5_NS_24const_host_device_scalarIT6_EEPKT4_S5_PKS7_SB_S5_SD_S8_SB_S5_SD_SB_PS3_PS7_21rocsparse_index_base_SG_SG_SG_bbb,"axG",@progbits,_ZN9rocsparseL26csrgemm_fill_block_per_rowILj1024ELj64ELj8192ELj137ELj64Eii21rocsparse_complex_numIfEEEvT5_PKS3_S5_NS_24const_host_device_scalarIT6_EEPKT4_S5_PKS7_SB_S5_SD_S8_SB_S5_SD_SB_PS3_PS7_21rocsparse_index_base_SG_SG_SG_bbb,comdat
	.globl	_ZN9rocsparseL26csrgemm_fill_block_per_rowILj1024ELj64ELj8192ELj137ELj64Eii21rocsparse_complex_numIfEEEvT5_PKS3_S5_NS_24const_host_device_scalarIT6_EEPKT4_S5_PKS7_SB_S5_SD_S8_SB_S5_SD_SB_PS3_PS7_21rocsparse_index_base_SG_SG_SG_bbb ; -- Begin function _ZN9rocsparseL26csrgemm_fill_block_per_rowILj1024ELj64ELj8192ELj137ELj64Eii21rocsparse_complex_numIfEEEvT5_PKS3_S5_NS_24const_host_device_scalarIT6_EEPKT4_S5_PKS7_SB_S5_SD_S8_SB_S5_SD_SB_PS3_PS7_21rocsparse_index_base_SG_SG_SG_bbb
	.p2align	8
	.type	_ZN9rocsparseL26csrgemm_fill_block_per_rowILj1024ELj64ELj8192ELj137ELj64Eii21rocsparse_complex_numIfEEEvT5_PKS3_S5_NS_24const_host_device_scalarIT6_EEPKT4_S5_PKS7_SB_S5_SD_S8_SB_S5_SD_SB_PS3_PS7_21rocsparse_index_base_SG_SG_SG_bbb,@function
_ZN9rocsparseL26csrgemm_fill_block_per_rowILj1024ELj64ELj8192ELj137ELj64Eii21rocsparse_complex_numIfEEEvT5_PKS3_S5_NS_24const_host_device_scalarIT6_EEPKT4_S5_PKS7_SB_S5_SD_S8_SB_S5_SD_SB_PS3_PS7_21rocsparse_index_base_SG_SG_SG_bbb: ; @_ZN9rocsparseL26csrgemm_fill_block_per_rowILj1024ELj64ELj8192ELj137ELj64Eii21rocsparse_complex_numIfEEEvT5_PKS3_S5_NS_24const_host_device_scalarIT6_EEPKT4_S5_PKS7_SB_S5_SD_S8_SB_S5_SD_SB_PS3_PS7_21rocsparse_index_base_SG_SG_SG_bbb
; %bb.0:
	s_load_dwordx8 s[36:43], s[4:5], 0x60
	s_load_dwordx8 s[8:15], s[4:5], 0x40
	s_load_dword s7, s[4:5], 0x98
	s_load_dwordx4 s[24:27], s[4:5], 0x8
	s_load_dwordx8 s[16:23], s[4:5], 0x20
	s_load_dwordx2 s[34:35], s[4:5], 0x80
	s_load_dwordx4 s[44:47], s[4:5], 0x88
	s_waitcnt lgkmcnt(0)
	s_bitcmp1_b32 s7, 0
	s_cselect_b64 s[30:31], -1, 0
	s_bitcmp1_b32 s7, 16
	s_cselect_b64 s[0:1], -1, 0
	s_xor_b64 s[0:1], s[0:1], -1
	v_cndmask_b32_e64 v1, 0, 1, s[0:1]
	s_mov_b32 s3, 0
	s_bitcmp0_b32 s7, 0
	v_cmp_ne_u32_e64 s[0:1], 1, v1
	s_mov_b32 s56, 0
	s_cbranch_scc1 .LBB59_5
; %bb.1:
	s_load_dwordx2 s[2:3], s[4:5], 0x18
	s_and_b64 vcc, exec, s[0:1]
	s_waitcnt lgkmcnt(0)
	s_mov_b32 s56, s2
	s_cbranch_vccnz .LBB59_3
; %bb.2:
	s_load_dword s56, s[2:3], 0x0
.LBB59_3:
	s_and_b64 vcc, exec, s[0:1]
	s_cbranch_vccnz .LBB59_5
; %bb.4:
	s_load_dword s3, s[2:3], 0x4
.LBB59_5:
	s_bitcmp1_b32 s7, 8
	s_cselect_b64 s[28:29], -1, 0
	s_bfe_u32 s2, s7, 0x10008
	s_mov_b32 s55, 0
	s_cmp_eq_u32 s2, 0
	s_mov_b32 s54, 0
	s_cbranch_scc1 .LBB59_11
; %bb.6:
	s_and_b64 vcc, exec, s[0:1]
	s_mov_b32 s54, s12
	s_cbranch_vccnz .LBB59_8
; %bb.7:
	s_load_dword s54, s[12:13], 0x0
.LBB59_8:
	s_and_b64 vcc, exec, s[0:1]
	s_cbranch_vccnz .LBB59_10
; %bb.9:
	s_load_dword s13, s[12:13], 0x4
.LBB59_10:
	s_waitcnt lgkmcnt(0)
	s_mov_b32 s55, s13
.LBB59_11:
	s_load_dword s33, s[4:5], 0x0
	v_lshlrev_b32_e32 v2, 2, v0
	s_mov_b32 s0, 0x8000
	v_add_u32_e32 v1, 0, v2
	v_add3_u32 v2, v1, v2, s0
	v_mov_b32_e32 v4, 0
	s_waitcnt lgkmcnt(0)
	v_mov_b32_e32 v3, s33
	ds_write2_b32 v2, v4, v4 offset1:1
	v_mov_b32_e32 v2, s33
	s_add_i32 s0, 0, 0x8000
	ds_write2st64_b32 v1, v3, v2 offset1:16
	v_lshl_add_u32 v2, v0, 3, s0
	v_add_u32_e32 v3, 0x2000, v2
	v_add_u32_e32 v5, 0x4000, v2
	ds_write2_b32 v3, v4, v4 offset1:1
	v_mov_b32_e32 v3, s33
	ds_write2_b32 v5, v4, v4 offset1:1
	v_mov_b32_e32 v5, s33
	ds_write2st64_b32 v1, v3, v5 offset0:32 offset1:48
	v_add_u32_e32 v3, 0x6000, v2
	v_add_u32_e32 v5, 0x8000, v2
	ds_write2_b32 v3, v4, v4 offset1:1
	v_mov_b32_e32 v3, s33
	ds_write2_b32 v5, v4, v4 offset1:1
	v_mov_b32_e32 v5, s33
	ds_write2st64_b32 v1, v3, v5 offset0:64 offset1:80
	v_add_u32_e32 v3, 0xa000, v2
	v_add_u32_e32 v5, 0xc000, v2
	ds_write2_b32 v3, v4, v4 offset1:1
	v_mov_b32_e32 v3, s33
	ds_write2_b32 v5, v4, v4 offset1:1
	v_mov_b32_e32 v5, s33
	v_add_u32_e32 v2, 0xe000, v2
	ds_write2st64_b32 v1, v3, v5 offset0:96 offset1:112
	ds_write2_b32 v2, v4, v4 offset1:1
	s_waitcnt lgkmcnt(0)
	s_barrier
	s_load_dword s0, s[24:25], 0x0
	s_mov_b32 s1, 0
	v_lshrrev_b32_e32 v6, 6, v0
	s_waitcnt lgkmcnt(0)
	s_add_i32 s0, s0, s6
	s_lshl_b64 s[0:1], s[0:1], 2
	s_add_u32 s0, s26, s0
	s_addc_u32 s1, s27, s1
	s_load_dword s48, s[0:1], 0x0
	s_andn2_b64 vcc, exec, s[30:31]
	s_cbranch_vccnz .LBB59_31
; %bb.12:
	s_waitcnt lgkmcnt(0)
	s_ashr_i32 s49, s48, 31
	s_lshl_b64 s[0:1], s[48:49], 2
	s_add_u32 s0, s16, s0
	s_addc_u32 s1, s17, s1
	s_load_dwordx2 s[0:1], s[0:1], 0x0
	v_subrev_u32_e32 v2, s44, v6
	s_waitcnt lgkmcnt(0)
	s_sub_i32 s2, s1, s44
	v_add_u32_e32 v2, s0, v2
	v_cmp_gt_i32_e32 vcc, s2, v2
	s_and_saveexec_b64 s[0:1], vcc
	s_cbranch_execz .LBB59_30
; %bb.13:
	v_and_b32_e32 v3, 63, v0
	v_subrev_u32_e32 v7, s45, v3
	s_mov_b64 s[4:5], 0
	v_mov_b32_e32 v8, s19
	v_mov_b32_e32 v9, s23
	s_movk_i32 s19, 0x89
	s_branch .LBB59_15
.LBB59_14:                              ;   in Loop: Header=BB59_15 Depth=1
	s_or_b64 exec, exec, s[6:7]
	v_add_u32_e32 v2, 16, v2
	v_cmp_le_i32_e32 vcc, s2, v2
	s_or_b64 s[4:5], vcc, s[4:5]
	s_andn2_b64 exec, exec, s[4:5]
	s_cbranch_execz .LBB59_30
.LBB59_15:                              ; =>This Loop Header: Depth=1
                                        ;     Child Loop BB59_18 Depth 2
                                        ;       Child Loop BB59_20 Depth 3
	v_ashrrev_i32_e32 v3, 31, v2
	v_lshlrev_b64 v[4:5], 2, v[2:3]
	v_add_co_u32_e32 v4, vcc, s18, v4
	v_addc_co_u32_e32 v5, vcc, v8, v5, vcc
	global_load_dword v4, v[4:5], off
	s_waitcnt vmcnt(0)
	v_subrev_u32_e32 v4, s44, v4
	v_ashrrev_i32_e32 v5, 31, v4
	v_lshlrev_b64 v[4:5], 2, v[4:5]
	v_add_co_u32_e32 v4, vcc, s22, v4
	v_addc_co_u32_e32 v5, vcc, v9, v5, vcc
	global_load_dwordx2 v[4:5], v[4:5], off
	s_waitcnt vmcnt(0)
	v_subrev_u32_e32 v10, s45, v5
	v_add_u32_e32 v4, v4, v7
	v_cmp_lt_i32_e32 vcc, v4, v10
	s_and_saveexec_b64 s[6:7], vcc
	s_cbranch_execz .LBB59_14
; %bb.16:                               ;   in Loop: Header=BB59_15 Depth=1
	v_lshlrev_b64 v[12:13], 3, v[2:3]
	v_mov_b32_e32 v3, s21
	v_add_co_u32_e32 v12, vcc, s20, v12
	v_addc_co_u32_e32 v13, vcc, v3, v13, vcc
	global_load_dwordx2 v[12:13], v[12:13], off
	s_mov_b64 s[12:13], 0
	s_waitcnt vmcnt(0)
	v_mul_f32_e64 v3, v13, -s3
	v_mul_f32_e32 v11, s56, v13
	v_fmac_f32_e32 v3, s56, v12
	v_fmac_f32_e32 v11, s3, v12
	s_branch .LBB59_18
.LBB59_17:                              ;   in Loop: Header=BB59_18 Depth=2
	s_or_b64 exec, exec, s[16:17]
	v_add_u32_e32 v4, 64, v4
	v_cmp_ge_i32_e32 vcc, v4, v10
	s_or_b64 s[12:13], vcc, s[12:13]
	s_andn2_b64 exec, exec, s[12:13]
	s_cbranch_execz .LBB59_14
.LBB59_18:                              ;   Parent Loop BB59_15 Depth=1
                                        ; =>  This Loop Header: Depth=2
                                        ;       Child Loop BB59_20 Depth 3
	v_ashrrev_i32_e32 v5, 31, v4
	v_lshlrev_b64 v[12:13], 2, v[4:5]
	v_mov_b32_e32 v14, s9
	v_add_co_u32_e32 v12, vcc, s8, v12
	v_addc_co_u32_e32 v13, vcc, v14, v13, vcc
	global_load_dword v16, v[12:13], off
	v_lshlrev_b64 v[12:13], 3, v[4:5]
	v_mov_b32_e32 v5, s11
	v_add_co_u32_e32 v12, vcc, s10, v12
	v_addc_co_u32_e32 v13, vcc, v5, v13, vcc
	global_load_dwordx2 v[14:15], v[12:13], off
	s_mov_b64 s[16:17], 0
	s_waitcnt vmcnt(1)
	v_subrev_u32_e32 v5, s45, v16
	s_waitcnt vmcnt(0)
	v_mul_f32_e64 v12, v15, -v11
	v_mul_f32_e32 v13, v3, v15
	v_fmac_f32_e32 v12, v3, v14
	v_fmac_f32_e32 v13, v11, v14
	v_mul_lo_u32 v14, v5, s19
	v_and_b32_e32 v14, 0x1fff, v14
	s_branch .LBB59_20
.LBB59_19:                              ;   in Loop: Header=BB59_20 Depth=3
	s_or_b64 exec, exec, s[24:25]
	s_xor_b64 s[24:25], s[26:27], -1
	s_and_b64 s[24:25], exec, s[24:25]
	s_or_b64 s[16:17], s[24:25], s[16:17]
	s_andn2_b64 exec, exec, s[16:17]
	s_cbranch_execz .LBB59_17
.LBB59_20:                              ;   Parent Loop BB59_15 Depth=1
                                        ;     Parent Loop BB59_18 Depth=2
                                        ; =>    This Inner Loop Header: Depth=3
	v_lshl_add_u32 v15, v14, 2, 0
	ds_read_b32 v16, v15
                                        ; implicit-def: $sgpr26_sgpr27
	s_waitcnt lgkmcnt(0)
	v_cmp_ne_u32_e32 vcc, v16, v5
	s_and_saveexec_b64 s[24:25], vcc
	s_xor_b64 s[24:25], exec, s[24:25]
	s_cbranch_execz .LBB59_28
; %bb.21:                               ;   in Loop: Header=BB59_20 Depth=3
	v_cmp_ne_u32_e32 vcc, s33, v16
                                        ; implicit-def: $sgpr26_sgpr27
	s_and_saveexec_b64 s[30:31], vcc
	s_xor_b64 s[30:31], exec, s[30:31]
; %bb.22:                               ;   in Loop: Header=BB59_20 Depth=3
	v_add_u32_e32 v14, 1, v14
	v_and_b32_e32 v14, 0x1fff, v14
	s_mov_b64 s[26:27], -1
                                        ; implicit-def: $vgpr15
; %bb.23:                               ;   in Loop: Header=BB59_20 Depth=3
	s_andn2_saveexec_b64 s[30:31], s[30:31]
	s_cbranch_execz .LBB59_27
; %bb.24:                               ;   in Loop: Header=BB59_20 Depth=3
	v_mov_b32_e32 v16, s33
	ds_cmpst_rtn_b32 v16, v15, v16, v5
	s_mov_b64 s[50:51], -1
	s_waitcnt lgkmcnt(0)
	v_cmp_eq_u32_e32 vcc, s33, v16
	s_and_saveexec_b64 s[52:53], vcc
	s_cbranch_execz .LBB59_26
; %bb.25:                               ;   in Loop: Header=BB59_20 Depth=3
	v_lshl_add_u32 v15, v14, 2, v15
	ds_add_f32 v15, v12 offset:32768
	ds_add_f32 v15, v13 offset:32772
	s_xor_b64 s[50:51], exec, -1
.LBB59_26:                              ;   in Loop: Header=BB59_20 Depth=3
	s_or_b64 exec, exec, s[52:53]
	s_andn2_b64 s[26:27], s[26:27], exec
	s_and_b64 s[50:51], s[50:51], exec
	s_or_b64 s[26:27], s[26:27], s[50:51]
.LBB59_27:                              ;   in Loop: Header=BB59_20 Depth=3
	s_or_b64 exec, exec, s[30:31]
	s_and_b64 s[26:27], s[26:27], exec
                                        ; implicit-def: $vgpr15
.LBB59_28:                              ;   in Loop: Header=BB59_20 Depth=3
	s_andn2_saveexec_b64 s[24:25], s[24:25]
	s_cbranch_execz .LBB59_19
; %bb.29:                               ;   in Loop: Header=BB59_20 Depth=3
	v_lshl_add_u32 v15, v14, 2, v15
	ds_add_f32 v15, v12 offset:32768
	ds_add_f32 v15, v13 offset:32772
	s_andn2_b64 s[26:27], s[26:27], exec
	s_branch .LBB59_19
.LBB59_30:
	s_or_b64 exec, exec, s[0:1]
.LBB59_31:
	s_andn2_b64 vcc, exec, s[28:29]
	s_cbranch_vccnz .LBB59_48
; %bb.32:
	s_waitcnt lgkmcnt(0)
	s_ashr_i32 s49, s48, 31
	s_lshl_b64 s[0:1], s[48:49], 2
	s_add_u32 s0, s14, s0
	s_addc_u32 s1, s15, s1
	s_load_dwordx2 s[0:1], s[0:1], 0x0
	v_subrev_u32_e32 v2, s47, v0
	s_waitcnt lgkmcnt(0)
	s_sub_i32 s16, s1, s47
	v_add_u32_e32 v2, s0, v2
	v_cmp_gt_i32_e32 vcc, s16, v2
	s_and_saveexec_b64 s[0:1], vcc
	s_cbranch_execz .LBB59_47
; %bb.33:
	s_mov_b64 s[2:3], 0
	v_mov_b32_e32 v4, s37
	v_mov_b32_e32 v5, s39
	s_movk_i32 s17, 0x89
	s_branch .LBB59_35
.LBB59_34:                              ;   in Loop: Header=BB59_35 Depth=1
	s_or_b64 exec, exec, s[4:5]
	v_add_u32_e32 v2, 0x400, v2
	v_cmp_le_i32_e32 vcc, s16, v2
	s_or_b64 s[2:3], vcc, s[2:3]
	s_andn2_b64 exec, exec, s[2:3]
	s_cbranch_execz .LBB59_47
.LBB59_35:                              ; =>This Loop Header: Depth=1
                                        ;     Child Loop BB59_37 Depth 2
	v_ashrrev_i32_e32 v3, 31, v2
	v_lshlrev_b64 v[8:9], 2, v[2:3]
	v_add_co_u32_e32 v8, vcc, s36, v8
	v_addc_co_u32_e32 v9, vcc, v4, v9, vcc
	global_load_dword v7, v[8:9], off
	v_lshlrev_b64 v[8:9], 3, v[2:3]
	v_add_co_u32_e32 v8, vcc, s38, v8
	v_addc_co_u32_e32 v9, vcc, v5, v9, vcc
	global_load_dwordx2 v[10:11], v[8:9], off
	s_mov_b64 s[4:5], 0
	s_waitcnt vmcnt(1)
	v_subrev_u32_e32 v3, s47, v7
	v_mul_lo_u32 v9, v3, s17
	v_and_b32_e32 v9, 0x1fff, v9
	s_waitcnt vmcnt(0)
	v_mul_f32_e64 v7, v11, -s55
	v_mul_f32_e32 v8, s54, v11
	v_fmac_f32_e32 v7, s54, v10
	v_fmac_f32_e32 v8, s55, v10
	s_branch .LBB59_37
.LBB59_36:                              ;   in Loop: Header=BB59_37 Depth=2
	s_or_b64 exec, exec, s[6:7]
	s_xor_b64 s[6:7], s[8:9], -1
	s_and_b64 s[6:7], exec, s[6:7]
	s_or_b64 s[4:5], s[6:7], s[4:5]
	s_andn2_b64 exec, exec, s[4:5]
	s_cbranch_execz .LBB59_34
.LBB59_37:                              ;   Parent Loop BB59_35 Depth=1
                                        ; =>  This Inner Loop Header: Depth=2
	v_lshl_add_u32 v10, v9, 2, 0
	ds_read_b32 v11, v10
                                        ; implicit-def: $sgpr8_sgpr9
	s_waitcnt lgkmcnt(0)
	v_cmp_ne_u32_e32 vcc, v11, v3
	s_and_saveexec_b64 s[6:7], vcc
	s_xor_b64 s[6:7], exec, s[6:7]
	s_cbranch_execz .LBB59_45
; %bb.38:                               ;   in Loop: Header=BB59_37 Depth=2
	v_cmp_ne_u32_e32 vcc, s33, v11
                                        ; implicit-def: $sgpr8_sgpr9
	s_and_saveexec_b64 s[10:11], vcc
	s_xor_b64 s[10:11], exec, s[10:11]
; %bb.39:                               ;   in Loop: Header=BB59_37 Depth=2
	v_add_u32_e32 v9, 1, v9
	v_and_b32_e32 v9, 0x1fff, v9
	s_mov_b64 s[8:9], -1
                                        ; implicit-def: $vgpr10
; %bb.40:                               ;   in Loop: Header=BB59_37 Depth=2
	s_andn2_saveexec_b64 s[10:11], s[10:11]
	s_cbranch_execz .LBB59_44
; %bb.41:                               ;   in Loop: Header=BB59_37 Depth=2
	v_mov_b32_e32 v11, s33
	ds_cmpst_rtn_b32 v11, v10, v11, v3
	s_mov_b64 s[12:13], -1
	s_waitcnt lgkmcnt(0)
	v_cmp_eq_u32_e32 vcc, s33, v11
	s_and_saveexec_b64 s[14:15], vcc
	s_cbranch_execz .LBB59_43
; %bb.42:                               ;   in Loop: Header=BB59_37 Depth=2
	v_lshl_add_u32 v10, v9, 2, v10
	ds_add_f32 v10, v7 offset:32768
	ds_add_f32 v10, v8 offset:32772
	s_xor_b64 s[12:13], exec, -1
.LBB59_43:                              ;   in Loop: Header=BB59_37 Depth=2
	s_or_b64 exec, exec, s[14:15]
	s_andn2_b64 s[8:9], s[8:9], exec
	s_and_b64 s[12:13], s[12:13], exec
	s_or_b64 s[8:9], s[8:9], s[12:13]
.LBB59_44:                              ;   in Loop: Header=BB59_37 Depth=2
	s_or_b64 exec, exec, s[10:11]
	s_and_b64 s[8:9], s[8:9], exec
                                        ; implicit-def: $vgpr10
.LBB59_45:                              ;   in Loop: Header=BB59_37 Depth=2
	s_andn2_saveexec_b64 s[6:7], s[6:7]
	s_cbranch_execz .LBB59_36
; %bb.46:                               ;   in Loop: Header=BB59_37 Depth=2
	v_lshl_add_u32 v10, v9, 2, v10
	ds_add_f32 v10, v7 offset:32768
	ds_add_f32 v10, v8 offset:32772
	s_andn2_b64 s[8:9], s[8:9], exec
	s_branch .LBB59_36
.LBB59_47:
	s_or_b64 exec, exec, s[0:1]
.LBB59_48:
	v_mbcnt_lo_u32_b32 v2, -1, 0
	v_mbcnt_hi_u32_b32 v2, -1, v2
	v_sub_u32_e32 v2, 63, v2
	s_add_i32 s44, 0, 0x18000
	s_movk_i32 s0, 0x3ff
	s_movk_i32 s2, 0x7f
	;; [unrolled: 1-line block ×15, first 2 shown]
	v_lshl_add_u32 v4, v0, 3, 0
	s_add_i32 s61, 0, 0x1803c
	v_mov_b32_e32 v7, 0
	v_lshrrev_b64 v[2:3], v2, -1
	v_lshl_add_u32 v6, v6, 2, s44
	v_cmp_eq_u32_e32 vcc, s0, v0
	v_cmp_lt_u32_e64 s[0:1], 63, v0
	v_cmp_lt_u32_e64 s[2:3], s2, v0
	;; [unrolled: 1-line block ×15, first 2 shown]
	v_add_u32_e32 v8, 0x8000, v4
	v_or_b32_e32 v9, 0xfffffc00, v0
	s_mov_b64 s[36:37], 0
	s_add_i32 s45, 0, 0x18004
	s_add_i32 s47, 0, 0x18008
	;; [unrolled: 1-line block ×14, first 2 shown]
	v_mov_b32_e32 v10, s61
	s_movk_i32 s62, 0x1bff
	s_waitcnt lgkmcnt(0)
	s_barrier
	s_branch .LBB59_50
.LBB59_49:                              ;   in Loop: Header=BB59_50 Depth=1
	s_or_b64 exec, exec, s[30:31]
	s_waitcnt lgkmcnt(0)
	s_barrier
	ds_read_b32 v4, v10
	v_add_u32_e32 v9, 0x400, v9
	v_cmp_lt_u32_e64 s[30:31], s62, v9
	v_add_u32_e32 v8, 0x2000, v8
	s_or_b64 s[36:37], s[30:31], s[36:37]
	s_waitcnt lgkmcnt(0)
	v_add_u32_e32 v7, v4, v7
	v_add_u32_e32 v1, 0x1000, v1
	s_andn2_b64 exec, exec, s[36:37]
	s_cbranch_execz .LBB59_84
.LBB59_50:                              ; =>This Inner Loop Header: Depth=1
	ds_read_b32 v11, v1
	ds_read2_b32 v[4:5], v8 offset1:1
	s_waitcnt lgkmcnt(0)
	s_barrier
	v_cmp_gt_i32_e64 s[30:31], s33, v11
	v_and_b32_e32 v13, s30, v2
	s_bcnt1_i32_b64 s38, s[30:31]
	v_and_b32_e32 v12, s31, v3
	v_bcnt_u32_b32 v13, v13, 0
	v_bcnt_u32_b32 v12, v12, v13
	v_mov_b32_e32 v13, s38
	ds_write_b32 v6, v13
	s_waitcnt lgkmcnt(0)
	s_barrier
	s_and_saveexec_b64 s[38:39], s[0:1]
	s_cbranch_execnz .LBB59_67
; %bb.51:                               ;   in Loop: Header=BB59_50 Depth=1
	s_or_b64 exec, exec, s[38:39]
	s_and_saveexec_b64 s[38:39], s[2:3]
	s_cbranch_execnz .LBB59_68
.LBB59_52:                              ;   in Loop: Header=BB59_50 Depth=1
	s_or_b64 exec, exec, s[38:39]
	s_and_saveexec_b64 s[38:39], s[4:5]
	s_cbranch_execnz .LBB59_69
.LBB59_53:                              ;   in Loop: Header=BB59_50 Depth=1
	s_or_b64 exec, exec, s[38:39]
	s_and_saveexec_b64 s[38:39], s[6:7]
	s_cbranch_execnz .LBB59_70
.LBB59_54:                              ;   in Loop: Header=BB59_50 Depth=1
	s_or_b64 exec, exec, s[38:39]
	s_and_saveexec_b64 s[38:39], s[8:9]
	s_cbranch_execnz .LBB59_71
.LBB59_55:                              ;   in Loop: Header=BB59_50 Depth=1
	s_or_b64 exec, exec, s[38:39]
	s_and_saveexec_b64 s[38:39], s[10:11]
	s_cbranch_execnz .LBB59_72
.LBB59_56:                              ;   in Loop: Header=BB59_50 Depth=1
	s_or_b64 exec, exec, s[38:39]
	s_and_saveexec_b64 s[38:39], s[12:13]
	s_cbranch_execnz .LBB59_73
.LBB59_57:                              ;   in Loop: Header=BB59_50 Depth=1
	s_or_b64 exec, exec, s[38:39]
	s_and_saveexec_b64 s[38:39], s[14:15]
	s_cbranch_execnz .LBB59_74
.LBB59_58:                              ;   in Loop: Header=BB59_50 Depth=1
	s_or_b64 exec, exec, s[38:39]
	s_and_saveexec_b64 s[38:39], s[16:17]
	s_cbranch_execnz .LBB59_75
.LBB59_59:                              ;   in Loop: Header=BB59_50 Depth=1
	s_or_b64 exec, exec, s[38:39]
	s_and_saveexec_b64 s[38:39], s[18:19]
	s_cbranch_execnz .LBB59_76
.LBB59_60:                              ;   in Loop: Header=BB59_50 Depth=1
	s_or_b64 exec, exec, s[38:39]
	s_and_saveexec_b64 s[38:39], s[20:21]
	s_cbranch_execnz .LBB59_77
.LBB59_61:                              ;   in Loop: Header=BB59_50 Depth=1
	s_or_b64 exec, exec, s[38:39]
	s_and_saveexec_b64 s[38:39], s[22:23]
	s_cbranch_execnz .LBB59_78
.LBB59_62:                              ;   in Loop: Header=BB59_50 Depth=1
	s_or_b64 exec, exec, s[38:39]
	s_and_saveexec_b64 s[38:39], s[24:25]
	s_cbranch_execnz .LBB59_79
.LBB59_63:                              ;   in Loop: Header=BB59_50 Depth=1
	s_or_b64 exec, exec, s[38:39]
	s_and_saveexec_b64 s[38:39], s[26:27]
	s_cbranch_execnz .LBB59_80
.LBB59_64:                              ;   in Loop: Header=BB59_50 Depth=1
	s_or_b64 exec, exec, s[38:39]
	s_and_saveexec_b64 s[38:39], s[28:29]
	s_cbranch_execnz .LBB59_81
.LBB59_65:                              ;   in Loop: Header=BB59_50 Depth=1
	s_or_b64 exec, exec, s[38:39]
	s_and_saveexec_b64 s[38:39], s[30:31]
	s_cbranch_execnz .LBB59_82
.LBB59_66:                              ;   in Loop: Header=BB59_50 Depth=1
	s_or_b64 exec, exec, s[38:39]
	s_and_saveexec_b64 s[30:31], vcc
	s_cbranch_execz .LBB59_49
	s_branch .LBB59_83
.LBB59_67:                              ;   in Loop: Header=BB59_50 Depth=1
	v_mov_b32_e32 v13, s44
	ds_read_b32 v13, v13
	s_waitcnt lgkmcnt(0)
	v_add_u32_e32 v12, v13, v12
	s_or_b64 exec, exec, s[38:39]
	s_and_saveexec_b64 s[38:39], s[2:3]
	s_cbranch_execz .LBB59_52
.LBB59_68:                              ;   in Loop: Header=BB59_50 Depth=1
	v_mov_b32_e32 v13, s45
	ds_read_b32 v13, v13
	s_waitcnt lgkmcnt(0)
	v_add_u32_e32 v12, v13, v12
	s_or_b64 exec, exec, s[38:39]
	s_and_saveexec_b64 s[38:39], s[4:5]
	s_cbranch_execz .LBB59_53
.LBB59_69:                              ;   in Loop: Header=BB59_50 Depth=1
	v_mov_b32_e32 v13, s47
	ds_read_b32 v13, v13
	s_waitcnt lgkmcnt(0)
	v_add_u32_e32 v12, v13, v12
	s_or_b64 exec, exec, s[38:39]
	s_and_saveexec_b64 s[38:39], s[6:7]
	s_cbranch_execz .LBB59_54
.LBB59_70:                              ;   in Loop: Header=BB59_50 Depth=1
	v_mov_b32_e32 v13, s49
	ds_read_b32 v13, v13
	s_waitcnt lgkmcnt(0)
	v_add_u32_e32 v12, v13, v12
	s_or_b64 exec, exec, s[38:39]
	s_and_saveexec_b64 s[38:39], s[8:9]
	s_cbranch_execz .LBB59_55
.LBB59_71:                              ;   in Loop: Header=BB59_50 Depth=1
	v_mov_b32_e32 v13, s50
	ds_read_b32 v13, v13
	s_waitcnt lgkmcnt(0)
	v_add_u32_e32 v12, v13, v12
	s_or_b64 exec, exec, s[38:39]
	s_and_saveexec_b64 s[38:39], s[10:11]
	s_cbranch_execz .LBB59_56
.LBB59_72:                              ;   in Loop: Header=BB59_50 Depth=1
	v_mov_b32_e32 v13, s51
	ds_read_b32 v13, v13
	s_waitcnt lgkmcnt(0)
	v_add_u32_e32 v12, v13, v12
	s_or_b64 exec, exec, s[38:39]
	s_and_saveexec_b64 s[38:39], s[12:13]
	s_cbranch_execz .LBB59_57
.LBB59_73:                              ;   in Loop: Header=BB59_50 Depth=1
	v_mov_b32_e32 v13, s52
	ds_read_b32 v13, v13
	s_waitcnt lgkmcnt(0)
	v_add_u32_e32 v12, v13, v12
	s_or_b64 exec, exec, s[38:39]
	s_and_saveexec_b64 s[38:39], s[14:15]
	s_cbranch_execz .LBB59_58
.LBB59_74:                              ;   in Loop: Header=BB59_50 Depth=1
	v_mov_b32_e32 v13, s53
	ds_read_b32 v13, v13
	s_waitcnt lgkmcnt(0)
	v_add_u32_e32 v12, v13, v12
	s_or_b64 exec, exec, s[38:39]
	s_and_saveexec_b64 s[38:39], s[16:17]
	s_cbranch_execz .LBB59_59
.LBB59_75:                              ;   in Loop: Header=BB59_50 Depth=1
	v_mov_b32_e32 v13, s54
	ds_read_b32 v13, v13
	s_waitcnt lgkmcnt(0)
	v_add_u32_e32 v12, v13, v12
	s_or_b64 exec, exec, s[38:39]
	s_and_saveexec_b64 s[38:39], s[18:19]
	s_cbranch_execz .LBB59_60
.LBB59_76:                              ;   in Loop: Header=BB59_50 Depth=1
	v_mov_b32_e32 v13, s55
	ds_read_b32 v13, v13
	s_waitcnt lgkmcnt(0)
	v_add_u32_e32 v12, v13, v12
	s_or_b64 exec, exec, s[38:39]
	s_and_saveexec_b64 s[38:39], s[20:21]
	s_cbranch_execz .LBB59_61
.LBB59_77:                              ;   in Loop: Header=BB59_50 Depth=1
	v_mov_b32_e32 v13, s56
	ds_read_b32 v13, v13
	s_waitcnt lgkmcnt(0)
	v_add_u32_e32 v12, v13, v12
	s_or_b64 exec, exec, s[38:39]
	s_and_saveexec_b64 s[38:39], s[22:23]
	s_cbranch_execz .LBB59_62
.LBB59_78:                              ;   in Loop: Header=BB59_50 Depth=1
	v_mov_b32_e32 v13, s57
	ds_read_b32 v13, v13
	s_waitcnt lgkmcnt(0)
	v_add_u32_e32 v12, v13, v12
	s_or_b64 exec, exec, s[38:39]
	s_and_saveexec_b64 s[38:39], s[24:25]
	s_cbranch_execz .LBB59_63
.LBB59_79:                              ;   in Loop: Header=BB59_50 Depth=1
	v_mov_b32_e32 v13, s58
	ds_read_b32 v13, v13
	s_waitcnt lgkmcnt(0)
	v_add_u32_e32 v12, v13, v12
	s_or_b64 exec, exec, s[38:39]
	s_and_saveexec_b64 s[38:39], s[26:27]
	s_cbranch_execz .LBB59_64
.LBB59_80:                              ;   in Loop: Header=BB59_50 Depth=1
	v_mov_b32_e32 v13, s59
	ds_read_b32 v13, v13
	s_waitcnt lgkmcnt(0)
	v_add_u32_e32 v12, v13, v12
	s_or_b64 exec, exec, s[38:39]
	s_and_saveexec_b64 s[38:39], s[28:29]
	s_cbranch_execz .LBB59_65
.LBB59_81:                              ;   in Loop: Header=BB59_50 Depth=1
	v_mov_b32_e32 v13, s60
	ds_read_b32 v13, v13
	s_waitcnt lgkmcnt(0)
	v_add_u32_e32 v12, v13, v12
	s_or_b64 exec, exec, s[38:39]
	s_and_saveexec_b64 s[38:39], s[30:31]
	s_cbranch_execz .LBB59_66
.LBB59_82:                              ;   in Loop: Header=BB59_50 Depth=1
	v_add3_u32 v13, v7, -1, v12
	v_lshl_add_u32 v14, v13, 2, 0
	v_lshl_add_u32 v13, v13, 3, 0
	v_add_u32_e32 v13, 0x8000, v13
	ds_write_b32 v14, v11
	ds_write2_b32 v13, v4, v5 offset1:1
	s_or_b64 exec, exec, s[38:39]
	s_and_saveexec_b64 s[30:31], vcc
	s_cbranch_execz .LBB59_49
.LBB59_83:                              ;   in Loop: Header=BB59_50 Depth=1
	v_mov_b32_e32 v4, s61
	ds_write_b32 v4, v12
	s_branch .LBB59_49
.LBB59_84:
	s_or_b64 exec, exec, s[36:37]
	s_ashr_i32 s49, s48, 31
	s_lshl_b64 s[0:1], s[48:49], 2
	s_add_u32 s0, s40, s0
	s_addc_u32 s1, s41, s1
	s_load_dwordx2 s[0:1], s[0:1], 0x0
	s_waitcnt lgkmcnt(0)
	s_sub_i32 s14, s1, s0
	v_cmp_gt_i32_e32 vcc, s14, v0
	s_and_saveexec_b64 s[2:3], vcc
	s_cbranch_execz .LBB59_99
; %bb.85:
	s_sub_i32 s6, s0, s46
	s_add_i32 s0, s14, -2
	s_lshr_b32 s1, s0, 1
	s_add_i32 s2, s1, 1
	s_cmp_gt_u32 s14, 1
	s_cselect_b64 s[8:9], -1, 0
	s_and_b32 s15, s14, -2
	s_and_b32 s4, s2, 7
	s_cmp_gt_u32 s0, 13
	s_cselect_b64 s[0:1], -1, 0
	s_and_b32 s16, s2, -8
	s_cmp_lg_u32 s4, 0
	s_cselect_b64 s[2:3], -1, 0
	v_cndmask_b32_e64 v1, 0, 1, s[0:1]
	s_cmp_lg_u32 s14, s15
	v_cmp_ne_u32_e64 s[0:1], 1, v1
	v_cndmask_b32_e64 v1, 0, 1, s[2:3]
	s_mov_b32 s7, 0
	s_cselect_b64 s[10:11], -1, 0
	s_lshl_b32 s17, s4, 3
	s_mov_b64 s[12:13], 0
	s_mov_b32 s18, 0x8000
	v_cmp_ne_u32_e64 s[2:3], 1, v1
	v_mov_b32_e32 v1, s43
	v_mov_b32_e32 v6, s35
	s_branch .LBB59_87
.LBB59_86:                              ;   in Loop: Header=BB59_87 Depth=1
	v_ashrrev_i32_e32 v5, 31, v4
	v_lshlrev_b64 v[8:9], 2, v[4:5]
	v_add_co_u32_e32 v8, vcc, s42, v8
	v_addc_co_u32_e32 v9, vcc, v1, v9, vcc
	v_lshlrev_b64 v[4:5], 3, v[4:5]
	v_add_co_u32_e32 v4, vcc, s34, v4
	v_addc_co_u32_e32 v5, vcc, v6, v5, vcc
	v_add_u32_e32 v0, 0x400, v0
	v_cmp_le_i32_e32 vcc, s14, v0
	s_waitcnt lgkmcnt(1)
	v_add_u32_e32 v7, s46, v7
	s_or_b64 s[12:13], vcc, s[12:13]
	global_store_dword v[8:9], v7, off
	s_waitcnt lgkmcnt(0)
	global_store_dwordx2 v[4:5], v[2:3], off
	s_andn2_b64 exec, exec, s[12:13]
	s_cbranch_execz .LBB59_99
.LBB59_87:                              ; =>This Loop Header: Depth=1
                                        ;     Child Loop BB59_90 Depth 2
                                        ;     Child Loop BB59_95 Depth 2
                                        ;     Child Loop BB59_98 Depth 2
	v_lshlrev_b32_e32 v2, 2, v0
	v_add_u32_e32 v3, 0, v2
	v_add3_u32 v2, v3, v2, s18
	ds_read_b32 v7, v3
	ds_read2_b32 v[2:3], v2 offset1:1
	s_and_b64 vcc, exec, s[8:9]
	s_cbranch_vccz .LBB59_92
; %bb.88:                               ;   in Loop: Header=BB59_87 Depth=1
	s_and_b64 vcc, exec, s[0:1]
	s_cbranch_vccnz .LBB59_93
; %bb.89:                               ;   in Loop: Header=BB59_87 Depth=1
	s_mov_b32 s20, 0
	v_mov_b32_e32 v4, s6
	v_mov_b32_e32 v5, 0
	s_mov_b32 s21, s16
	s_mov_b32 s19, 0
.LBB59_90:                              ;   Parent Loop BB59_87 Depth=1
                                        ; =>  This Inner Loop Header: Depth=2
	v_mov_b32_e32 v22, s20
	ds_read2_b32 v[8:9], v22 offset1:1
	ds_read2_b32 v[10:11], v22 offset0:2 offset1:3
	ds_read2_b32 v[12:13], v22 offset0:4 offset1:5
	;; [unrolled: 1-line block ×7, first 2 shown]
	s_waitcnt lgkmcnt(7)
	v_cmp_gt_i32_e32 vcc, v7, v9
	v_cndmask_b32_e64 v9, 0, 1, vcc
	v_cmp_gt_i32_e32 vcc, v7, v8
	s_waitcnt lgkmcnt(5)
	v_cmp_gt_i32_e64 s[4:5], v7, v12
	v_cndmask_b32_e64 v8, 0, 1, vcc
	v_cmp_gt_i32_e32 vcc, v7, v11
	v_cndmask_b32_e64 v11, 0, 1, s[4:5]
	v_cmp_gt_i32_e64 s[4:5], v7, v13
	v_cndmask_b32_e64 v12, 0, 1, s[4:5]
	s_waitcnt lgkmcnt(3)
	v_cmp_gt_i32_e64 s[4:5], v7, v17
	v_cndmask_b32_e64 v13, 0, 1, s[4:5]
	v_cmp_gt_i32_e64 s[4:5], v7, v16
	v_cndmask_b32_e64 v16, 0, 1, s[4:5]
	s_waitcnt lgkmcnt(1)
	v_cmp_gt_i32_e64 s[4:5], v7, v20
	v_cndmask_b32_e64 v17, 0, 1, s[4:5]
	v_cmp_gt_i32_e64 s[4:5], v7, v21
	v_cndmask_b32_e64 v20, 0, 1, s[4:5]
	v_cmp_gt_i32_e64 s[4:5], v7, v10
	v_addc_co_u32_e64 v4, s[4:5], v4, v8, s[4:5]
	v_addc_co_u32_e32 v5, vcc, v5, v9, vcc
	v_cmp_gt_i32_e32 vcc, v7, v14
	v_cmp_gt_i32_e64 s[4:5], v7, v15
	v_addc_co_u32_e64 v5, s[4:5], v5, v12, s[4:5]
	v_addc_co_u32_e32 v4, vcc, v4, v11, vcc
	v_cmp_gt_i32_e32 vcc, v7, v19
	v_cmp_gt_i32_e64 s[4:5], v7, v18
	v_addc_co_u32_e64 v4, s[4:5], v4, v16, s[4:5]
	v_addc_co_u32_e32 v5, vcc, v5, v13, vcc
	s_add_i32 s19, s19, 16
	s_add_i32 s20, s20, 64
	s_add_i32 s21, s21, -8
	s_waitcnt lgkmcnt(0)
	v_cmp_gt_i32_e32 vcc, v7, v22
	v_cmp_gt_i32_e64 s[4:5], v7, v23
	s_cmp_lg_u32 s21, 0
	v_addc_co_u32_e64 v5, s[4:5], v5, v20, s[4:5]
	v_addc_co_u32_e32 v4, vcc, v4, v17, vcc
	s_cbranch_scc1 .LBB59_90
; %bb.91:                               ;   in Loop: Header=BB59_87 Depth=1
	s_and_b64 vcc, exec, s[2:3]
	s_cbranch_vccz .LBB59_94
	s_branch .LBB59_96
.LBB59_92:                              ;   in Loop: Header=BB59_87 Depth=1
	v_mov_b32_e32 v4, s6
	s_mov_b32 s19, 0
	s_cbranch_execz .LBB59_86
	s_branch .LBB59_97
.LBB59_93:                              ;   in Loop: Header=BB59_87 Depth=1
	v_pk_mov_b32 v[4:5], s[6:7], s[6:7] op_sel:[0,1]
	s_mov_b32 s19, 0
	s_and_b64 vcc, exec, s[2:3]
	s_cbranch_vccnz .LBB59_96
.LBB59_94:                              ;   in Loop: Header=BB59_87 Depth=1
	s_lshl_b32 s4, s19, 2
	s_add_i32 s4, s4, 0
	s_mov_b32 s5, s17
.LBB59_95:                              ;   Parent Loop BB59_87 Depth=1
                                        ; =>  This Inner Loop Header: Depth=2
	v_mov_b32_e32 v8, s4
	ds_read2_b32 v[8:9], v8 offset1:1
	s_add_i32 s4, s4, 8
	s_add_i32 s5, s5, -8
	s_cmp_lg_u32 s5, 0
	s_waitcnt lgkmcnt(0)
	v_cmp_gt_i32_e32 vcc, v7, v9
	v_addc_co_u32_e32 v5, vcc, 0, v5, vcc
	v_cmp_gt_i32_e32 vcc, v7, v8
	v_addc_co_u32_e32 v4, vcc, 0, v4, vcc
	s_cbranch_scc1 .LBB59_95
.LBB59_96:                              ;   in Loop: Header=BB59_87 Depth=1
	v_add_u32_e32 v4, v4, v5
	s_mov_b32 s19, s15
	s_mov_b64 s[4:5], s[10:11]
	s_and_b64 vcc, exec, s[4:5]
	s_cbranch_vccz .LBB59_86
.LBB59_97:                              ;   in Loop: Header=BB59_87 Depth=1
	s_lshl_b32 s4, s19, 2
	s_add_i32 s4, s4, 0
.LBB59_98:                              ;   Parent Loop BB59_87 Depth=1
                                        ; =>  This Inner Loop Header: Depth=2
	v_mov_b32_e32 v5, s4
	ds_read_b32 v5, v5
	s_add_i32 s19, s19, 1
	s_add_i32 s4, s4, 4
	s_cmp_ge_i32 s19, s14
	s_waitcnt lgkmcnt(0)
	v_cmp_gt_i32_e32 vcc, v7, v5
	v_addc_co_u32_e32 v4, vcc, 0, v4, vcc
	s_cbranch_scc0 .LBB59_98
	s_branch .LBB59_86
.LBB59_99:
	s_endpgm
	.section	.rodata,"a",@progbits
	.p2align	6, 0x0
	.amdhsa_kernel _ZN9rocsparseL26csrgemm_fill_block_per_rowILj1024ELj64ELj8192ELj137ELj64Eii21rocsparse_complex_numIfEEEvT5_PKS3_S5_NS_24const_host_device_scalarIT6_EEPKT4_S5_PKS7_SB_S5_SD_S8_SB_S5_SD_SB_PS3_PS7_21rocsparse_index_base_SG_SG_SG_bbb
		.amdhsa_group_segment_fixed_size 0
		.amdhsa_private_segment_fixed_size 0
		.amdhsa_kernarg_size 156
		.amdhsa_user_sgpr_count 6
		.amdhsa_user_sgpr_private_segment_buffer 1
		.amdhsa_user_sgpr_dispatch_ptr 0
		.amdhsa_user_sgpr_queue_ptr 0
		.amdhsa_user_sgpr_kernarg_segment_ptr 1
		.amdhsa_user_sgpr_dispatch_id 0
		.amdhsa_user_sgpr_flat_scratch_init 0
		.amdhsa_user_sgpr_kernarg_preload_length 0
		.amdhsa_user_sgpr_kernarg_preload_offset 0
		.amdhsa_user_sgpr_private_segment_size 0
		.amdhsa_uses_dynamic_stack 0
		.amdhsa_system_sgpr_private_segment_wavefront_offset 0
		.amdhsa_system_sgpr_workgroup_id_x 1
		.amdhsa_system_sgpr_workgroup_id_y 0
		.amdhsa_system_sgpr_workgroup_id_z 0
		.amdhsa_system_sgpr_workgroup_info 0
		.amdhsa_system_vgpr_workitem_id 0
		.amdhsa_next_free_vgpr 24
		.amdhsa_next_free_sgpr 63
		.amdhsa_accum_offset 24
		.amdhsa_reserve_vcc 1
		.amdhsa_reserve_flat_scratch 0
		.amdhsa_float_round_mode_32 0
		.amdhsa_float_round_mode_16_64 0
		.amdhsa_float_denorm_mode_32 3
		.amdhsa_float_denorm_mode_16_64 3
		.amdhsa_dx10_clamp 1
		.amdhsa_ieee_mode 1
		.amdhsa_fp16_overflow 0
		.amdhsa_tg_split 0
		.amdhsa_exception_fp_ieee_invalid_op 0
		.amdhsa_exception_fp_denorm_src 0
		.amdhsa_exception_fp_ieee_div_zero 0
		.amdhsa_exception_fp_ieee_overflow 0
		.amdhsa_exception_fp_ieee_underflow 0
		.amdhsa_exception_fp_ieee_inexact 0
		.amdhsa_exception_int_div_zero 0
	.end_amdhsa_kernel
	.section	.text._ZN9rocsparseL26csrgemm_fill_block_per_rowILj1024ELj64ELj8192ELj137ELj64Eii21rocsparse_complex_numIfEEEvT5_PKS3_S5_NS_24const_host_device_scalarIT6_EEPKT4_S5_PKS7_SB_S5_SD_S8_SB_S5_SD_SB_PS3_PS7_21rocsparse_index_base_SG_SG_SG_bbb,"axG",@progbits,_ZN9rocsparseL26csrgemm_fill_block_per_rowILj1024ELj64ELj8192ELj137ELj64Eii21rocsparse_complex_numIfEEEvT5_PKS3_S5_NS_24const_host_device_scalarIT6_EEPKT4_S5_PKS7_SB_S5_SD_S8_SB_S5_SD_SB_PS3_PS7_21rocsparse_index_base_SG_SG_SG_bbb,comdat
.Lfunc_end59:
	.size	_ZN9rocsparseL26csrgemm_fill_block_per_rowILj1024ELj64ELj8192ELj137ELj64Eii21rocsparse_complex_numIfEEEvT5_PKS3_S5_NS_24const_host_device_scalarIT6_EEPKT4_S5_PKS7_SB_S5_SD_S8_SB_S5_SD_SB_PS3_PS7_21rocsparse_index_base_SG_SG_SG_bbb, .Lfunc_end59-_ZN9rocsparseL26csrgemm_fill_block_per_rowILj1024ELj64ELj8192ELj137ELj64Eii21rocsparse_complex_numIfEEEvT5_PKS3_S5_NS_24const_host_device_scalarIT6_EEPKT4_S5_PKS7_SB_S5_SD_S8_SB_S5_SD_SB_PS3_PS7_21rocsparse_index_base_SG_SG_SG_bbb
                                        ; -- End function
	.section	.AMDGPU.csdata,"",@progbits
; Kernel info:
; codeLenInByte = 3748
; NumSgprs: 67
; NumVgprs: 24
; NumAgprs: 0
; TotalNumVgprs: 24
; ScratchSize: 0
; MemoryBound: 0
; FloatMode: 240
; IeeeMode: 1
; LDSByteSize: 0 bytes/workgroup (compile time only)
; SGPRBlocks: 8
; VGPRBlocks: 2
; NumSGPRsForWavesPerEU: 67
; NumVGPRsForWavesPerEU: 24
; AccumOffset: 24
; Occupancy: 8
; WaveLimiterHint : 1
; COMPUTE_PGM_RSRC2:SCRATCH_EN: 0
; COMPUTE_PGM_RSRC2:USER_SGPR: 6
; COMPUTE_PGM_RSRC2:TRAP_HANDLER: 0
; COMPUTE_PGM_RSRC2:TGID_X_EN: 1
; COMPUTE_PGM_RSRC2:TGID_Y_EN: 0
; COMPUTE_PGM_RSRC2:TGID_Z_EN: 0
; COMPUTE_PGM_RSRC2:TIDIG_COMP_CNT: 0
; COMPUTE_PGM_RSRC3_GFX90A:ACCUM_OFFSET: 5
; COMPUTE_PGM_RSRC3_GFX90A:TG_SPLIT: 0
	.section	.text._ZN9rocsparseL26csrgemm_fill_block_per_rowILj1024ELj64ELj16384ELj137ELj32Eii21rocsparse_complex_numIfEEEvT5_PKS3_S5_NS_24const_host_device_scalarIT6_EEPKT4_S5_PKS7_SB_S5_SD_S8_SB_S5_SD_SB_PS3_PS7_21rocsparse_index_base_SG_SG_SG_bbb,"axG",@progbits,_ZN9rocsparseL26csrgemm_fill_block_per_rowILj1024ELj64ELj16384ELj137ELj32Eii21rocsparse_complex_numIfEEEvT5_PKS3_S5_NS_24const_host_device_scalarIT6_EEPKT4_S5_PKS7_SB_S5_SD_S8_SB_S5_SD_SB_PS3_PS7_21rocsparse_index_base_SG_SG_SG_bbb,comdat
	.globl	_ZN9rocsparseL26csrgemm_fill_block_per_rowILj1024ELj64ELj16384ELj137ELj32Eii21rocsparse_complex_numIfEEEvT5_PKS3_S5_NS_24const_host_device_scalarIT6_EEPKT4_S5_PKS7_SB_S5_SD_S8_SB_S5_SD_SB_PS3_PS7_21rocsparse_index_base_SG_SG_SG_bbb ; -- Begin function _ZN9rocsparseL26csrgemm_fill_block_per_rowILj1024ELj64ELj16384ELj137ELj32Eii21rocsparse_complex_numIfEEEvT5_PKS3_S5_NS_24const_host_device_scalarIT6_EEPKT4_S5_PKS7_SB_S5_SD_S8_SB_S5_SD_SB_PS3_PS7_21rocsparse_index_base_SG_SG_SG_bbb
	.p2align	8
	.type	_ZN9rocsparseL26csrgemm_fill_block_per_rowILj1024ELj64ELj16384ELj137ELj32Eii21rocsparse_complex_numIfEEEvT5_PKS3_S5_NS_24const_host_device_scalarIT6_EEPKT4_S5_PKS7_SB_S5_SD_S8_SB_S5_SD_SB_PS3_PS7_21rocsparse_index_base_SG_SG_SG_bbb,@function
_ZN9rocsparseL26csrgemm_fill_block_per_rowILj1024ELj64ELj16384ELj137ELj32Eii21rocsparse_complex_numIfEEEvT5_PKS3_S5_NS_24const_host_device_scalarIT6_EEPKT4_S5_PKS7_SB_S5_SD_S8_SB_S5_SD_SB_PS3_PS7_21rocsparse_index_base_SG_SG_SG_bbb: ; @_ZN9rocsparseL26csrgemm_fill_block_per_rowILj1024ELj64ELj16384ELj137ELj32Eii21rocsparse_complex_numIfEEEvT5_PKS3_S5_NS_24const_host_device_scalarIT6_EEPKT4_S5_PKS7_SB_S5_SD_S8_SB_S5_SD_SB_PS3_PS7_21rocsparse_index_base_SG_SG_SG_bbb
; %bb.0:
	s_load_dwordx8 s[44:51], s[4:5], 0x60
	s_load_dwordx8 s[8:15], s[4:5], 0x40
	s_load_dword s7, s[4:5], 0x98
	s_load_dwordx4 s[24:27], s[4:5], 0x8
	s_load_dwordx8 s[16:23], s[4:5], 0x20
	s_load_dwordx2 s[0:1], s[4:5], 0x80
                                        ; implicit-def: $vgpr24 : SGPR spill to VGPR lane
	s_load_dwordx4 s[72:75], s[4:5], 0x88
	s_waitcnt lgkmcnt(0)
	s_bitcmp1_b32 s7, 0
	s_cselect_b64 s[30:31], -1, 0
	s_bitcmp1_b32 s7, 16
	v_writelane_b32 v24, s0, 0
	v_writelane_b32 v24, s1, 1
	s_cselect_b64 s[0:1], -1, 0
	s_xor_b64 s[0:1], s[0:1], -1
	v_cndmask_b32_e64 v1, 0, 1, s[0:1]
	s_mov_b32 s3, 0
	s_bitcmp0_b32 s7, 0
	v_cmp_ne_u32_e64 s[0:1], 1, v1
	s_mov_b32 s40, 0
	s_cbranch_scc1 .LBB60_5
; %bb.1:
	s_load_dwordx2 s[2:3], s[4:5], 0x18
	s_and_b64 vcc, exec, s[0:1]
	s_waitcnt lgkmcnt(0)
	s_mov_b32 s40, s2
	s_cbranch_vccnz .LBB60_3
; %bb.2:
	s_load_dword s40, s[2:3], 0x0
.LBB60_3:
	s_and_b64 vcc, exec, s[0:1]
	s_cbranch_vccnz .LBB60_5
; %bb.4:
	s_load_dword s3, s[2:3], 0x4
.LBB60_5:
	s_bitcmp1_b32 s7, 8
	s_cselect_b64 s[28:29], -1, 0
	s_bfe_u32 s2, s7, 0x10008
	s_mov_b32 s39, 0
	s_cmp_eq_u32 s2, 0
	s_mov_b32 s38, 0
	s_cbranch_scc1 .LBB60_11
; %bb.6:
	s_and_b64 vcc, exec, s[0:1]
	s_mov_b32 s38, s12
	s_cbranch_vccnz .LBB60_8
; %bb.7:
	s_load_dword s38, s[12:13], 0x0
.LBB60_8:
	s_and_b64 vcc, exec, s[0:1]
	s_cbranch_vccnz .LBB60_10
; %bb.9:
	s_load_dword s13, s[12:13], 0x4
.LBB60_10:
	s_waitcnt lgkmcnt(0)
	s_mov_b32 s39, s13
.LBB60_11:
	s_load_dword s33, s[4:5], 0x0
	v_lshl_add_u32 v2, v0, 3, 0
	v_or_b32_e32 v1, 0xfffffc00, v0
	v_add_u32_e32 v6, 0x10000, v2
	v_lshl_add_u32 v7, v0, 2, 0
	s_mov_b64 s[0:1], 0
	s_waitcnt lgkmcnt(0)
	v_mov_b32_e32 v2, s33
	v_mov_b32_e32 v3, 0
	s_movk_i32 s2, 0x3bff
	v_mov_b32_e32 v4, v7
	v_mov_b32_e32 v5, v6
	v_mov_b32_e32 v8, v1
.LBB60_12:                              ; =>This Inner Loop Header: Depth=1
	v_add_u32_e32 v8, 0x400, v8
	v_cmp_lt_u32_e32 vcc, s2, v8
	ds_write_b32 v4, v2
	ds_write2_b32 v5, v3, v3 offset1:1
	v_add_u32_e32 v5, 0x2000, v5
	s_or_b64 s[0:1], vcc, s[0:1]
	v_add_u32_e32 v4, 0x1000, v4
	s_andn2_b64 exec, exec, s[0:1]
	s_cbranch_execnz .LBB60_12
; %bb.13:
	s_or_b64 exec, exec, s[0:1]
	s_waitcnt lgkmcnt(0)
	s_barrier
	s_load_dword s0, s[24:25], 0x0
	s_mov_b32 s1, 0
	s_waitcnt lgkmcnt(0)
	s_add_i32 s0, s0, s6
	s_lshl_b64 s[0:1], s[0:1], 2
	s_add_u32 s0, s26, s0
	s_addc_u32 s1, s27, s1
	s_load_dword s52, s[0:1], 0x0
	s_and_b64 vcc, exec, s[30:31]
	s_cbranch_vccz .LBB60_33
; %bb.14:
	s_waitcnt lgkmcnt(0)
	s_ashr_i32 s53, s52, 31
	s_lshl_b64 s[0:1], s[52:53], 2
	s_add_u32 s0, s16, s0
	s_addc_u32 s1, s17, s1
	s_load_dwordx2 s[0:1], s[0:1], 0x0
	v_lshrrev_b32_e32 v2, 6, v0
	v_subrev_u32_e32 v2, s72, v2
	s_waitcnt lgkmcnt(0)
	s_sub_i32 s2, s1, s72
	v_add_u32_e32 v2, s0, v2
	v_cmp_gt_i32_e32 vcc, s2, v2
	s_and_saveexec_b64 s[0:1], vcc
	s_cbranch_execz .LBB60_32
; %bb.15:
	v_and_b32_e32 v3, 63, v0
	v_subrev_u32_e32 v8, s73, v3
	s_mov_b64 s[4:5], 0
	v_mov_b32_e32 v9, s19
	v_mov_b32_e32 v10, s23
	s_movk_i32 s19, 0x89
	s_branch .LBB60_17
.LBB60_16:                              ;   in Loop: Header=BB60_17 Depth=1
	s_or_b64 exec, exec, s[6:7]
	v_add_u32_e32 v2, 16, v2
	v_cmp_le_i32_e32 vcc, s2, v2
	s_or_b64 s[4:5], vcc, s[4:5]
	s_andn2_b64 exec, exec, s[4:5]
	s_cbranch_execz .LBB60_32
.LBB60_17:                              ; =>This Loop Header: Depth=1
                                        ;     Child Loop BB60_20 Depth 2
                                        ;       Child Loop BB60_22 Depth 3
	v_ashrrev_i32_e32 v3, 31, v2
	v_lshlrev_b64 v[4:5], 2, v[2:3]
	v_add_co_u32_e32 v4, vcc, s18, v4
	v_addc_co_u32_e32 v5, vcc, v9, v5, vcc
	global_load_dword v4, v[4:5], off
	s_waitcnt vmcnt(0)
	v_subrev_u32_e32 v4, s72, v4
	v_ashrrev_i32_e32 v5, 31, v4
	v_lshlrev_b64 v[4:5], 2, v[4:5]
	v_add_co_u32_e32 v4, vcc, s22, v4
	v_addc_co_u32_e32 v5, vcc, v10, v5, vcc
	global_load_dwordx2 v[4:5], v[4:5], off
	s_waitcnt vmcnt(0)
	v_subrev_u32_e32 v11, s73, v5
	v_add_u32_e32 v4, v4, v8
	v_cmp_lt_i32_e32 vcc, v4, v11
	s_and_saveexec_b64 s[6:7], vcc
	s_cbranch_execz .LBB60_16
; %bb.18:                               ;   in Loop: Header=BB60_17 Depth=1
	v_lshlrev_b64 v[12:13], 3, v[2:3]
	v_mov_b32_e32 v3, s21
	v_add_co_u32_e32 v12, vcc, s20, v12
	v_addc_co_u32_e32 v13, vcc, v3, v13, vcc
	global_load_dwordx2 v[14:15], v[12:13], off
	s_mov_b64 s[12:13], 0
	s_waitcnt vmcnt(0)
	v_mul_f32_e64 v3, v15, -s3
	v_mul_f32_e32 v12, s40, v15
	v_fmac_f32_e32 v3, s40, v14
	v_fmac_f32_e32 v12, s3, v14
	s_branch .LBB60_20
.LBB60_19:                              ;   in Loop: Header=BB60_20 Depth=2
	s_or_b64 exec, exec, s[16:17]
	v_add_u32_e32 v4, 64, v4
	v_cmp_ge_i32_e32 vcc, v4, v11
	s_or_b64 s[12:13], vcc, s[12:13]
	s_andn2_b64 exec, exec, s[12:13]
	s_cbranch_execz .LBB60_16
.LBB60_20:                              ;   Parent Loop BB60_17 Depth=1
                                        ; =>  This Loop Header: Depth=2
                                        ;       Child Loop BB60_22 Depth 3
	v_ashrrev_i32_e32 v5, 31, v4
	v_lshlrev_b64 v[14:15], 2, v[4:5]
	v_mov_b32_e32 v13, s9
	v_add_co_u32_e32 v14, vcc, s8, v14
	v_addc_co_u32_e32 v15, vcc, v13, v15, vcc
	global_load_dword v13, v[14:15], off
	v_lshlrev_b64 v[14:15], 3, v[4:5]
	v_mov_b32_e32 v5, s11
	v_add_co_u32_e32 v14, vcc, s10, v14
	v_addc_co_u32_e32 v15, vcc, v5, v15, vcc
	global_load_dwordx2 v[16:17], v[14:15], off
	s_mov_b64 s[16:17], 0
	s_waitcnt vmcnt(1)
	v_subrev_u32_e32 v5, s73, v13
	v_mul_lo_u32 v15, v5, s19
	v_and_b32_e32 v15, 0x3fff, v15
	s_waitcnt vmcnt(0)
	v_mul_f32_e64 v13, v17, -v12
	v_mul_f32_e32 v14, v3, v17
	v_fmac_f32_e32 v13, v3, v16
	v_fmac_f32_e32 v14, v12, v16
	s_branch .LBB60_22
.LBB60_21:                              ;   in Loop: Header=BB60_22 Depth=3
	s_or_b64 exec, exec, s[24:25]
	s_xor_b64 s[24:25], s[26:27], -1
	s_and_b64 s[24:25], exec, s[24:25]
	s_or_b64 s[16:17], s[24:25], s[16:17]
	s_andn2_b64 exec, exec, s[16:17]
	s_cbranch_execz .LBB60_19
.LBB60_22:                              ;   Parent Loop BB60_17 Depth=1
                                        ;     Parent Loop BB60_20 Depth=2
                                        ; =>    This Inner Loop Header: Depth=3
	v_lshl_add_u32 v16, v15, 2, 0
	ds_read_b32 v17, v16
                                        ; implicit-def: $sgpr26_sgpr27
	s_waitcnt lgkmcnt(0)
	v_cmp_ne_u32_e32 vcc, v17, v5
	s_and_saveexec_b64 s[24:25], vcc
	s_xor_b64 s[24:25], exec, s[24:25]
	s_cbranch_execz .LBB60_30
; %bb.23:                               ;   in Loop: Header=BB60_22 Depth=3
	v_cmp_ne_u32_e32 vcc, s33, v17
                                        ; implicit-def: $sgpr26_sgpr27
	s_and_saveexec_b64 s[30:31], vcc
	s_xor_b64 s[30:31], exec, s[30:31]
; %bb.24:                               ;   in Loop: Header=BB60_22 Depth=3
	v_add_u32_e32 v15, 1, v15
	v_and_b32_e32 v15, 0x3fff, v15
	s_mov_b64 s[26:27], -1
                                        ; implicit-def: $vgpr16
; %bb.25:                               ;   in Loop: Header=BB60_22 Depth=3
	s_andn2_saveexec_b64 s[30:31], s[30:31]
	s_cbranch_execz .LBB60_29
; %bb.26:                               ;   in Loop: Header=BB60_22 Depth=3
	v_mov_b32_e32 v17, s33
	ds_cmpst_rtn_b32 v16, v16, v17, v5
	s_mov_b64 s[36:37], -1
	s_waitcnt lgkmcnt(0)
	v_cmp_eq_u32_e32 vcc, s33, v16
	s_and_saveexec_b64 s[34:35], vcc
	s_cbranch_execz .LBB60_28
; %bb.27:                               ;   in Loop: Header=BB60_22 Depth=3
	v_lshl_add_u32 v16, v15, 3, 0
	v_add_u32_e32 v16, 0x10000, v16
	ds_add_f32 v16, v13
	ds_add_f32 v16, v14 offset:4
	s_xor_b64 s[36:37], exec, -1
.LBB60_28:                              ;   in Loop: Header=BB60_22 Depth=3
	s_or_b64 exec, exec, s[34:35]
	s_andn2_b64 s[26:27], s[26:27], exec
	s_and_b64 s[34:35], s[36:37], exec
	s_or_b64 s[26:27], s[26:27], s[34:35]
.LBB60_29:                              ;   in Loop: Header=BB60_22 Depth=3
	s_or_b64 exec, exec, s[30:31]
	s_and_b64 s[26:27], s[26:27], exec
.LBB60_30:                              ;   in Loop: Header=BB60_22 Depth=3
	s_andn2_saveexec_b64 s[24:25], s[24:25]
	s_cbranch_execz .LBB60_21
; %bb.31:                               ;   in Loop: Header=BB60_22 Depth=3
	v_lshl_add_u32 v16, v15, 3, 0
	v_add_u32_e32 v16, 0x10000, v16
	ds_add_f32 v16, v13
	ds_add_f32 v16, v14 offset:4
	s_andn2_b64 s[26:27], s[26:27], exec
	s_branch .LBB60_21
.LBB60_32:
	s_or_b64 exec, exec, s[0:1]
.LBB60_33:
	s_andn2_b64 vcc, exec, s[28:29]
	s_cbranch_vccnz .LBB60_50
; %bb.34:
	s_waitcnt lgkmcnt(0)
	s_ashr_i32 s53, s52, 31
	s_lshl_b64 s[0:1], s[52:53], 2
	s_add_u32 s0, s14, s0
	s_addc_u32 s1, s15, s1
	s_load_dwordx2 s[0:1], s[0:1], 0x0
	v_subrev_u32_e32 v2, s75, v0
	s_waitcnt lgkmcnt(0)
	s_sub_i32 s16, s1, s75
	v_add_u32_e32 v2, s0, v2
	v_cmp_gt_i32_e32 vcc, s16, v2
	s_and_saveexec_b64 s[0:1], vcc
	s_cbranch_execz .LBB60_49
; %bb.35:
	s_mov_b64 s[2:3], 0
	v_mov_b32_e32 v4, s45
	v_mov_b32_e32 v5, s47
	s_movk_i32 s17, 0x89
	s_branch .LBB60_37
.LBB60_36:                              ;   in Loop: Header=BB60_37 Depth=1
	s_or_b64 exec, exec, s[4:5]
	v_add_u32_e32 v2, 0x400, v2
	v_cmp_le_i32_e32 vcc, s16, v2
	s_or_b64 s[2:3], vcc, s[2:3]
	s_andn2_b64 exec, exec, s[2:3]
	s_cbranch_execz .LBB60_49
.LBB60_37:                              ; =>This Loop Header: Depth=1
                                        ;     Child Loop BB60_39 Depth 2
	v_ashrrev_i32_e32 v3, 31, v2
	v_lshlrev_b64 v[8:9], 2, v[2:3]
	v_add_co_u32_e32 v8, vcc, s44, v8
	v_addc_co_u32_e32 v9, vcc, v4, v9, vcc
	global_load_dword v12, v[8:9], off
	v_lshlrev_b64 v[8:9], 3, v[2:3]
	v_add_co_u32_e32 v8, vcc, s46, v8
	v_addc_co_u32_e32 v9, vcc, v5, v9, vcc
	global_load_dwordx2 v[10:11], v[8:9], off
	s_mov_b64 s[4:5], 0
	s_waitcnt vmcnt(1)
	v_subrev_u32_e32 v3, s75, v12
	s_waitcnt vmcnt(0)
	v_mul_f32_e64 v8, v11, -s39
	v_mul_f32_e32 v9, s38, v11
	v_fmac_f32_e32 v8, s38, v10
	v_fmac_f32_e32 v9, s39, v10
	v_mul_lo_u32 v10, v3, s17
	v_and_b32_e32 v10, 0x3fff, v10
	s_branch .LBB60_39
.LBB60_38:                              ;   in Loop: Header=BB60_39 Depth=2
	s_or_b64 exec, exec, s[6:7]
	s_xor_b64 s[6:7], s[8:9], -1
	s_and_b64 s[6:7], exec, s[6:7]
	s_or_b64 s[4:5], s[6:7], s[4:5]
	s_andn2_b64 exec, exec, s[4:5]
	s_cbranch_execz .LBB60_36
.LBB60_39:                              ;   Parent Loop BB60_37 Depth=1
                                        ; =>  This Inner Loop Header: Depth=2
	v_lshl_add_u32 v11, v10, 2, 0
	ds_read_b32 v12, v11
                                        ; implicit-def: $sgpr8_sgpr9
	s_waitcnt lgkmcnt(0)
	v_cmp_ne_u32_e32 vcc, v12, v3
	s_and_saveexec_b64 s[6:7], vcc
	s_xor_b64 s[6:7], exec, s[6:7]
	s_cbranch_execz .LBB60_47
; %bb.40:                               ;   in Loop: Header=BB60_39 Depth=2
	v_cmp_ne_u32_e32 vcc, s33, v12
                                        ; implicit-def: $sgpr8_sgpr9
	s_and_saveexec_b64 s[10:11], vcc
	s_xor_b64 s[10:11], exec, s[10:11]
; %bb.41:                               ;   in Loop: Header=BB60_39 Depth=2
	v_add_u32_e32 v10, 1, v10
	v_and_b32_e32 v10, 0x3fff, v10
	s_mov_b64 s[8:9], -1
                                        ; implicit-def: $vgpr11
; %bb.42:                               ;   in Loop: Header=BB60_39 Depth=2
	s_andn2_saveexec_b64 s[10:11], s[10:11]
	s_cbranch_execz .LBB60_46
; %bb.43:                               ;   in Loop: Header=BB60_39 Depth=2
	v_mov_b32_e32 v12, s33
	ds_cmpst_rtn_b32 v11, v11, v12, v3
	s_mov_b64 s[14:15], -1
	s_waitcnt lgkmcnt(0)
	v_cmp_eq_u32_e32 vcc, s33, v11
	s_and_saveexec_b64 s[12:13], vcc
	s_cbranch_execz .LBB60_45
; %bb.44:                               ;   in Loop: Header=BB60_39 Depth=2
	v_lshl_add_u32 v11, v10, 3, 0
	v_add_u32_e32 v11, 0x10000, v11
	ds_add_f32 v11, v8
	ds_add_f32 v11, v9 offset:4
	s_xor_b64 s[14:15], exec, -1
.LBB60_45:                              ;   in Loop: Header=BB60_39 Depth=2
	s_or_b64 exec, exec, s[12:13]
	s_andn2_b64 s[8:9], s[8:9], exec
	s_and_b64 s[12:13], s[14:15], exec
	s_or_b64 s[8:9], s[8:9], s[12:13]
.LBB60_46:                              ;   in Loop: Header=BB60_39 Depth=2
	s_or_b64 exec, exec, s[10:11]
	s_and_b64 s[8:9], s[8:9], exec
.LBB60_47:                              ;   in Loop: Header=BB60_39 Depth=2
	s_andn2_saveexec_b64 s[6:7], s[6:7]
	s_cbranch_execz .LBB60_38
; %bb.48:                               ;   in Loop: Header=BB60_39 Depth=2
	v_lshl_add_u32 v11, v10, 3, 0
	v_add_u32_e32 v11, 0x10000, v11
	ds_add_f32 v11, v8
	ds_add_f32 v11, v9 offset:4
	s_andn2_b64 s[8:9], s[8:9], exec
	s_branch .LBB60_38
.LBB60_49:
	s_or_b64 exec, exec, s[0:1]
.LBB60_50:
	s_waitcnt lgkmcnt(0)
	v_writelane_b32 v24, s52, 2
	v_writelane_b32 v24, s53, 3
	;; [unrolled: 1-line block ×10, first 2 shown]
	s_add_i32 s0, 0, 0x30000
	v_writelane_b32 v24, s0, 12
	s_add_i32 s60, 0, 0x30004
	v_writelane_b32 v24, s60, 13
	;; [unrolled: 2-line block ×5, first 2 shown]
	s_add_i32 s60, 0, 0x30014
	v_lshrrev_b32_e32 v4, 3, v0
	v_writelane_b32 v24, s60, 17
	s_add_i32 s60, 0, 0x30018
	v_mbcnt_lo_u32_b32 v2, -1, 0
	v_and_b32_e32 v4, 0x7c, v4
	v_writelane_b32 v24, s60, 18
	s_add_i32 s60, 0, 0x3001c
	v_mbcnt_hi_u32_b32 v2, -1, v2
	v_add_u32_e32 v9, s0, v4
	s_movk_i32 s0, 0x3ff
	v_writelane_b32 v24, s60, 19
	s_add_i32 s60, 0, 0x30020
	v_sub_u32_e32 v2, 63, v2
	v_cmp_eq_u32_e32 vcc, s0, v0
	s_movk_i32 s0, 0x5f
	s_movk_i32 s2, 0x7f
	;; [unrolled: 1-line block ×29, first 2 shown]
	v_writelane_b32 v24, s60, 20
	s_add_i32 s60, 0, 0x30024
	v_mov_b32_e32 v8, 0
	v_lshrrev_b64 v[2:3], v2, -1
	v_cmp_lt_u32_e64 s[0:1], s0, v0
	v_cmp_lt_u32_e64 s[2:3], s2, v0
	;; [unrolled: 1-line block ×29, first 2 shown]
	v_writelane_b32 v24, s60, 21
	s_add_i32 s88, 0, 0x30028
	s_add_i32 s89, 0, 0x3002c
	;; [unrolled: 1-line block ×22, first 2 shown]
	s_movk_i32 s85, 0x3bff
	v_cmp_lt_u32_e64 s[60:61], 31, v0
	v_cmp_lt_u32_e64 s[62:63], 63, v0
	s_mov_b64 s[66:67], 0
	s_barrier
	s_branch .LBB60_52
.LBB60_51:                              ;   in Loop: Header=BB60_52 Depth=1
	s_or_b64 exec, exec, s[64:65]
	v_mov_b32_e32 v4, s84
	s_waitcnt lgkmcnt(0)
	s_barrier
	ds_read_b32 v4, v4
	v_add_u32_e32 v1, 0x400, v1
	v_cmp_lt_u32_e64 s[64:65], s85, v1
	v_add_u32_e32 v6, 0x2000, v6
	s_or_b64 s[66:67], s[64:65], s[66:67]
	s_waitcnt lgkmcnt(0)
	v_add_u32_e32 v8, v4, v8
	v_add_u32_e32 v7, 0x1000, v7
	s_andn2_b64 exec, exec, s[66:67]
	s_cbranch_execz .LBB60_118
.LBB60_52:                              ; =>This Inner Loop Header: Depth=1
	ds_read_b32 v10, v7
	ds_read2_b32 v[4:5], v6 offset1:1
	s_waitcnt lgkmcnt(0)
	s_barrier
	v_cmp_gt_i32_e64 s[64:65], s33, v10
	v_and_b32_e32 v12, s64, v2
	s_bcnt1_i32_b64 s72, s[64:65]
	v_and_b32_e32 v11, s65, v3
	v_bcnt_u32_b32 v12, v12, 0
	v_bcnt_u32_b32 v11, v11, v12
	v_mov_b32_e32 v12, s72
	ds_write_b32 v9, v12
	s_waitcnt lgkmcnt(0)
	s_barrier
	s_and_saveexec_b64 s[72:73], s[60:61]
	s_cbranch_execnz .LBB60_85
; %bb.53:                               ;   in Loop: Header=BB60_52 Depth=1
	s_or_b64 exec, exec, s[72:73]
	s_and_saveexec_b64 s[72:73], s[62:63]
	s_cbranch_execnz .LBB60_86
.LBB60_54:                              ;   in Loop: Header=BB60_52 Depth=1
	s_or_b64 exec, exec, s[72:73]
	s_and_saveexec_b64 s[72:73], s[0:1]
	s_cbranch_execnz .LBB60_87
.LBB60_55:                              ;   in Loop: Header=BB60_52 Depth=1
	s_or_b64 exec, exec, s[72:73]
	s_and_saveexec_b64 s[72:73], s[2:3]
	s_cbranch_execnz .LBB60_88
.LBB60_56:                              ;   in Loop: Header=BB60_52 Depth=1
	s_or_b64 exec, exec, s[72:73]
	s_and_saveexec_b64 s[72:73], s[4:5]
	s_cbranch_execnz .LBB60_89
.LBB60_57:                              ;   in Loop: Header=BB60_52 Depth=1
	s_or_b64 exec, exec, s[72:73]
	s_and_saveexec_b64 s[72:73], s[6:7]
	s_cbranch_execnz .LBB60_90
.LBB60_58:                              ;   in Loop: Header=BB60_52 Depth=1
	s_or_b64 exec, exec, s[72:73]
	s_and_saveexec_b64 s[72:73], s[8:9]
	s_cbranch_execnz .LBB60_91
.LBB60_59:                              ;   in Loop: Header=BB60_52 Depth=1
	s_or_b64 exec, exec, s[72:73]
	s_and_saveexec_b64 s[72:73], s[10:11]
	s_cbranch_execnz .LBB60_92
.LBB60_60:                              ;   in Loop: Header=BB60_52 Depth=1
	s_or_b64 exec, exec, s[72:73]
	s_and_saveexec_b64 s[72:73], s[12:13]
	s_cbranch_execnz .LBB60_93
.LBB60_61:                              ;   in Loop: Header=BB60_52 Depth=1
	s_or_b64 exec, exec, s[72:73]
	s_and_saveexec_b64 s[72:73], s[14:15]
	s_cbranch_execnz .LBB60_94
.LBB60_62:                              ;   in Loop: Header=BB60_52 Depth=1
	s_or_b64 exec, exec, s[72:73]
	s_and_saveexec_b64 s[72:73], s[16:17]
	s_cbranch_execnz .LBB60_95
.LBB60_63:                              ;   in Loop: Header=BB60_52 Depth=1
	s_or_b64 exec, exec, s[72:73]
	s_and_saveexec_b64 s[72:73], s[18:19]
	s_cbranch_execnz .LBB60_96
.LBB60_64:                              ;   in Loop: Header=BB60_52 Depth=1
	s_or_b64 exec, exec, s[72:73]
	s_and_saveexec_b64 s[72:73], s[20:21]
	s_cbranch_execnz .LBB60_97
.LBB60_65:                              ;   in Loop: Header=BB60_52 Depth=1
	s_or_b64 exec, exec, s[72:73]
	s_and_saveexec_b64 s[72:73], s[22:23]
	s_cbranch_execnz .LBB60_98
.LBB60_66:                              ;   in Loop: Header=BB60_52 Depth=1
	s_or_b64 exec, exec, s[72:73]
	s_and_saveexec_b64 s[72:73], s[24:25]
	s_cbranch_execnz .LBB60_99
.LBB60_67:                              ;   in Loop: Header=BB60_52 Depth=1
	s_or_b64 exec, exec, s[72:73]
	s_and_saveexec_b64 s[72:73], s[26:27]
	s_cbranch_execnz .LBB60_100
.LBB60_68:                              ;   in Loop: Header=BB60_52 Depth=1
	s_or_b64 exec, exec, s[72:73]
	s_and_saveexec_b64 s[72:73], s[28:29]
	s_cbranch_execnz .LBB60_101
.LBB60_69:                              ;   in Loop: Header=BB60_52 Depth=1
	s_or_b64 exec, exec, s[72:73]
	s_and_saveexec_b64 s[72:73], s[30:31]
	s_cbranch_execnz .LBB60_102
.LBB60_70:                              ;   in Loop: Header=BB60_52 Depth=1
	s_or_b64 exec, exec, s[72:73]
	s_and_saveexec_b64 s[72:73], s[34:35]
	s_cbranch_execnz .LBB60_103
.LBB60_71:                              ;   in Loop: Header=BB60_52 Depth=1
	s_or_b64 exec, exec, s[72:73]
	s_and_saveexec_b64 s[72:73], s[36:37]
	s_cbranch_execnz .LBB60_104
.LBB60_72:                              ;   in Loop: Header=BB60_52 Depth=1
	s_or_b64 exec, exec, s[72:73]
	s_and_saveexec_b64 s[72:73], s[38:39]
	s_cbranch_execnz .LBB60_105
.LBB60_73:                              ;   in Loop: Header=BB60_52 Depth=1
	s_or_b64 exec, exec, s[72:73]
	s_and_saveexec_b64 s[72:73], s[40:41]
	s_cbranch_execnz .LBB60_106
.LBB60_74:                              ;   in Loop: Header=BB60_52 Depth=1
	s_or_b64 exec, exec, s[72:73]
	s_and_saveexec_b64 s[72:73], s[42:43]
	s_cbranch_execnz .LBB60_107
.LBB60_75:                              ;   in Loop: Header=BB60_52 Depth=1
	s_or_b64 exec, exec, s[72:73]
	s_and_saveexec_b64 s[72:73], s[44:45]
	s_cbranch_execnz .LBB60_108
.LBB60_76:                              ;   in Loop: Header=BB60_52 Depth=1
	s_or_b64 exec, exec, s[72:73]
	s_and_saveexec_b64 s[72:73], s[46:47]
	s_cbranch_execnz .LBB60_109
.LBB60_77:                              ;   in Loop: Header=BB60_52 Depth=1
	s_or_b64 exec, exec, s[72:73]
	s_and_saveexec_b64 s[72:73], s[48:49]
	s_cbranch_execnz .LBB60_110
.LBB60_78:                              ;   in Loop: Header=BB60_52 Depth=1
	s_or_b64 exec, exec, s[72:73]
	s_and_saveexec_b64 s[72:73], s[50:51]
	s_cbranch_execnz .LBB60_111
.LBB60_79:                              ;   in Loop: Header=BB60_52 Depth=1
	s_or_b64 exec, exec, s[72:73]
	s_and_saveexec_b64 s[72:73], s[52:53]
	s_cbranch_execnz .LBB60_112
.LBB60_80:                              ;   in Loop: Header=BB60_52 Depth=1
	s_or_b64 exec, exec, s[72:73]
	s_and_saveexec_b64 s[72:73], s[54:55]
	s_cbranch_execnz .LBB60_113
.LBB60_81:                              ;   in Loop: Header=BB60_52 Depth=1
	s_or_b64 exec, exec, s[72:73]
	s_and_saveexec_b64 s[72:73], s[56:57]
	s_cbranch_execnz .LBB60_114
.LBB60_82:                              ;   in Loop: Header=BB60_52 Depth=1
	s_or_b64 exec, exec, s[72:73]
	s_and_saveexec_b64 s[72:73], s[58:59]
	s_cbranch_execnz .LBB60_115
.LBB60_83:                              ;   in Loop: Header=BB60_52 Depth=1
	s_or_b64 exec, exec, s[72:73]
	s_and_saveexec_b64 s[72:73], s[64:65]
	s_cbranch_execnz .LBB60_116
.LBB60_84:                              ;   in Loop: Header=BB60_52 Depth=1
	s_or_b64 exec, exec, s[72:73]
	s_and_saveexec_b64 s[64:65], vcc
	s_cbranch_execz .LBB60_51
	s_branch .LBB60_117
.LBB60_85:                              ;   in Loop: Header=BB60_52 Depth=1
	v_readlane_b32 s86, v24, 12
	v_mov_b32_e32 v12, s86
	ds_read_b32 v12, v12
	s_waitcnt lgkmcnt(0)
	v_add_u32_e32 v11, v12, v11
	s_or_b64 exec, exec, s[72:73]
	s_and_saveexec_b64 s[72:73], s[62:63]
	s_cbranch_execz .LBB60_54
.LBB60_86:                              ;   in Loop: Header=BB60_52 Depth=1
	v_readlane_b32 s86, v24, 13
	v_mov_b32_e32 v12, s86
	ds_read_b32 v12, v12
	s_waitcnt lgkmcnt(0)
	v_add_u32_e32 v11, v12, v11
	s_or_b64 exec, exec, s[72:73]
	s_and_saveexec_b64 s[72:73], s[0:1]
	s_cbranch_execz .LBB60_55
.LBB60_87:                              ;   in Loop: Header=BB60_52 Depth=1
	v_readlane_b32 s86, v24, 14
	v_mov_b32_e32 v12, s86
	ds_read_b32 v12, v12
	s_waitcnt lgkmcnt(0)
	v_add_u32_e32 v11, v12, v11
	s_or_b64 exec, exec, s[72:73]
	s_and_saveexec_b64 s[72:73], s[2:3]
	s_cbranch_execz .LBB60_56
.LBB60_88:                              ;   in Loop: Header=BB60_52 Depth=1
	v_readlane_b32 s86, v24, 15
	v_mov_b32_e32 v12, s86
	ds_read_b32 v12, v12
	s_waitcnt lgkmcnt(0)
	v_add_u32_e32 v11, v12, v11
	s_or_b64 exec, exec, s[72:73]
	s_and_saveexec_b64 s[72:73], s[4:5]
	s_cbranch_execz .LBB60_57
.LBB60_89:                              ;   in Loop: Header=BB60_52 Depth=1
	v_readlane_b32 s86, v24, 16
	v_mov_b32_e32 v12, s86
	ds_read_b32 v12, v12
	s_waitcnt lgkmcnt(0)
	v_add_u32_e32 v11, v12, v11
	s_or_b64 exec, exec, s[72:73]
	s_and_saveexec_b64 s[72:73], s[6:7]
	s_cbranch_execz .LBB60_58
.LBB60_90:                              ;   in Loop: Header=BB60_52 Depth=1
	v_readlane_b32 s86, v24, 17
	v_mov_b32_e32 v12, s86
	ds_read_b32 v12, v12
	s_waitcnt lgkmcnt(0)
	v_add_u32_e32 v11, v12, v11
	s_or_b64 exec, exec, s[72:73]
	s_and_saveexec_b64 s[72:73], s[8:9]
	s_cbranch_execz .LBB60_59
.LBB60_91:                              ;   in Loop: Header=BB60_52 Depth=1
	v_readlane_b32 s86, v24, 18
	v_mov_b32_e32 v12, s86
	ds_read_b32 v12, v12
	s_waitcnt lgkmcnt(0)
	v_add_u32_e32 v11, v12, v11
	s_or_b64 exec, exec, s[72:73]
	s_and_saveexec_b64 s[72:73], s[10:11]
	s_cbranch_execz .LBB60_60
.LBB60_92:                              ;   in Loop: Header=BB60_52 Depth=1
	v_readlane_b32 s86, v24, 19
	v_mov_b32_e32 v12, s86
	ds_read_b32 v12, v12
	s_waitcnt lgkmcnt(0)
	v_add_u32_e32 v11, v12, v11
	s_or_b64 exec, exec, s[72:73]
	s_and_saveexec_b64 s[72:73], s[12:13]
	s_cbranch_execz .LBB60_61
.LBB60_93:                              ;   in Loop: Header=BB60_52 Depth=1
	v_readlane_b32 s86, v24, 20
	v_mov_b32_e32 v12, s86
	ds_read_b32 v12, v12
	s_waitcnt lgkmcnt(0)
	v_add_u32_e32 v11, v12, v11
	s_or_b64 exec, exec, s[72:73]
	s_and_saveexec_b64 s[72:73], s[14:15]
	s_cbranch_execz .LBB60_62
.LBB60_94:                              ;   in Loop: Header=BB60_52 Depth=1
	v_readlane_b32 s86, v24, 21
	v_mov_b32_e32 v12, s86
	ds_read_b32 v12, v12
	s_waitcnt lgkmcnt(0)
	v_add_u32_e32 v11, v12, v11
	s_or_b64 exec, exec, s[72:73]
	s_and_saveexec_b64 s[72:73], s[16:17]
	s_cbranch_execz .LBB60_63
.LBB60_95:                              ;   in Loop: Header=BB60_52 Depth=1
	v_mov_b32_e32 v12, s88
	ds_read_b32 v12, v12
	s_waitcnt lgkmcnt(0)
	v_add_u32_e32 v11, v12, v11
	s_or_b64 exec, exec, s[72:73]
	s_and_saveexec_b64 s[72:73], s[18:19]
	s_cbranch_execz .LBB60_64
.LBB60_96:                              ;   in Loop: Header=BB60_52 Depth=1
	v_mov_b32_e32 v12, s89
	ds_read_b32 v12, v12
	s_waitcnt lgkmcnt(0)
	v_add_u32_e32 v11, v12, v11
	s_or_b64 exec, exec, s[72:73]
	s_and_saveexec_b64 s[72:73], s[20:21]
	s_cbranch_execz .LBB60_65
.LBB60_97:                              ;   in Loop: Header=BB60_52 Depth=1
	v_mov_b32_e32 v12, s90
	ds_read_b32 v12, v12
	s_waitcnt lgkmcnt(0)
	v_add_u32_e32 v11, v12, v11
	s_or_b64 exec, exec, s[72:73]
	s_and_saveexec_b64 s[72:73], s[22:23]
	s_cbranch_execz .LBB60_66
.LBB60_98:                              ;   in Loop: Header=BB60_52 Depth=1
	v_mov_b32_e32 v12, s91
	ds_read_b32 v12, v12
	s_waitcnt lgkmcnt(0)
	v_add_u32_e32 v11, v12, v11
	s_or_b64 exec, exec, s[72:73]
	s_and_saveexec_b64 s[72:73], s[24:25]
	s_cbranch_execz .LBB60_67
.LBB60_99:                              ;   in Loop: Header=BB60_52 Depth=1
	v_mov_b32_e32 v12, s92
	ds_read_b32 v12, v12
	s_waitcnt lgkmcnt(0)
	v_add_u32_e32 v11, v12, v11
	s_or_b64 exec, exec, s[72:73]
	s_and_saveexec_b64 s[72:73], s[26:27]
	s_cbranch_execz .LBB60_68
.LBB60_100:                             ;   in Loop: Header=BB60_52 Depth=1
	v_mov_b32_e32 v12, s93
	ds_read_b32 v12, v12
	s_waitcnt lgkmcnt(0)
	v_add_u32_e32 v11, v12, v11
	s_or_b64 exec, exec, s[72:73]
	s_and_saveexec_b64 s[72:73], s[28:29]
	s_cbranch_execz .LBB60_69
.LBB60_101:                             ;   in Loop: Header=BB60_52 Depth=1
	v_mov_b32_e32 v12, s94
	ds_read_b32 v12, v12
	s_waitcnt lgkmcnt(0)
	v_add_u32_e32 v11, v12, v11
	s_or_b64 exec, exec, s[72:73]
	s_and_saveexec_b64 s[72:73], s[30:31]
	s_cbranch_execz .LBB60_70
.LBB60_102:                             ;   in Loop: Header=BB60_52 Depth=1
	v_mov_b32_e32 v12, s95
	ds_read_b32 v12, v12
	s_waitcnt lgkmcnt(0)
	v_add_u32_e32 v11, v12, v11
	s_or_b64 exec, exec, s[72:73]
	s_and_saveexec_b64 s[72:73], s[34:35]
	s_cbranch_execz .LBB60_71
.LBB60_103:                             ;   in Loop: Header=BB60_52 Depth=1
	v_mov_b32_e32 v12, s76
	ds_read_b32 v12, v12
	s_waitcnt lgkmcnt(0)
	v_add_u32_e32 v11, v12, v11
	s_or_b64 exec, exec, s[72:73]
	s_and_saveexec_b64 s[72:73], s[36:37]
	s_cbranch_execz .LBB60_72
.LBB60_104:                             ;   in Loop: Header=BB60_52 Depth=1
	v_mov_b32_e32 v12, s77
	ds_read_b32 v12, v12
	s_waitcnt lgkmcnt(0)
	v_add_u32_e32 v11, v12, v11
	s_or_b64 exec, exec, s[72:73]
	s_and_saveexec_b64 s[72:73], s[38:39]
	s_cbranch_execz .LBB60_73
.LBB60_105:                             ;   in Loop: Header=BB60_52 Depth=1
	v_mov_b32_e32 v12, s78
	ds_read_b32 v12, v12
	s_waitcnt lgkmcnt(0)
	v_add_u32_e32 v11, v12, v11
	s_or_b64 exec, exec, s[72:73]
	s_and_saveexec_b64 s[72:73], s[40:41]
	s_cbranch_execz .LBB60_74
.LBB60_106:                             ;   in Loop: Header=BB60_52 Depth=1
	v_mov_b32_e32 v12, s68
	ds_read_b32 v12, v12
	s_waitcnt lgkmcnt(0)
	v_add_u32_e32 v11, v12, v11
	s_or_b64 exec, exec, s[72:73]
	s_and_saveexec_b64 s[72:73], s[42:43]
	s_cbranch_execz .LBB60_75
.LBB60_107:                             ;   in Loop: Header=BB60_52 Depth=1
	v_mov_b32_e32 v12, s69
	ds_read_b32 v12, v12
	s_waitcnt lgkmcnt(0)
	v_add_u32_e32 v11, v12, v11
	s_or_b64 exec, exec, s[72:73]
	s_and_saveexec_b64 s[72:73], s[44:45]
	s_cbranch_execz .LBB60_76
.LBB60_108:                             ;   in Loop: Header=BB60_52 Depth=1
	v_mov_b32_e32 v12, s70
	ds_read_b32 v12, v12
	s_waitcnt lgkmcnt(0)
	v_add_u32_e32 v11, v12, v11
	s_or_b64 exec, exec, s[72:73]
	s_and_saveexec_b64 s[72:73], s[46:47]
	s_cbranch_execz .LBB60_77
.LBB60_109:                             ;   in Loop: Header=BB60_52 Depth=1
	v_mov_b32_e32 v12, s71
	ds_read_b32 v12, v12
	s_waitcnt lgkmcnt(0)
	v_add_u32_e32 v11, v12, v11
	s_or_b64 exec, exec, s[72:73]
	s_and_saveexec_b64 s[72:73], s[48:49]
	s_cbranch_execz .LBB60_78
.LBB60_110:                             ;   in Loop: Header=BB60_52 Depth=1
	v_mov_b32_e32 v12, s75
	ds_read_b32 v12, v12
	s_waitcnt lgkmcnt(0)
	v_add_u32_e32 v11, v12, v11
	s_or_b64 exec, exec, s[72:73]
	s_and_saveexec_b64 s[72:73], s[50:51]
	s_cbranch_execz .LBB60_79
.LBB60_111:                             ;   in Loop: Header=BB60_52 Depth=1
	v_mov_b32_e32 v12, s79
	ds_read_b32 v12, v12
	s_waitcnt lgkmcnt(0)
	v_add_u32_e32 v11, v12, v11
	s_or_b64 exec, exec, s[72:73]
	s_and_saveexec_b64 s[72:73], s[52:53]
	s_cbranch_execz .LBB60_80
.LBB60_112:                             ;   in Loop: Header=BB60_52 Depth=1
	v_mov_b32_e32 v12, s80
	ds_read_b32 v12, v12
	s_waitcnt lgkmcnt(0)
	v_add_u32_e32 v11, v12, v11
	s_or_b64 exec, exec, s[72:73]
	s_and_saveexec_b64 s[72:73], s[54:55]
	s_cbranch_execz .LBB60_81
.LBB60_113:                             ;   in Loop: Header=BB60_52 Depth=1
	v_mov_b32_e32 v12, s81
	ds_read_b32 v12, v12
	s_waitcnt lgkmcnt(0)
	v_add_u32_e32 v11, v12, v11
	s_or_b64 exec, exec, s[72:73]
	s_and_saveexec_b64 s[72:73], s[56:57]
	s_cbranch_execz .LBB60_82
.LBB60_114:                             ;   in Loop: Header=BB60_52 Depth=1
	v_mov_b32_e32 v12, s82
	ds_read_b32 v12, v12
	s_waitcnt lgkmcnt(0)
	v_add_u32_e32 v11, v12, v11
	s_or_b64 exec, exec, s[72:73]
	s_and_saveexec_b64 s[72:73], s[58:59]
	s_cbranch_execz .LBB60_83
.LBB60_115:                             ;   in Loop: Header=BB60_52 Depth=1
	v_mov_b32_e32 v12, s83
	ds_read_b32 v12, v12
	s_waitcnt lgkmcnt(0)
	v_add_u32_e32 v11, v12, v11
	s_or_b64 exec, exec, s[72:73]
	s_and_saveexec_b64 s[72:73], s[64:65]
	s_cbranch_execz .LBB60_84
.LBB60_116:                             ;   in Loop: Header=BB60_52 Depth=1
	v_add3_u32 v12, v8, -1, v11
	v_lshl_add_u32 v13, v12, 2, 0
	v_lshl_add_u32 v12, v12, 3, 0
	v_add_u32_e32 v12, 0x10000, v12
	ds_write_b32 v13, v10
	ds_write2_b32 v12, v4, v5 offset1:1
	s_or_b64 exec, exec, s[72:73]
	s_and_saveexec_b64 s[64:65], vcc
	s_cbranch_execz .LBB60_51
.LBB60_117:                             ;   in Loop: Header=BB60_52 Depth=1
	v_mov_b32_e32 v4, s84
	ds_write_b32 v4, v11
	s_branch .LBB60_51
.LBB60_118:
	s_or_b64 exec, exec, s[66:67]
	v_readlane_b32 s0, v24, 2
	v_readlane_b32 s1, v24, 3
	s_ashr_i32 s1, s0, 31
	v_readlane_b32 s16, v24, 4
	s_lshl_b64 s[0:1], s[0:1], 2
	v_readlane_b32 s20, v24, 8
	v_readlane_b32 s21, v24, 9
	s_add_u32 s0, s20, s0
	s_addc_u32 s1, s21, s1
	s_load_dwordx2 s[0:1], s[0:1], 0x0
	v_readlane_b32 s22, v24, 10
	v_readlane_b32 s23, v24, 11
	;; [unrolled: 1-line block ×4, first 2 shown]
	s_waitcnt lgkmcnt(0)
	s_sub_i32 s14, s1, s0
	v_cmp_gt_i32_e32 vcc, s14, v0
	v_readlane_b32 s19, v24, 7
	s_and_saveexec_b64 s[2:3], vcc
	s_cbranch_execz .LBB60_133
; %bb.119:
	s_sub_i32 s6, s0, s74
	s_add_i32 s0, s14, -2
	s_lshr_b32 s1, s0, 1
	s_add_i32 s2, s1, 1
	s_cmp_gt_u32 s14, 1
	s_cselect_b64 s[8:9], -1, 0
	s_and_b32 s15, s14, -2
	s_and_b32 s4, s2, 7
	s_cmp_gt_u32 s0, 13
	s_cselect_b64 s[0:1], -1, 0
	s_and_b32 s16, s2, -8
	s_cmp_lg_u32 s4, 0
	s_cselect_b64 s[2:3], -1, 0
	s_cmp_lg_u32 s14, s15
	s_cselect_b64 s[10:11], -1, 0
	s_lshl_b32 s17, s4, 3
	v_cndmask_b32_e64 v1, 0, 1, s[0:1]
	v_readlane_b32 s4, v24, 0
	v_cmp_ne_u32_e64 s[0:1], 1, v1
	v_cndmask_b32_e64 v1, 0, 1, s[2:3]
	v_readlane_b32 s5, v24, 1
	s_mov_b32 s7, 0
	s_mov_b64 s[12:13], 0
	v_cmp_ne_u32_e64 s[2:3], 1, v1
	v_mov_b32_e32 v1, s23
	v_mov_b32_e32 v6, s5
	s_branch .LBB60_121
.LBB60_120:                             ;   in Loop: Header=BB60_121 Depth=1
	v_ashrrev_i32_e32 v5, 31, v4
	v_lshlrev_b64 v[8:9], 2, v[4:5]
	v_add_co_u32_e32 v8, vcc, s22, v8
	v_addc_co_u32_e32 v9, vcc, v1, v9, vcc
	v_lshlrev_b64 v[4:5], 3, v[4:5]
	v_readlane_b32 s4, v24, 0
	v_add_co_u32_e32 v4, vcc, s4, v4
	v_addc_co_u32_e32 v5, vcc, v6, v5, vcc
	v_add_u32_e32 v0, 0x400, v0
	v_cmp_le_i32_e32 vcc, s14, v0
	s_waitcnt lgkmcnt(1)
	v_add_u32_e32 v7, s74, v7
	s_or_b64 s[12:13], vcc, s[12:13]
	global_store_dword v[8:9], v7, off
	v_readlane_b32 s5, v24, 1
	s_waitcnt lgkmcnt(0)
	global_store_dwordx2 v[4:5], v[2:3], off
	s_andn2_b64 exec, exec, s[12:13]
	s_cbranch_execz .LBB60_133
.LBB60_121:                             ; =>This Loop Header: Depth=1
                                        ;     Child Loop BB60_124 Depth 2
                                        ;     Child Loop BB60_129 Depth 2
	;; [unrolled: 1-line block ×3, first 2 shown]
	v_lshl_add_u32 v3, v0, 3, 0
	v_lshl_add_u32 v2, v0, 2, 0
	v_add_u32_e32 v3, 0x10000, v3
	ds_read_b32 v7, v2
	ds_read2_b32 v[2:3], v3 offset1:1
	s_and_b64 vcc, exec, s[8:9]
	s_cbranch_vccz .LBB60_126
; %bb.122:                              ;   in Loop: Header=BB60_121 Depth=1
	s_and_b64 vcc, exec, s[0:1]
	s_cbranch_vccnz .LBB60_127
; %bb.123:                              ;   in Loop: Header=BB60_121 Depth=1
	s_mov_b32 s19, 0
	v_mov_b32_e32 v4, s6
	v_mov_b32_e32 v5, 0
	s_mov_b32 s20, s16
	s_mov_b32 s18, 0
.LBB60_124:                             ;   Parent Loop BB60_121 Depth=1
                                        ; =>  This Inner Loop Header: Depth=2
	v_mov_b32_e32 v22, s19
	ds_read2_b32 v[8:9], v22 offset1:1
	ds_read2_b32 v[10:11], v22 offset0:2 offset1:3
	ds_read2_b32 v[12:13], v22 offset0:4 offset1:5
	;; [unrolled: 1-line block ×7, first 2 shown]
	s_waitcnt lgkmcnt(7)
	v_cmp_gt_i32_e32 vcc, v7, v9
	v_cndmask_b32_e64 v9, 0, 1, vcc
	v_cmp_gt_i32_e32 vcc, v7, v8
	s_waitcnt lgkmcnt(5)
	v_cmp_gt_i32_e64 s[4:5], v7, v12
	v_cndmask_b32_e64 v8, 0, 1, vcc
	v_cmp_gt_i32_e32 vcc, v7, v11
	v_cndmask_b32_e64 v11, 0, 1, s[4:5]
	v_cmp_gt_i32_e64 s[4:5], v7, v13
	v_cndmask_b32_e64 v12, 0, 1, s[4:5]
	s_waitcnt lgkmcnt(3)
	v_cmp_gt_i32_e64 s[4:5], v7, v17
	v_cndmask_b32_e64 v13, 0, 1, s[4:5]
	v_cmp_gt_i32_e64 s[4:5], v7, v16
	v_cndmask_b32_e64 v16, 0, 1, s[4:5]
	s_waitcnt lgkmcnt(1)
	v_cmp_gt_i32_e64 s[4:5], v7, v20
	v_cndmask_b32_e64 v17, 0, 1, s[4:5]
	v_cmp_gt_i32_e64 s[4:5], v7, v21
	v_cndmask_b32_e64 v20, 0, 1, s[4:5]
	v_cmp_gt_i32_e64 s[4:5], v7, v10
	v_addc_co_u32_e64 v4, s[4:5], v4, v8, s[4:5]
	v_addc_co_u32_e32 v5, vcc, v5, v9, vcc
	v_cmp_gt_i32_e32 vcc, v7, v14
	v_cmp_gt_i32_e64 s[4:5], v7, v15
	v_addc_co_u32_e64 v5, s[4:5], v5, v12, s[4:5]
	v_addc_co_u32_e32 v4, vcc, v4, v11, vcc
	v_cmp_gt_i32_e32 vcc, v7, v19
	v_cmp_gt_i32_e64 s[4:5], v7, v18
	v_addc_co_u32_e64 v4, s[4:5], v4, v16, s[4:5]
	v_addc_co_u32_e32 v5, vcc, v5, v13, vcc
	s_add_i32 s18, s18, 16
	s_add_i32 s19, s19, 64
	s_add_i32 s20, s20, -8
	s_waitcnt lgkmcnt(0)
	v_cmp_gt_i32_e32 vcc, v7, v22
	v_cmp_gt_i32_e64 s[4:5], v7, v23
	s_cmp_lg_u32 s20, 0
	v_addc_co_u32_e64 v5, s[4:5], v5, v20, s[4:5]
	v_addc_co_u32_e32 v4, vcc, v4, v17, vcc
	s_cbranch_scc1 .LBB60_124
; %bb.125:                              ;   in Loop: Header=BB60_121 Depth=1
	s_and_b64 vcc, exec, s[2:3]
	s_cbranch_vccz .LBB60_128
	s_branch .LBB60_130
.LBB60_126:                             ;   in Loop: Header=BB60_121 Depth=1
	v_mov_b32_e32 v4, s6
	s_mov_b32 s18, 0
	s_cbranch_execz .LBB60_120
	s_branch .LBB60_131
.LBB60_127:                             ;   in Loop: Header=BB60_121 Depth=1
	v_pk_mov_b32 v[4:5], s[6:7], s[6:7] op_sel:[0,1]
	s_mov_b32 s18, 0
	s_and_b64 vcc, exec, s[2:3]
	s_cbranch_vccnz .LBB60_130
.LBB60_128:                             ;   in Loop: Header=BB60_121 Depth=1
	s_lshl_b32 s4, s18, 2
	s_add_i32 s4, s4, 0
	s_mov_b32 s5, s17
.LBB60_129:                             ;   Parent Loop BB60_121 Depth=1
                                        ; =>  This Inner Loop Header: Depth=2
	v_mov_b32_e32 v8, s4
	ds_read2_b32 v[8:9], v8 offset1:1
	s_add_i32 s4, s4, 8
	s_add_i32 s5, s5, -8
	s_cmp_lg_u32 s5, 0
	s_waitcnt lgkmcnt(0)
	v_cmp_gt_i32_e32 vcc, v7, v9
	v_addc_co_u32_e32 v5, vcc, 0, v5, vcc
	v_cmp_gt_i32_e32 vcc, v7, v8
	v_addc_co_u32_e32 v4, vcc, 0, v4, vcc
	s_cbranch_scc1 .LBB60_129
.LBB60_130:                             ;   in Loop: Header=BB60_121 Depth=1
	v_add_u32_e32 v4, v4, v5
	s_mov_b32 s18, s15
	s_mov_b64 s[4:5], s[10:11]
	s_and_b64 vcc, exec, s[4:5]
	s_cbranch_vccz .LBB60_120
.LBB60_131:                             ;   in Loop: Header=BB60_121 Depth=1
	s_lshl_b32 s4, s18, 2
	s_add_i32 s4, s4, 0
.LBB60_132:                             ;   Parent Loop BB60_121 Depth=1
                                        ; =>  This Inner Loop Header: Depth=2
	v_mov_b32_e32 v5, s4
	ds_read_b32 v5, v5
	s_add_i32 s18, s18, 1
	s_add_i32 s4, s4, 4
	s_cmp_ge_i32 s18, s14
	s_waitcnt lgkmcnt(0)
	v_cmp_gt_i32_e32 vcc, v7, v5
	v_addc_co_u32_e32 v4, vcc, 0, v4, vcc
	s_cbranch_scc0 .LBB60_132
	s_branch .LBB60_120
.LBB60_133:
	s_endpgm
	.section	.rodata,"a",@progbits
	.p2align	6, 0x0
	.amdhsa_kernel _ZN9rocsparseL26csrgemm_fill_block_per_rowILj1024ELj64ELj16384ELj137ELj32Eii21rocsparse_complex_numIfEEEvT5_PKS3_S5_NS_24const_host_device_scalarIT6_EEPKT4_S5_PKS7_SB_S5_SD_S8_SB_S5_SD_SB_PS3_PS7_21rocsparse_index_base_SG_SG_SG_bbb
		.amdhsa_group_segment_fixed_size 0
		.amdhsa_private_segment_fixed_size 0
		.amdhsa_kernarg_size 156
		.amdhsa_user_sgpr_count 6
		.amdhsa_user_sgpr_private_segment_buffer 1
		.amdhsa_user_sgpr_dispatch_ptr 0
		.amdhsa_user_sgpr_queue_ptr 0
		.amdhsa_user_sgpr_kernarg_segment_ptr 1
		.amdhsa_user_sgpr_dispatch_id 0
		.amdhsa_user_sgpr_flat_scratch_init 0
		.amdhsa_user_sgpr_kernarg_preload_length 0
		.amdhsa_user_sgpr_kernarg_preload_offset 0
		.amdhsa_user_sgpr_private_segment_size 0
		.amdhsa_uses_dynamic_stack 0
		.amdhsa_system_sgpr_private_segment_wavefront_offset 0
		.amdhsa_system_sgpr_workgroup_id_x 1
		.amdhsa_system_sgpr_workgroup_id_y 0
		.amdhsa_system_sgpr_workgroup_id_z 0
		.amdhsa_system_sgpr_workgroup_info 0
		.amdhsa_system_vgpr_workitem_id 0
		.amdhsa_next_free_vgpr 25
		.amdhsa_next_free_sgpr 96
		.amdhsa_accum_offset 28
		.amdhsa_reserve_vcc 1
		.amdhsa_reserve_flat_scratch 0
		.amdhsa_float_round_mode_32 0
		.amdhsa_float_round_mode_16_64 0
		.amdhsa_float_denorm_mode_32 3
		.amdhsa_float_denorm_mode_16_64 3
		.amdhsa_dx10_clamp 1
		.amdhsa_ieee_mode 1
		.amdhsa_fp16_overflow 0
		.amdhsa_tg_split 0
		.amdhsa_exception_fp_ieee_invalid_op 0
		.amdhsa_exception_fp_denorm_src 0
		.amdhsa_exception_fp_ieee_div_zero 0
		.amdhsa_exception_fp_ieee_overflow 0
		.amdhsa_exception_fp_ieee_underflow 0
		.amdhsa_exception_fp_ieee_inexact 0
		.amdhsa_exception_int_div_zero 0
	.end_amdhsa_kernel
	.section	.text._ZN9rocsparseL26csrgemm_fill_block_per_rowILj1024ELj64ELj16384ELj137ELj32Eii21rocsparse_complex_numIfEEEvT5_PKS3_S5_NS_24const_host_device_scalarIT6_EEPKT4_S5_PKS7_SB_S5_SD_S8_SB_S5_SD_SB_PS3_PS7_21rocsparse_index_base_SG_SG_SG_bbb,"axG",@progbits,_ZN9rocsparseL26csrgemm_fill_block_per_rowILj1024ELj64ELj16384ELj137ELj32Eii21rocsparse_complex_numIfEEEvT5_PKS3_S5_NS_24const_host_device_scalarIT6_EEPKT4_S5_PKS7_SB_S5_SD_S8_SB_S5_SD_SB_PS3_PS7_21rocsparse_index_base_SG_SG_SG_bbb,comdat
.Lfunc_end60:
	.size	_ZN9rocsparseL26csrgemm_fill_block_per_rowILj1024ELj64ELj16384ELj137ELj32Eii21rocsparse_complex_numIfEEEvT5_PKS3_S5_NS_24const_host_device_scalarIT6_EEPKT4_S5_PKS7_SB_S5_SD_S8_SB_S5_SD_SB_PS3_PS7_21rocsparse_index_base_SG_SG_SG_bbb, .Lfunc_end60-_ZN9rocsparseL26csrgemm_fill_block_per_rowILj1024ELj64ELj16384ELj137ELj32Eii21rocsparse_complex_numIfEEEvT5_PKS3_S5_NS_24const_host_device_scalarIT6_EEPKT4_S5_PKS7_SB_S5_SD_S8_SB_S5_SD_SB_PS3_PS7_21rocsparse_index_base_SG_SG_SG_bbb
                                        ; -- End function
	.section	.AMDGPU.csdata,"",@progbits
; Kernel info:
; codeLenInByte = 5044
; NumSgprs: 100
; NumVgprs: 25
; NumAgprs: 0
; TotalNumVgprs: 25
; ScratchSize: 0
; MemoryBound: 0
; FloatMode: 240
; IeeeMode: 1
; LDSByteSize: 0 bytes/workgroup (compile time only)
; SGPRBlocks: 12
; VGPRBlocks: 3
; NumSGPRsForWavesPerEU: 100
; NumVGPRsForWavesPerEU: 25
; AccumOffset: 28
; Occupancy: 8
; WaveLimiterHint : 1
; COMPUTE_PGM_RSRC2:SCRATCH_EN: 0
; COMPUTE_PGM_RSRC2:USER_SGPR: 6
; COMPUTE_PGM_RSRC2:TRAP_HANDLER: 0
; COMPUTE_PGM_RSRC2:TGID_X_EN: 1
; COMPUTE_PGM_RSRC2:TGID_Y_EN: 0
; COMPUTE_PGM_RSRC2:TGID_Z_EN: 0
; COMPUTE_PGM_RSRC2:TIDIG_COMP_CNT: 0
; COMPUTE_PGM_RSRC3_GFX90A:ACCUM_OFFSET: 6
; COMPUTE_PGM_RSRC3_GFX90A:TG_SPLIT: 0
	.section	.text._ZN9rocsparseL26csrgemm_fill_block_per_rowILj1024ELj64ELj16384ELj137ELj64Eii21rocsparse_complex_numIfEEEvT5_PKS3_S5_NS_24const_host_device_scalarIT6_EEPKT4_S5_PKS7_SB_S5_SD_S8_SB_S5_SD_SB_PS3_PS7_21rocsparse_index_base_SG_SG_SG_bbb,"axG",@progbits,_ZN9rocsparseL26csrgemm_fill_block_per_rowILj1024ELj64ELj16384ELj137ELj64Eii21rocsparse_complex_numIfEEEvT5_PKS3_S5_NS_24const_host_device_scalarIT6_EEPKT4_S5_PKS7_SB_S5_SD_S8_SB_S5_SD_SB_PS3_PS7_21rocsparse_index_base_SG_SG_SG_bbb,comdat
	.globl	_ZN9rocsparseL26csrgemm_fill_block_per_rowILj1024ELj64ELj16384ELj137ELj64Eii21rocsparse_complex_numIfEEEvT5_PKS3_S5_NS_24const_host_device_scalarIT6_EEPKT4_S5_PKS7_SB_S5_SD_S8_SB_S5_SD_SB_PS3_PS7_21rocsparse_index_base_SG_SG_SG_bbb ; -- Begin function _ZN9rocsparseL26csrgemm_fill_block_per_rowILj1024ELj64ELj16384ELj137ELj64Eii21rocsparse_complex_numIfEEEvT5_PKS3_S5_NS_24const_host_device_scalarIT6_EEPKT4_S5_PKS7_SB_S5_SD_S8_SB_S5_SD_SB_PS3_PS7_21rocsparse_index_base_SG_SG_SG_bbb
	.p2align	8
	.type	_ZN9rocsparseL26csrgemm_fill_block_per_rowILj1024ELj64ELj16384ELj137ELj64Eii21rocsparse_complex_numIfEEEvT5_PKS3_S5_NS_24const_host_device_scalarIT6_EEPKT4_S5_PKS7_SB_S5_SD_S8_SB_S5_SD_SB_PS3_PS7_21rocsparse_index_base_SG_SG_SG_bbb,@function
_ZN9rocsparseL26csrgemm_fill_block_per_rowILj1024ELj64ELj16384ELj137ELj64Eii21rocsparse_complex_numIfEEEvT5_PKS3_S5_NS_24const_host_device_scalarIT6_EEPKT4_S5_PKS7_SB_S5_SD_S8_SB_S5_SD_SB_PS3_PS7_21rocsparse_index_base_SG_SG_SG_bbb: ; @_ZN9rocsparseL26csrgemm_fill_block_per_rowILj1024ELj64ELj16384ELj137ELj64Eii21rocsparse_complex_numIfEEEvT5_PKS3_S5_NS_24const_host_device_scalarIT6_EEPKT4_S5_PKS7_SB_S5_SD_S8_SB_S5_SD_SB_PS3_PS7_21rocsparse_index_base_SG_SG_SG_bbb
; %bb.0:
	s_load_dwordx8 s[36:43], s[4:5], 0x60
	s_load_dwordx8 s[8:15], s[4:5], 0x40
	s_load_dword s7, s[4:5], 0x98
	s_load_dwordx4 s[24:27], s[4:5], 0x8
	s_load_dwordx8 s[16:23], s[4:5], 0x20
	s_load_dwordx2 s[34:35], s[4:5], 0x80
	s_load_dwordx4 s[44:47], s[4:5], 0x88
	s_waitcnt lgkmcnt(0)
	s_bitcmp1_b32 s7, 0
	s_cselect_b64 s[30:31], -1, 0
	s_bitcmp1_b32 s7, 16
	s_cselect_b64 s[0:1], -1, 0
	s_xor_b64 s[0:1], s[0:1], -1
	v_cndmask_b32_e64 v1, 0, 1, s[0:1]
	s_mov_b32 s3, 0
	s_bitcmp0_b32 s7, 0
	v_cmp_ne_u32_e64 s[0:1], 1, v1
	s_mov_b32 s56, 0
	s_cbranch_scc1 .LBB61_5
; %bb.1:
	s_load_dwordx2 s[2:3], s[4:5], 0x18
	s_and_b64 vcc, exec, s[0:1]
	s_waitcnt lgkmcnt(0)
	s_mov_b32 s56, s2
	s_cbranch_vccnz .LBB61_3
; %bb.2:
	s_load_dword s56, s[2:3], 0x0
.LBB61_3:
	s_and_b64 vcc, exec, s[0:1]
	s_cbranch_vccnz .LBB61_5
; %bb.4:
	s_load_dword s3, s[2:3], 0x4
.LBB61_5:
	s_bitcmp1_b32 s7, 8
	s_cselect_b64 s[28:29], -1, 0
	s_bfe_u32 s2, s7, 0x10008
	s_mov_b32 s55, 0
	s_cmp_eq_u32 s2, 0
	s_mov_b32 s54, 0
	s_cbranch_scc1 .LBB61_11
; %bb.6:
	s_and_b64 vcc, exec, s[0:1]
	s_mov_b32 s54, s12
	s_cbranch_vccnz .LBB61_8
; %bb.7:
	s_load_dword s54, s[12:13], 0x0
.LBB61_8:
	s_and_b64 vcc, exec, s[0:1]
	s_cbranch_vccnz .LBB61_10
; %bb.9:
	s_load_dword s13, s[12:13], 0x4
.LBB61_10:
	s_waitcnt lgkmcnt(0)
	s_mov_b32 s55, s13
.LBB61_11:
	s_load_dword s33, s[4:5], 0x0
	v_lshl_add_u32 v2, v0, 3, 0
	v_or_b32_e32 v1, 0xfffffc00, v0
	v_add_u32_e32 v6, 0x10000, v2
	v_lshl_add_u32 v7, v0, 2, 0
	s_mov_b64 s[0:1], 0
	s_waitcnt lgkmcnt(0)
	v_mov_b32_e32 v2, s33
	v_mov_b32_e32 v3, 0
	s_movk_i32 s2, 0x3bff
	v_mov_b32_e32 v4, v7
	v_mov_b32_e32 v5, v6
	;; [unrolled: 1-line block ×3, first 2 shown]
.LBB61_12:                              ; =>This Inner Loop Header: Depth=1
	v_add_u32_e32 v8, 0x400, v8
	v_cmp_lt_u32_e32 vcc, s2, v8
	ds_write_b32 v4, v2
	ds_write2_b32 v5, v3, v3 offset1:1
	v_add_u32_e32 v5, 0x2000, v5
	s_or_b64 s[0:1], vcc, s[0:1]
	v_add_u32_e32 v4, 0x1000, v4
	s_andn2_b64 exec, exec, s[0:1]
	s_cbranch_execnz .LBB61_12
; %bb.13:
	s_or_b64 exec, exec, s[0:1]
	s_waitcnt lgkmcnt(0)
	s_barrier
	s_load_dword s0, s[24:25], 0x0
	s_mov_b32 s1, 0
	v_lshrrev_b32_e32 v8, 6, v0
	s_waitcnt lgkmcnt(0)
	s_add_i32 s0, s0, s6
	s_lshl_b64 s[0:1], s[0:1], 2
	s_add_u32 s0, s26, s0
	s_addc_u32 s1, s27, s1
	s_load_dword s48, s[0:1], 0x0
	s_and_b64 vcc, exec, s[30:31]
	s_cbranch_vccz .LBB61_33
; %bb.14:
	s_waitcnt lgkmcnt(0)
	s_ashr_i32 s49, s48, 31
	s_lshl_b64 s[0:1], s[48:49], 2
	s_add_u32 s0, s16, s0
	s_addc_u32 s1, s17, s1
	s_load_dwordx2 s[0:1], s[0:1], 0x0
	v_subrev_u32_e32 v2, s44, v8
	s_waitcnt lgkmcnt(0)
	s_sub_i32 s2, s1, s44
	v_add_u32_e32 v2, s0, v2
	v_cmp_gt_i32_e32 vcc, s2, v2
	s_and_saveexec_b64 s[0:1], vcc
	s_cbranch_execz .LBB61_32
; %bb.15:
	v_and_b32_e32 v3, 63, v0
	v_subrev_u32_e32 v9, s45, v3
	s_mov_b64 s[4:5], 0
	v_mov_b32_e32 v10, s19
	v_mov_b32_e32 v11, s23
	s_movk_i32 s19, 0x89
	s_branch .LBB61_17
.LBB61_16:                              ;   in Loop: Header=BB61_17 Depth=1
	s_or_b64 exec, exec, s[6:7]
	v_add_u32_e32 v2, 16, v2
	v_cmp_le_i32_e32 vcc, s2, v2
	s_or_b64 s[4:5], vcc, s[4:5]
	s_andn2_b64 exec, exec, s[4:5]
	s_cbranch_execz .LBB61_32
.LBB61_17:                              ; =>This Loop Header: Depth=1
                                        ;     Child Loop BB61_20 Depth 2
                                        ;       Child Loop BB61_22 Depth 3
	v_ashrrev_i32_e32 v3, 31, v2
	v_lshlrev_b64 v[4:5], 2, v[2:3]
	v_add_co_u32_e32 v4, vcc, s18, v4
	v_addc_co_u32_e32 v5, vcc, v10, v5, vcc
	global_load_dword v4, v[4:5], off
	s_waitcnt vmcnt(0)
	v_subrev_u32_e32 v4, s44, v4
	v_ashrrev_i32_e32 v5, 31, v4
	v_lshlrev_b64 v[4:5], 2, v[4:5]
	v_add_co_u32_e32 v4, vcc, s22, v4
	v_addc_co_u32_e32 v5, vcc, v11, v5, vcc
	global_load_dwordx2 v[4:5], v[4:5], off
	s_waitcnt vmcnt(0)
	v_subrev_u32_e32 v12, s45, v5
	v_add_u32_e32 v4, v4, v9
	v_cmp_lt_i32_e32 vcc, v4, v12
	s_and_saveexec_b64 s[6:7], vcc
	s_cbranch_execz .LBB61_16
; %bb.18:                               ;   in Loop: Header=BB61_17 Depth=1
	v_lshlrev_b64 v[14:15], 3, v[2:3]
	v_mov_b32_e32 v3, s21
	v_add_co_u32_e32 v14, vcc, s20, v14
	v_addc_co_u32_e32 v15, vcc, v3, v15, vcc
	global_load_dwordx2 v[14:15], v[14:15], off
	s_mov_b64 s[12:13], 0
	s_waitcnt vmcnt(0)
	v_mul_f32_e64 v3, v15, -s3
	v_mul_f32_e32 v13, s56, v15
	v_fmac_f32_e32 v3, s56, v14
	v_fmac_f32_e32 v13, s3, v14
	s_branch .LBB61_20
.LBB61_19:                              ;   in Loop: Header=BB61_20 Depth=2
	s_or_b64 exec, exec, s[16:17]
	v_add_u32_e32 v4, 64, v4
	v_cmp_ge_i32_e32 vcc, v4, v12
	s_or_b64 s[12:13], vcc, s[12:13]
	s_andn2_b64 exec, exec, s[12:13]
	s_cbranch_execz .LBB61_16
.LBB61_20:                              ;   Parent Loop BB61_17 Depth=1
                                        ; =>  This Loop Header: Depth=2
                                        ;       Child Loop BB61_22 Depth 3
	v_ashrrev_i32_e32 v5, 31, v4
	v_lshlrev_b64 v[14:15], 2, v[4:5]
	v_mov_b32_e32 v16, s9
	v_add_co_u32_e32 v14, vcc, s8, v14
	v_addc_co_u32_e32 v15, vcc, v16, v15, vcc
	global_load_dword v18, v[14:15], off
	v_lshlrev_b64 v[14:15], 3, v[4:5]
	v_mov_b32_e32 v5, s11
	v_add_co_u32_e32 v14, vcc, s10, v14
	v_addc_co_u32_e32 v15, vcc, v5, v15, vcc
	global_load_dwordx2 v[16:17], v[14:15], off
	s_mov_b64 s[16:17], 0
	s_waitcnt vmcnt(1)
	v_subrev_u32_e32 v5, s45, v18
	s_waitcnt vmcnt(0)
	v_mul_f32_e64 v14, v17, -v13
	v_mul_f32_e32 v15, v3, v17
	v_fmac_f32_e32 v14, v3, v16
	v_fmac_f32_e32 v15, v13, v16
	v_mul_lo_u32 v16, v5, s19
	v_and_b32_e32 v16, 0x3fff, v16
	s_branch .LBB61_22
.LBB61_21:                              ;   in Loop: Header=BB61_22 Depth=3
	s_or_b64 exec, exec, s[24:25]
	s_xor_b64 s[24:25], s[26:27], -1
	s_and_b64 s[24:25], exec, s[24:25]
	s_or_b64 s[16:17], s[24:25], s[16:17]
	s_andn2_b64 exec, exec, s[16:17]
	s_cbranch_execz .LBB61_19
.LBB61_22:                              ;   Parent Loop BB61_17 Depth=1
                                        ;     Parent Loop BB61_20 Depth=2
                                        ; =>    This Inner Loop Header: Depth=3
	v_lshl_add_u32 v17, v16, 2, 0
	ds_read_b32 v18, v17
                                        ; implicit-def: $sgpr26_sgpr27
	s_waitcnt lgkmcnt(0)
	v_cmp_ne_u32_e32 vcc, v18, v5
	s_and_saveexec_b64 s[24:25], vcc
	s_xor_b64 s[24:25], exec, s[24:25]
	s_cbranch_execz .LBB61_30
; %bb.23:                               ;   in Loop: Header=BB61_22 Depth=3
	v_cmp_ne_u32_e32 vcc, s33, v18
                                        ; implicit-def: $sgpr26_sgpr27
	s_and_saveexec_b64 s[30:31], vcc
	s_xor_b64 s[30:31], exec, s[30:31]
; %bb.24:                               ;   in Loop: Header=BB61_22 Depth=3
	v_add_u32_e32 v16, 1, v16
	v_and_b32_e32 v16, 0x3fff, v16
	s_mov_b64 s[26:27], -1
                                        ; implicit-def: $vgpr17
; %bb.25:                               ;   in Loop: Header=BB61_22 Depth=3
	s_andn2_saveexec_b64 s[30:31], s[30:31]
	s_cbranch_execz .LBB61_29
; %bb.26:                               ;   in Loop: Header=BB61_22 Depth=3
	v_mov_b32_e32 v18, s33
	ds_cmpst_rtn_b32 v17, v17, v18, v5
	s_mov_b64 s[52:53], -1
	s_waitcnt lgkmcnt(0)
	v_cmp_eq_u32_e32 vcc, s33, v17
	s_and_saveexec_b64 s[50:51], vcc
	s_cbranch_execz .LBB61_28
; %bb.27:                               ;   in Loop: Header=BB61_22 Depth=3
	v_lshl_add_u32 v17, v16, 3, 0
	v_add_u32_e32 v17, 0x10000, v17
	ds_add_f32 v17, v14
	ds_add_f32 v17, v15 offset:4
	s_xor_b64 s[52:53], exec, -1
.LBB61_28:                              ;   in Loop: Header=BB61_22 Depth=3
	s_or_b64 exec, exec, s[50:51]
	s_andn2_b64 s[26:27], s[26:27], exec
	s_and_b64 s[50:51], s[52:53], exec
	s_or_b64 s[26:27], s[26:27], s[50:51]
.LBB61_29:                              ;   in Loop: Header=BB61_22 Depth=3
	s_or_b64 exec, exec, s[30:31]
	s_and_b64 s[26:27], s[26:27], exec
.LBB61_30:                              ;   in Loop: Header=BB61_22 Depth=3
	s_andn2_saveexec_b64 s[24:25], s[24:25]
	s_cbranch_execz .LBB61_21
; %bb.31:                               ;   in Loop: Header=BB61_22 Depth=3
	v_lshl_add_u32 v17, v16, 3, 0
	v_add_u32_e32 v17, 0x10000, v17
	ds_add_f32 v17, v14
	ds_add_f32 v17, v15 offset:4
	s_andn2_b64 s[26:27], s[26:27], exec
	s_branch .LBB61_21
.LBB61_32:
	s_or_b64 exec, exec, s[0:1]
.LBB61_33:
	s_andn2_b64 vcc, exec, s[28:29]
	s_cbranch_vccnz .LBB61_50
; %bb.34:
	s_waitcnt lgkmcnt(0)
	s_ashr_i32 s49, s48, 31
	s_lshl_b64 s[0:1], s[48:49], 2
	s_add_u32 s0, s14, s0
	s_addc_u32 s1, s15, s1
	s_load_dwordx2 s[0:1], s[0:1], 0x0
	v_subrev_u32_e32 v2, s47, v0
	s_waitcnt lgkmcnt(0)
	s_sub_i32 s16, s1, s47
	v_add_u32_e32 v2, s0, v2
	v_cmp_gt_i32_e32 vcc, s16, v2
	s_and_saveexec_b64 s[0:1], vcc
	s_cbranch_execz .LBB61_49
; %bb.35:
	s_mov_b64 s[2:3], 0
	v_mov_b32_e32 v4, s37
	v_mov_b32_e32 v5, s39
	s_movk_i32 s17, 0x89
	s_branch .LBB61_37
.LBB61_36:                              ;   in Loop: Header=BB61_37 Depth=1
	s_or_b64 exec, exec, s[4:5]
	v_add_u32_e32 v2, 0x400, v2
	v_cmp_le_i32_e32 vcc, s16, v2
	s_or_b64 s[2:3], vcc, s[2:3]
	s_andn2_b64 exec, exec, s[2:3]
	s_cbranch_execz .LBB61_49
.LBB61_37:                              ; =>This Loop Header: Depth=1
                                        ;     Child Loop BB61_39 Depth 2
	v_ashrrev_i32_e32 v3, 31, v2
	v_lshlrev_b64 v[10:11], 2, v[2:3]
	v_add_co_u32_e32 v10, vcc, s36, v10
	v_addc_co_u32_e32 v11, vcc, v4, v11, vcc
	global_load_dword v9, v[10:11], off
	v_lshlrev_b64 v[10:11], 3, v[2:3]
	v_add_co_u32_e32 v10, vcc, s38, v10
	v_addc_co_u32_e32 v11, vcc, v5, v11, vcc
	global_load_dwordx2 v[12:13], v[10:11], off
	s_mov_b64 s[4:5], 0
	s_waitcnt vmcnt(1)
	v_subrev_u32_e32 v3, s47, v9
	v_mul_lo_u32 v11, v3, s17
	v_and_b32_e32 v11, 0x3fff, v11
	s_waitcnt vmcnt(0)
	v_mul_f32_e64 v9, v13, -s55
	v_mul_f32_e32 v10, s54, v13
	v_fmac_f32_e32 v9, s54, v12
	v_fmac_f32_e32 v10, s55, v12
	s_branch .LBB61_39
.LBB61_38:                              ;   in Loop: Header=BB61_39 Depth=2
	s_or_b64 exec, exec, s[6:7]
	s_xor_b64 s[6:7], s[8:9], -1
	s_and_b64 s[6:7], exec, s[6:7]
	s_or_b64 s[4:5], s[6:7], s[4:5]
	s_andn2_b64 exec, exec, s[4:5]
	s_cbranch_execz .LBB61_36
.LBB61_39:                              ;   Parent Loop BB61_37 Depth=1
                                        ; =>  This Inner Loop Header: Depth=2
	v_lshl_add_u32 v12, v11, 2, 0
	ds_read_b32 v13, v12
                                        ; implicit-def: $sgpr8_sgpr9
	s_waitcnt lgkmcnt(0)
	v_cmp_ne_u32_e32 vcc, v13, v3
	s_and_saveexec_b64 s[6:7], vcc
	s_xor_b64 s[6:7], exec, s[6:7]
	s_cbranch_execz .LBB61_47
; %bb.40:                               ;   in Loop: Header=BB61_39 Depth=2
	v_cmp_ne_u32_e32 vcc, s33, v13
                                        ; implicit-def: $sgpr8_sgpr9
	s_and_saveexec_b64 s[10:11], vcc
	s_xor_b64 s[10:11], exec, s[10:11]
; %bb.41:                               ;   in Loop: Header=BB61_39 Depth=2
	v_add_u32_e32 v11, 1, v11
	v_and_b32_e32 v11, 0x3fff, v11
	s_mov_b64 s[8:9], -1
                                        ; implicit-def: $vgpr12
; %bb.42:                               ;   in Loop: Header=BB61_39 Depth=2
	s_andn2_saveexec_b64 s[10:11], s[10:11]
	s_cbranch_execz .LBB61_46
; %bb.43:                               ;   in Loop: Header=BB61_39 Depth=2
	v_mov_b32_e32 v13, s33
	ds_cmpst_rtn_b32 v12, v12, v13, v3
	s_mov_b64 s[14:15], -1
	s_waitcnt lgkmcnt(0)
	v_cmp_eq_u32_e32 vcc, s33, v12
	s_and_saveexec_b64 s[12:13], vcc
	s_cbranch_execz .LBB61_45
; %bb.44:                               ;   in Loop: Header=BB61_39 Depth=2
	v_lshl_add_u32 v12, v11, 3, 0
	v_add_u32_e32 v12, 0x10000, v12
	ds_add_f32 v12, v9
	ds_add_f32 v12, v10 offset:4
	s_xor_b64 s[14:15], exec, -1
.LBB61_45:                              ;   in Loop: Header=BB61_39 Depth=2
	s_or_b64 exec, exec, s[12:13]
	s_andn2_b64 s[8:9], s[8:9], exec
	s_and_b64 s[12:13], s[14:15], exec
	s_or_b64 s[8:9], s[8:9], s[12:13]
.LBB61_46:                              ;   in Loop: Header=BB61_39 Depth=2
	s_or_b64 exec, exec, s[10:11]
	s_and_b64 s[8:9], s[8:9], exec
.LBB61_47:                              ;   in Loop: Header=BB61_39 Depth=2
	s_andn2_saveexec_b64 s[6:7], s[6:7]
	s_cbranch_execz .LBB61_38
; %bb.48:                               ;   in Loop: Header=BB61_39 Depth=2
	v_lshl_add_u32 v12, v11, 3, 0
	v_add_u32_e32 v12, 0x10000, v12
	ds_add_f32 v12, v9
	ds_add_f32 v12, v10 offset:4
	s_andn2_b64 s[8:9], s[8:9], exec
	s_branch .LBB61_38
.LBB61_49:
	s_or_b64 exec, exec, s[0:1]
.LBB61_50:
	v_mbcnt_lo_u32_b32 v2, -1, 0
	v_mbcnt_hi_u32_b32 v2, -1, v2
	v_sub_u32_e32 v2, 63, v2
	s_add_i32 s44, 0, 0x30000
	s_movk_i32 s0, 0x3ff
	s_movk_i32 s2, 0x7f
	;; [unrolled: 1-line block ×15, first 2 shown]
	s_add_i32 s61, 0, 0x3003c
	v_mov_b32_e32 v9, 0
	v_lshrrev_b64 v[2:3], v2, -1
	v_lshl_add_u32 v8, v8, 2, s44
	v_cmp_eq_u32_e32 vcc, s0, v0
	v_cmp_lt_u32_e64 s[0:1], 63, v0
	v_cmp_lt_u32_e64 s[2:3], s2, v0
	;; [unrolled: 1-line block ×15, first 2 shown]
	s_mov_b64 s[36:37], 0
	s_add_i32 s45, 0, 0x30004
	s_add_i32 s47, 0, 0x30008
	;; [unrolled: 1-line block ×14, first 2 shown]
	v_mov_b32_e32 v10, s61
	s_movk_i32 s62, 0x3bff
	s_waitcnt lgkmcnt(0)
	s_barrier
	s_branch .LBB61_52
.LBB61_51:                              ;   in Loop: Header=BB61_52 Depth=1
	s_or_b64 exec, exec, s[30:31]
	s_waitcnt lgkmcnt(0)
	s_barrier
	ds_read_b32 v4, v10
	v_add_u32_e32 v1, 0x400, v1
	v_cmp_lt_u32_e64 s[30:31], s62, v1
	v_add_u32_e32 v6, 0x2000, v6
	s_or_b64 s[36:37], s[30:31], s[36:37]
	s_waitcnt lgkmcnt(0)
	v_add_u32_e32 v9, v4, v9
	v_add_u32_e32 v7, 0x1000, v7
	s_andn2_b64 exec, exec, s[36:37]
	s_cbranch_execz .LBB61_86
.LBB61_52:                              ; =>This Inner Loop Header: Depth=1
	ds_read_b32 v11, v7
	ds_read2_b32 v[4:5], v6 offset1:1
	s_waitcnt lgkmcnt(0)
	s_barrier
	v_cmp_gt_i32_e64 s[30:31], s33, v11
	v_and_b32_e32 v13, s30, v2
	s_bcnt1_i32_b64 s38, s[30:31]
	v_and_b32_e32 v12, s31, v3
	v_bcnt_u32_b32 v13, v13, 0
	v_bcnt_u32_b32 v12, v12, v13
	v_mov_b32_e32 v13, s38
	ds_write_b32 v8, v13
	s_waitcnt lgkmcnt(0)
	s_barrier
	s_and_saveexec_b64 s[38:39], s[0:1]
	s_cbranch_execnz .LBB61_69
; %bb.53:                               ;   in Loop: Header=BB61_52 Depth=1
	s_or_b64 exec, exec, s[38:39]
	s_and_saveexec_b64 s[38:39], s[2:3]
	s_cbranch_execnz .LBB61_70
.LBB61_54:                              ;   in Loop: Header=BB61_52 Depth=1
	s_or_b64 exec, exec, s[38:39]
	s_and_saveexec_b64 s[38:39], s[4:5]
	s_cbranch_execnz .LBB61_71
.LBB61_55:                              ;   in Loop: Header=BB61_52 Depth=1
	s_or_b64 exec, exec, s[38:39]
	s_and_saveexec_b64 s[38:39], s[6:7]
	s_cbranch_execnz .LBB61_72
.LBB61_56:                              ;   in Loop: Header=BB61_52 Depth=1
	s_or_b64 exec, exec, s[38:39]
	s_and_saveexec_b64 s[38:39], s[8:9]
	s_cbranch_execnz .LBB61_73
.LBB61_57:                              ;   in Loop: Header=BB61_52 Depth=1
	s_or_b64 exec, exec, s[38:39]
	s_and_saveexec_b64 s[38:39], s[10:11]
	s_cbranch_execnz .LBB61_74
.LBB61_58:                              ;   in Loop: Header=BB61_52 Depth=1
	s_or_b64 exec, exec, s[38:39]
	s_and_saveexec_b64 s[38:39], s[12:13]
	s_cbranch_execnz .LBB61_75
.LBB61_59:                              ;   in Loop: Header=BB61_52 Depth=1
	s_or_b64 exec, exec, s[38:39]
	s_and_saveexec_b64 s[38:39], s[14:15]
	s_cbranch_execnz .LBB61_76
.LBB61_60:                              ;   in Loop: Header=BB61_52 Depth=1
	s_or_b64 exec, exec, s[38:39]
	s_and_saveexec_b64 s[38:39], s[16:17]
	s_cbranch_execnz .LBB61_77
.LBB61_61:                              ;   in Loop: Header=BB61_52 Depth=1
	s_or_b64 exec, exec, s[38:39]
	s_and_saveexec_b64 s[38:39], s[18:19]
	s_cbranch_execnz .LBB61_78
.LBB61_62:                              ;   in Loop: Header=BB61_52 Depth=1
	s_or_b64 exec, exec, s[38:39]
	s_and_saveexec_b64 s[38:39], s[20:21]
	s_cbranch_execnz .LBB61_79
.LBB61_63:                              ;   in Loop: Header=BB61_52 Depth=1
	s_or_b64 exec, exec, s[38:39]
	s_and_saveexec_b64 s[38:39], s[22:23]
	s_cbranch_execnz .LBB61_80
.LBB61_64:                              ;   in Loop: Header=BB61_52 Depth=1
	s_or_b64 exec, exec, s[38:39]
	s_and_saveexec_b64 s[38:39], s[24:25]
	s_cbranch_execnz .LBB61_81
.LBB61_65:                              ;   in Loop: Header=BB61_52 Depth=1
	s_or_b64 exec, exec, s[38:39]
	s_and_saveexec_b64 s[38:39], s[26:27]
	s_cbranch_execnz .LBB61_82
.LBB61_66:                              ;   in Loop: Header=BB61_52 Depth=1
	s_or_b64 exec, exec, s[38:39]
	s_and_saveexec_b64 s[38:39], s[28:29]
	s_cbranch_execnz .LBB61_83
.LBB61_67:                              ;   in Loop: Header=BB61_52 Depth=1
	s_or_b64 exec, exec, s[38:39]
	s_and_saveexec_b64 s[38:39], s[30:31]
	s_cbranch_execnz .LBB61_84
.LBB61_68:                              ;   in Loop: Header=BB61_52 Depth=1
	s_or_b64 exec, exec, s[38:39]
	s_and_saveexec_b64 s[30:31], vcc
	s_cbranch_execz .LBB61_51
	s_branch .LBB61_85
.LBB61_69:                              ;   in Loop: Header=BB61_52 Depth=1
	v_mov_b32_e32 v13, s44
	ds_read_b32 v13, v13
	s_waitcnt lgkmcnt(0)
	v_add_u32_e32 v12, v13, v12
	s_or_b64 exec, exec, s[38:39]
	s_and_saveexec_b64 s[38:39], s[2:3]
	s_cbranch_execz .LBB61_54
.LBB61_70:                              ;   in Loop: Header=BB61_52 Depth=1
	v_mov_b32_e32 v13, s45
	ds_read_b32 v13, v13
	s_waitcnt lgkmcnt(0)
	v_add_u32_e32 v12, v13, v12
	s_or_b64 exec, exec, s[38:39]
	s_and_saveexec_b64 s[38:39], s[4:5]
	s_cbranch_execz .LBB61_55
.LBB61_71:                              ;   in Loop: Header=BB61_52 Depth=1
	v_mov_b32_e32 v13, s47
	ds_read_b32 v13, v13
	s_waitcnt lgkmcnt(0)
	v_add_u32_e32 v12, v13, v12
	s_or_b64 exec, exec, s[38:39]
	s_and_saveexec_b64 s[38:39], s[6:7]
	s_cbranch_execz .LBB61_56
.LBB61_72:                              ;   in Loop: Header=BB61_52 Depth=1
	v_mov_b32_e32 v13, s49
	ds_read_b32 v13, v13
	s_waitcnt lgkmcnt(0)
	v_add_u32_e32 v12, v13, v12
	s_or_b64 exec, exec, s[38:39]
	s_and_saveexec_b64 s[38:39], s[8:9]
	s_cbranch_execz .LBB61_57
.LBB61_73:                              ;   in Loop: Header=BB61_52 Depth=1
	v_mov_b32_e32 v13, s50
	ds_read_b32 v13, v13
	s_waitcnt lgkmcnt(0)
	v_add_u32_e32 v12, v13, v12
	s_or_b64 exec, exec, s[38:39]
	s_and_saveexec_b64 s[38:39], s[10:11]
	s_cbranch_execz .LBB61_58
.LBB61_74:                              ;   in Loop: Header=BB61_52 Depth=1
	v_mov_b32_e32 v13, s51
	ds_read_b32 v13, v13
	s_waitcnt lgkmcnt(0)
	v_add_u32_e32 v12, v13, v12
	s_or_b64 exec, exec, s[38:39]
	s_and_saveexec_b64 s[38:39], s[12:13]
	s_cbranch_execz .LBB61_59
.LBB61_75:                              ;   in Loop: Header=BB61_52 Depth=1
	v_mov_b32_e32 v13, s52
	ds_read_b32 v13, v13
	s_waitcnt lgkmcnt(0)
	v_add_u32_e32 v12, v13, v12
	s_or_b64 exec, exec, s[38:39]
	s_and_saveexec_b64 s[38:39], s[14:15]
	s_cbranch_execz .LBB61_60
.LBB61_76:                              ;   in Loop: Header=BB61_52 Depth=1
	v_mov_b32_e32 v13, s53
	ds_read_b32 v13, v13
	s_waitcnt lgkmcnt(0)
	v_add_u32_e32 v12, v13, v12
	s_or_b64 exec, exec, s[38:39]
	s_and_saveexec_b64 s[38:39], s[16:17]
	s_cbranch_execz .LBB61_61
.LBB61_77:                              ;   in Loop: Header=BB61_52 Depth=1
	v_mov_b32_e32 v13, s54
	ds_read_b32 v13, v13
	s_waitcnt lgkmcnt(0)
	v_add_u32_e32 v12, v13, v12
	s_or_b64 exec, exec, s[38:39]
	s_and_saveexec_b64 s[38:39], s[18:19]
	s_cbranch_execz .LBB61_62
.LBB61_78:                              ;   in Loop: Header=BB61_52 Depth=1
	v_mov_b32_e32 v13, s55
	ds_read_b32 v13, v13
	s_waitcnt lgkmcnt(0)
	v_add_u32_e32 v12, v13, v12
	s_or_b64 exec, exec, s[38:39]
	s_and_saveexec_b64 s[38:39], s[20:21]
	s_cbranch_execz .LBB61_63
.LBB61_79:                              ;   in Loop: Header=BB61_52 Depth=1
	v_mov_b32_e32 v13, s56
	ds_read_b32 v13, v13
	s_waitcnt lgkmcnt(0)
	v_add_u32_e32 v12, v13, v12
	s_or_b64 exec, exec, s[38:39]
	s_and_saveexec_b64 s[38:39], s[22:23]
	s_cbranch_execz .LBB61_64
.LBB61_80:                              ;   in Loop: Header=BB61_52 Depth=1
	v_mov_b32_e32 v13, s57
	ds_read_b32 v13, v13
	s_waitcnt lgkmcnt(0)
	v_add_u32_e32 v12, v13, v12
	s_or_b64 exec, exec, s[38:39]
	s_and_saveexec_b64 s[38:39], s[24:25]
	s_cbranch_execz .LBB61_65
.LBB61_81:                              ;   in Loop: Header=BB61_52 Depth=1
	v_mov_b32_e32 v13, s58
	ds_read_b32 v13, v13
	s_waitcnt lgkmcnt(0)
	v_add_u32_e32 v12, v13, v12
	s_or_b64 exec, exec, s[38:39]
	s_and_saveexec_b64 s[38:39], s[26:27]
	s_cbranch_execz .LBB61_66
.LBB61_82:                              ;   in Loop: Header=BB61_52 Depth=1
	v_mov_b32_e32 v13, s59
	ds_read_b32 v13, v13
	s_waitcnt lgkmcnt(0)
	v_add_u32_e32 v12, v13, v12
	s_or_b64 exec, exec, s[38:39]
	s_and_saveexec_b64 s[38:39], s[28:29]
	s_cbranch_execz .LBB61_67
.LBB61_83:                              ;   in Loop: Header=BB61_52 Depth=1
	v_mov_b32_e32 v13, s60
	ds_read_b32 v13, v13
	s_waitcnt lgkmcnt(0)
	v_add_u32_e32 v12, v13, v12
	s_or_b64 exec, exec, s[38:39]
	s_and_saveexec_b64 s[38:39], s[30:31]
	s_cbranch_execz .LBB61_68
.LBB61_84:                              ;   in Loop: Header=BB61_52 Depth=1
	v_add3_u32 v13, v9, -1, v12
	v_lshl_add_u32 v14, v13, 2, 0
	v_lshl_add_u32 v13, v13, 3, 0
	v_add_u32_e32 v13, 0x10000, v13
	ds_write_b32 v14, v11
	ds_write2_b32 v13, v4, v5 offset1:1
	s_or_b64 exec, exec, s[38:39]
	s_and_saveexec_b64 s[30:31], vcc
	s_cbranch_execz .LBB61_51
.LBB61_85:                              ;   in Loop: Header=BB61_52 Depth=1
	v_mov_b32_e32 v4, s61
	ds_write_b32 v4, v12
	s_branch .LBB61_51
.LBB61_86:
	s_or_b64 exec, exec, s[36:37]
	s_ashr_i32 s49, s48, 31
	s_lshl_b64 s[0:1], s[48:49], 2
	s_add_u32 s0, s40, s0
	s_addc_u32 s1, s41, s1
	s_load_dwordx2 s[0:1], s[0:1], 0x0
	s_waitcnt lgkmcnt(0)
	s_sub_i32 s14, s1, s0
	v_cmp_gt_i32_e32 vcc, s14, v0
	s_and_saveexec_b64 s[2:3], vcc
	s_cbranch_execz .LBB61_101
; %bb.87:
	s_sub_i32 s6, s0, s46
	s_add_i32 s0, s14, -2
	s_lshr_b32 s1, s0, 1
	s_add_i32 s2, s1, 1
	s_cmp_gt_u32 s14, 1
	s_cselect_b64 s[8:9], -1, 0
	s_and_b32 s15, s14, -2
	s_and_b32 s4, s2, 7
	s_cmp_gt_u32 s0, 13
	s_cselect_b64 s[0:1], -1, 0
	s_and_b32 s16, s2, -8
	s_cmp_lg_u32 s4, 0
	s_cselect_b64 s[2:3], -1, 0
	v_cndmask_b32_e64 v1, 0, 1, s[0:1]
	s_cmp_lg_u32 s14, s15
	v_cmp_ne_u32_e64 s[0:1], 1, v1
	v_cndmask_b32_e64 v1, 0, 1, s[2:3]
	s_mov_b32 s7, 0
	s_cselect_b64 s[10:11], -1, 0
	s_lshl_b32 s17, s4, 3
	s_mov_b64 s[12:13], 0
	v_cmp_ne_u32_e64 s[2:3], 1, v1
	v_mov_b32_e32 v1, s43
	v_mov_b32_e32 v6, s35
	s_branch .LBB61_89
.LBB61_88:                              ;   in Loop: Header=BB61_89 Depth=1
	v_ashrrev_i32_e32 v5, 31, v4
	v_lshlrev_b64 v[8:9], 2, v[4:5]
	v_add_co_u32_e32 v8, vcc, s42, v8
	v_addc_co_u32_e32 v9, vcc, v1, v9, vcc
	v_lshlrev_b64 v[4:5], 3, v[4:5]
	v_add_co_u32_e32 v4, vcc, s34, v4
	v_addc_co_u32_e32 v5, vcc, v6, v5, vcc
	v_add_u32_e32 v0, 0x400, v0
	v_cmp_le_i32_e32 vcc, s14, v0
	s_waitcnt lgkmcnt(1)
	v_add_u32_e32 v7, s46, v7
	s_or_b64 s[12:13], vcc, s[12:13]
	global_store_dword v[8:9], v7, off
	s_waitcnt lgkmcnt(0)
	global_store_dwordx2 v[4:5], v[2:3], off
	s_andn2_b64 exec, exec, s[12:13]
	s_cbranch_execz .LBB61_101
.LBB61_89:                              ; =>This Loop Header: Depth=1
                                        ;     Child Loop BB61_92 Depth 2
                                        ;     Child Loop BB61_97 Depth 2
	;; [unrolled: 1-line block ×3, first 2 shown]
	v_lshl_add_u32 v3, v0, 3, 0
	v_lshl_add_u32 v2, v0, 2, 0
	v_add_u32_e32 v3, 0x10000, v3
	ds_read_b32 v7, v2
	ds_read2_b32 v[2:3], v3 offset1:1
	s_and_b64 vcc, exec, s[8:9]
	s_cbranch_vccz .LBB61_94
; %bb.90:                               ;   in Loop: Header=BB61_89 Depth=1
	s_and_b64 vcc, exec, s[0:1]
	s_cbranch_vccnz .LBB61_95
; %bb.91:                               ;   in Loop: Header=BB61_89 Depth=1
	s_mov_b32 s19, 0
	v_mov_b32_e32 v4, s6
	v_mov_b32_e32 v5, 0
	s_mov_b32 s20, s16
	s_mov_b32 s18, 0
.LBB61_92:                              ;   Parent Loop BB61_89 Depth=1
                                        ; =>  This Inner Loop Header: Depth=2
	v_mov_b32_e32 v22, s19
	ds_read2_b32 v[8:9], v22 offset1:1
	ds_read2_b32 v[10:11], v22 offset0:2 offset1:3
	ds_read2_b32 v[12:13], v22 offset0:4 offset1:5
	ds_read2_b32 v[14:15], v22 offset0:6 offset1:7
	ds_read2_b32 v[16:17], v22 offset0:8 offset1:9
	ds_read2_b32 v[18:19], v22 offset0:10 offset1:11
	ds_read2_b32 v[20:21], v22 offset0:12 offset1:13
	ds_read2_b32 v[22:23], v22 offset0:14 offset1:15
	s_waitcnt lgkmcnt(7)
	v_cmp_gt_i32_e32 vcc, v7, v9
	v_cndmask_b32_e64 v9, 0, 1, vcc
	v_cmp_gt_i32_e32 vcc, v7, v8
	s_waitcnt lgkmcnt(5)
	v_cmp_gt_i32_e64 s[4:5], v7, v12
	v_cndmask_b32_e64 v8, 0, 1, vcc
	v_cmp_gt_i32_e32 vcc, v7, v11
	v_cndmask_b32_e64 v11, 0, 1, s[4:5]
	v_cmp_gt_i32_e64 s[4:5], v7, v13
	v_cndmask_b32_e64 v12, 0, 1, s[4:5]
	s_waitcnt lgkmcnt(3)
	v_cmp_gt_i32_e64 s[4:5], v7, v17
	v_cndmask_b32_e64 v13, 0, 1, s[4:5]
	v_cmp_gt_i32_e64 s[4:5], v7, v16
	v_cndmask_b32_e64 v16, 0, 1, s[4:5]
	s_waitcnt lgkmcnt(1)
	v_cmp_gt_i32_e64 s[4:5], v7, v20
	v_cndmask_b32_e64 v17, 0, 1, s[4:5]
	v_cmp_gt_i32_e64 s[4:5], v7, v21
	v_cndmask_b32_e64 v20, 0, 1, s[4:5]
	v_cmp_gt_i32_e64 s[4:5], v7, v10
	v_addc_co_u32_e64 v4, s[4:5], v4, v8, s[4:5]
	v_addc_co_u32_e32 v5, vcc, v5, v9, vcc
	v_cmp_gt_i32_e32 vcc, v7, v14
	v_cmp_gt_i32_e64 s[4:5], v7, v15
	v_addc_co_u32_e64 v5, s[4:5], v5, v12, s[4:5]
	v_addc_co_u32_e32 v4, vcc, v4, v11, vcc
	v_cmp_gt_i32_e32 vcc, v7, v19
	v_cmp_gt_i32_e64 s[4:5], v7, v18
	v_addc_co_u32_e64 v4, s[4:5], v4, v16, s[4:5]
	v_addc_co_u32_e32 v5, vcc, v5, v13, vcc
	s_add_i32 s18, s18, 16
	s_add_i32 s19, s19, 64
	s_add_i32 s20, s20, -8
	s_waitcnt lgkmcnt(0)
	v_cmp_gt_i32_e32 vcc, v7, v22
	v_cmp_gt_i32_e64 s[4:5], v7, v23
	s_cmp_lg_u32 s20, 0
	v_addc_co_u32_e64 v5, s[4:5], v5, v20, s[4:5]
	v_addc_co_u32_e32 v4, vcc, v4, v17, vcc
	s_cbranch_scc1 .LBB61_92
; %bb.93:                               ;   in Loop: Header=BB61_89 Depth=1
	s_and_b64 vcc, exec, s[2:3]
	s_cbranch_vccz .LBB61_96
	s_branch .LBB61_98
.LBB61_94:                              ;   in Loop: Header=BB61_89 Depth=1
	v_mov_b32_e32 v4, s6
	s_mov_b32 s18, 0
	s_cbranch_execz .LBB61_88
	s_branch .LBB61_99
.LBB61_95:                              ;   in Loop: Header=BB61_89 Depth=1
	v_pk_mov_b32 v[4:5], s[6:7], s[6:7] op_sel:[0,1]
	s_mov_b32 s18, 0
	s_and_b64 vcc, exec, s[2:3]
	s_cbranch_vccnz .LBB61_98
.LBB61_96:                              ;   in Loop: Header=BB61_89 Depth=1
	s_lshl_b32 s4, s18, 2
	s_add_i32 s4, s4, 0
	s_mov_b32 s5, s17
.LBB61_97:                              ;   Parent Loop BB61_89 Depth=1
                                        ; =>  This Inner Loop Header: Depth=2
	v_mov_b32_e32 v8, s4
	ds_read2_b32 v[8:9], v8 offset1:1
	s_add_i32 s4, s4, 8
	s_add_i32 s5, s5, -8
	s_cmp_lg_u32 s5, 0
	s_waitcnt lgkmcnt(0)
	v_cmp_gt_i32_e32 vcc, v7, v9
	v_addc_co_u32_e32 v5, vcc, 0, v5, vcc
	v_cmp_gt_i32_e32 vcc, v7, v8
	v_addc_co_u32_e32 v4, vcc, 0, v4, vcc
	s_cbranch_scc1 .LBB61_97
.LBB61_98:                              ;   in Loop: Header=BB61_89 Depth=1
	v_add_u32_e32 v4, v4, v5
	s_mov_b32 s18, s15
	s_mov_b64 s[4:5], s[10:11]
	s_and_b64 vcc, exec, s[4:5]
	s_cbranch_vccz .LBB61_88
.LBB61_99:                              ;   in Loop: Header=BB61_89 Depth=1
	s_lshl_b32 s4, s18, 2
	s_add_i32 s4, s4, 0
.LBB61_100:                             ;   Parent Loop BB61_89 Depth=1
                                        ; =>  This Inner Loop Header: Depth=2
	v_mov_b32_e32 v5, s4
	ds_read_b32 v5, v5
	s_add_i32 s18, s18, 1
	s_add_i32 s4, s4, 4
	s_cmp_ge_i32 s18, s14
	s_waitcnt lgkmcnt(0)
	v_cmp_gt_i32_e32 vcc, v7, v5
	v_addc_co_u32_e32 v4, vcc, 0, v4, vcc
	s_cbranch_scc0 .LBB61_100
	s_branch .LBB61_88
.LBB61_101:
	s_endpgm
	.section	.rodata,"a",@progbits
	.p2align	6, 0x0
	.amdhsa_kernel _ZN9rocsparseL26csrgemm_fill_block_per_rowILj1024ELj64ELj16384ELj137ELj64Eii21rocsparse_complex_numIfEEEvT5_PKS3_S5_NS_24const_host_device_scalarIT6_EEPKT4_S5_PKS7_SB_S5_SD_S8_SB_S5_SD_SB_PS3_PS7_21rocsparse_index_base_SG_SG_SG_bbb
		.amdhsa_group_segment_fixed_size 0
		.amdhsa_private_segment_fixed_size 0
		.amdhsa_kernarg_size 156
		.amdhsa_user_sgpr_count 6
		.amdhsa_user_sgpr_private_segment_buffer 1
		.amdhsa_user_sgpr_dispatch_ptr 0
		.amdhsa_user_sgpr_queue_ptr 0
		.amdhsa_user_sgpr_kernarg_segment_ptr 1
		.amdhsa_user_sgpr_dispatch_id 0
		.amdhsa_user_sgpr_flat_scratch_init 0
		.amdhsa_user_sgpr_kernarg_preload_length 0
		.amdhsa_user_sgpr_kernarg_preload_offset 0
		.amdhsa_user_sgpr_private_segment_size 0
		.amdhsa_uses_dynamic_stack 0
		.amdhsa_system_sgpr_private_segment_wavefront_offset 0
		.amdhsa_system_sgpr_workgroup_id_x 1
		.amdhsa_system_sgpr_workgroup_id_y 0
		.amdhsa_system_sgpr_workgroup_id_z 0
		.amdhsa_system_sgpr_workgroup_info 0
		.amdhsa_system_vgpr_workitem_id 0
		.amdhsa_next_free_vgpr 24
		.amdhsa_next_free_sgpr 63
		.amdhsa_accum_offset 24
		.amdhsa_reserve_vcc 1
		.amdhsa_reserve_flat_scratch 0
		.amdhsa_float_round_mode_32 0
		.amdhsa_float_round_mode_16_64 0
		.amdhsa_float_denorm_mode_32 3
		.amdhsa_float_denorm_mode_16_64 3
		.amdhsa_dx10_clamp 1
		.amdhsa_ieee_mode 1
		.amdhsa_fp16_overflow 0
		.amdhsa_tg_split 0
		.amdhsa_exception_fp_ieee_invalid_op 0
		.amdhsa_exception_fp_denorm_src 0
		.amdhsa_exception_fp_ieee_div_zero 0
		.amdhsa_exception_fp_ieee_overflow 0
		.amdhsa_exception_fp_ieee_underflow 0
		.amdhsa_exception_fp_ieee_inexact 0
		.amdhsa_exception_int_div_zero 0
	.end_amdhsa_kernel
	.section	.text._ZN9rocsparseL26csrgemm_fill_block_per_rowILj1024ELj64ELj16384ELj137ELj64Eii21rocsparse_complex_numIfEEEvT5_PKS3_S5_NS_24const_host_device_scalarIT6_EEPKT4_S5_PKS7_SB_S5_SD_S8_SB_S5_SD_SB_PS3_PS7_21rocsparse_index_base_SG_SG_SG_bbb,"axG",@progbits,_ZN9rocsparseL26csrgemm_fill_block_per_rowILj1024ELj64ELj16384ELj137ELj64Eii21rocsparse_complex_numIfEEEvT5_PKS3_S5_NS_24const_host_device_scalarIT6_EEPKT4_S5_PKS7_SB_S5_SD_S8_SB_S5_SD_SB_PS3_PS7_21rocsparse_index_base_SG_SG_SG_bbb,comdat
.Lfunc_end61:
	.size	_ZN9rocsparseL26csrgemm_fill_block_per_rowILj1024ELj64ELj16384ELj137ELj64Eii21rocsparse_complex_numIfEEEvT5_PKS3_S5_NS_24const_host_device_scalarIT6_EEPKT4_S5_PKS7_SB_S5_SD_S8_SB_S5_SD_SB_PS3_PS7_21rocsparse_index_base_SG_SG_SG_bbb, .Lfunc_end61-_ZN9rocsparseL26csrgemm_fill_block_per_rowILj1024ELj64ELj16384ELj137ELj64Eii21rocsparse_complex_numIfEEEvT5_PKS3_S5_NS_24const_host_device_scalarIT6_EEPKT4_S5_PKS7_SB_S5_SD_S8_SB_S5_SD_SB_PS3_PS7_21rocsparse_index_base_SG_SG_SG_bbb
                                        ; -- End function
	.section	.AMDGPU.csdata,"",@progbits
; Kernel info:
; codeLenInByte = 3648
; NumSgprs: 67
; NumVgprs: 24
; NumAgprs: 0
; TotalNumVgprs: 24
; ScratchSize: 0
; MemoryBound: 0
; FloatMode: 240
; IeeeMode: 1
; LDSByteSize: 0 bytes/workgroup (compile time only)
; SGPRBlocks: 8
; VGPRBlocks: 2
; NumSGPRsForWavesPerEU: 67
; NumVGPRsForWavesPerEU: 24
; AccumOffset: 24
; Occupancy: 8
; WaveLimiterHint : 1
; COMPUTE_PGM_RSRC2:SCRATCH_EN: 0
; COMPUTE_PGM_RSRC2:USER_SGPR: 6
; COMPUTE_PGM_RSRC2:TRAP_HANDLER: 0
; COMPUTE_PGM_RSRC2:TGID_X_EN: 1
; COMPUTE_PGM_RSRC2:TGID_Y_EN: 0
; COMPUTE_PGM_RSRC2:TGID_Z_EN: 0
; COMPUTE_PGM_RSRC2:TIDIG_COMP_CNT: 0
; COMPUTE_PGM_RSRC3_GFX90A:ACCUM_OFFSET: 5
; COMPUTE_PGM_RSRC3_GFX90A:TG_SPLIT: 0
	.section	.text._ZN9rocsparseL26csrgemm_fill_block_per_rowILj1024ELj64ELj32768ELj137ELj32Eii21rocsparse_complex_numIfEEEvT5_PKS3_S5_NS_24const_host_device_scalarIT6_EEPKT4_S5_PKS7_SB_S5_SD_S8_SB_S5_SD_SB_PS3_PS7_21rocsparse_index_base_SG_SG_SG_bbb,"axG",@progbits,_ZN9rocsparseL26csrgemm_fill_block_per_rowILj1024ELj64ELj32768ELj137ELj32Eii21rocsparse_complex_numIfEEEvT5_PKS3_S5_NS_24const_host_device_scalarIT6_EEPKT4_S5_PKS7_SB_S5_SD_S8_SB_S5_SD_SB_PS3_PS7_21rocsparse_index_base_SG_SG_SG_bbb,comdat
	.globl	_ZN9rocsparseL26csrgemm_fill_block_per_rowILj1024ELj64ELj32768ELj137ELj32Eii21rocsparse_complex_numIfEEEvT5_PKS3_S5_NS_24const_host_device_scalarIT6_EEPKT4_S5_PKS7_SB_S5_SD_S8_SB_S5_SD_SB_PS3_PS7_21rocsparse_index_base_SG_SG_SG_bbb ; -- Begin function _ZN9rocsparseL26csrgemm_fill_block_per_rowILj1024ELj64ELj32768ELj137ELj32Eii21rocsparse_complex_numIfEEEvT5_PKS3_S5_NS_24const_host_device_scalarIT6_EEPKT4_S5_PKS7_SB_S5_SD_S8_SB_S5_SD_SB_PS3_PS7_21rocsparse_index_base_SG_SG_SG_bbb
	.p2align	8
	.type	_ZN9rocsparseL26csrgemm_fill_block_per_rowILj1024ELj64ELj32768ELj137ELj32Eii21rocsparse_complex_numIfEEEvT5_PKS3_S5_NS_24const_host_device_scalarIT6_EEPKT4_S5_PKS7_SB_S5_SD_S8_SB_S5_SD_SB_PS3_PS7_21rocsparse_index_base_SG_SG_SG_bbb,@function
_ZN9rocsparseL26csrgemm_fill_block_per_rowILj1024ELj64ELj32768ELj137ELj32Eii21rocsparse_complex_numIfEEEvT5_PKS3_S5_NS_24const_host_device_scalarIT6_EEPKT4_S5_PKS7_SB_S5_SD_S8_SB_S5_SD_SB_PS3_PS7_21rocsparse_index_base_SG_SG_SG_bbb: ; @_ZN9rocsparseL26csrgemm_fill_block_per_rowILj1024ELj64ELj32768ELj137ELj32Eii21rocsparse_complex_numIfEEEvT5_PKS3_S5_NS_24const_host_device_scalarIT6_EEPKT4_S5_PKS7_SB_S5_SD_S8_SB_S5_SD_SB_PS3_PS7_21rocsparse_index_base_SG_SG_SG_bbb
; %bb.0:
	s_load_dwordx8 s[44:51], s[4:5], 0x60
	s_load_dwordx8 s[8:15], s[4:5], 0x40
	s_load_dword s7, s[4:5], 0x98
	s_load_dwordx4 s[24:27], s[4:5], 0x8
	s_load_dwordx8 s[16:23], s[4:5], 0x20
	s_load_dwordx2 s[0:1], s[4:5], 0x80
                                        ; implicit-def: $vgpr24 : SGPR spill to VGPR lane
	s_load_dwordx4 s[72:75], s[4:5], 0x88
	s_waitcnt lgkmcnt(0)
	s_bitcmp1_b32 s7, 0
	s_cselect_b64 s[30:31], -1, 0
	s_bitcmp1_b32 s7, 16
	v_writelane_b32 v24, s0, 0
	v_writelane_b32 v24, s1, 1
	s_cselect_b64 s[0:1], -1, 0
	s_xor_b64 s[0:1], s[0:1], -1
	v_cndmask_b32_e64 v1, 0, 1, s[0:1]
	s_mov_b32 s3, 0
	s_bitcmp0_b32 s7, 0
	v_cmp_ne_u32_e64 s[0:1], 1, v1
	s_mov_b32 s40, 0
	s_cbranch_scc1 .LBB62_5
; %bb.1:
	s_load_dwordx2 s[2:3], s[4:5], 0x18
	s_and_b64 vcc, exec, s[0:1]
	s_waitcnt lgkmcnt(0)
	s_mov_b32 s40, s2
	s_cbranch_vccnz .LBB62_3
; %bb.2:
	s_load_dword s40, s[2:3], 0x0
.LBB62_3:
	s_and_b64 vcc, exec, s[0:1]
	s_cbranch_vccnz .LBB62_5
; %bb.4:
	s_load_dword s3, s[2:3], 0x4
.LBB62_5:
	s_bitcmp1_b32 s7, 8
	s_cselect_b64 s[28:29], -1, 0
	s_bfe_u32 s2, s7, 0x10008
	s_mov_b32 s39, 0
	s_cmp_eq_u32 s2, 0
	s_mov_b32 s38, 0
	s_cbranch_scc1 .LBB62_11
; %bb.6:
	s_and_b64 vcc, exec, s[0:1]
	s_mov_b32 s38, s12
	s_cbranch_vccnz .LBB62_8
; %bb.7:
	s_load_dword s38, s[12:13], 0x0
.LBB62_8:
	s_and_b64 vcc, exec, s[0:1]
	s_cbranch_vccnz .LBB62_10
; %bb.9:
	s_load_dword s13, s[12:13], 0x4
.LBB62_10:
	s_waitcnt lgkmcnt(0)
	s_mov_b32 s39, s13
.LBB62_11:
	s_load_dword s33, s[4:5], 0x0
	v_lshl_add_u32 v2, v0, 3, 0
	v_or_b32_e32 v1, 0xfffffc00, v0
	v_add_u32_e32 v6, 0x20000, v2
	v_lshl_add_u32 v7, v0, 2, 0
	s_mov_b64 s[0:1], 0
	s_waitcnt lgkmcnt(0)
	v_mov_b32_e32 v2, s33
	v_mov_b32_e32 v3, 0
	s_movk_i32 s2, 0x7bff
	v_mov_b32_e32 v4, v7
	v_mov_b32_e32 v5, v6
	v_mov_b32_e32 v8, v1
.LBB62_12:                              ; =>This Inner Loop Header: Depth=1
	v_add_u32_e32 v8, 0x400, v8
	v_cmp_lt_u32_e32 vcc, s2, v8
	ds_write_b32 v4, v2
	ds_write2_b32 v5, v3, v3 offset1:1
	v_add_u32_e32 v5, 0x2000, v5
	s_or_b64 s[0:1], vcc, s[0:1]
	v_add_u32_e32 v4, 0x1000, v4
	s_andn2_b64 exec, exec, s[0:1]
	s_cbranch_execnz .LBB62_12
; %bb.13:
	s_or_b64 exec, exec, s[0:1]
	s_waitcnt lgkmcnt(0)
	s_barrier
	s_load_dword s0, s[24:25], 0x0
	s_mov_b32 s1, 0
	s_waitcnt lgkmcnt(0)
	s_add_i32 s0, s0, s6
	s_lshl_b64 s[0:1], s[0:1], 2
	s_add_u32 s0, s26, s0
	s_addc_u32 s1, s27, s1
	s_load_dword s52, s[0:1], 0x0
	s_and_b64 vcc, exec, s[30:31]
	s_cbranch_vccz .LBB62_33
; %bb.14:
	s_waitcnt lgkmcnt(0)
	s_ashr_i32 s53, s52, 31
	s_lshl_b64 s[0:1], s[52:53], 2
	s_add_u32 s0, s16, s0
	s_addc_u32 s1, s17, s1
	s_load_dwordx2 s[0:1], s[0:1], 0x0
	v_lshrrev_b32_e32 v2, 6, v0
	v_subrev_u32_e32 v2, s72, v2
	s_waitcnt lgkmcnt(0)
	s_sub_i32 s2, s1, s72
	v_add_u32_e32 v2, s0, v2
	v_cmp_gt_i32_e32 vcc, s2, v2
	s_and_saveexec_b64 s[0:1], vcc
	s_cbranch_execz .LBB62_32
; %bb.15:
	v_and_b32_e32 v3, 63, v0
	v_subrev_u32_e32 v8, s73, v3
	s_mov_b64 s[4:5], 0
	v_mov_b32_e32 v9, s19
	v_mov_b32_e32 v10, s23
	s_movk_i32 s19, 0x89
	s_branch .LBB62_17
.LBB62_16:                              ;   in Loop: Header=BB62_17 Depth=1
	s_or_b64 exec, exec, s[6:7]
	v_add_u32_e32 v2, 16, v2
	v_cmp_le_i32_e32 vcc, s2, v2
	s_or_b64 s[4:5], vcc, s[4:5]
	s_andn2_b64 exec, exec, s[4:5]
	s_cbranch_execz .LBB62_32
.LBB62_17:                              ; =>This Loop Header: Depth=1
                                        ;     Child Loop BB62_20 Depth 2
                                        ;       Child Loop BB62_22 Depth 3
	v_ashrrev_i32_e32 v3, 31, v2
	v_lshlrev_b64 v[4:5], 2, v[2:3]
	v_add_co_u32_e32 v4, vcc, s18, v4
	v_addc_co_u32_e32 v5, vcc, v9, v5, vcc
	global_load_dword v4, v[4:5], off
	s_waitcnt vmcnt(0)
	v_subrev_u32_e32 v4, s72, v4
	v_ashrrev_i32_e32 v5, 31, v4
	v_lshlrev_b64 v[4:5], 2, v[4:5]
	v_add_co_u32_e32 v4, vcc, s22, v4
	v_addc_co_u32_e32 v5, vcc, v10, v5, vcc
	global_load_dwordx2 v[4:5], v[4:5], off
	s_waitcnt vmcnt(0)
	v_subrev_u32_e32 v11, s73, v5
	v_add_u32_e32 v4, v4, v8
	v_cmp_lt_i32_e32 vcc, v4, v11
	s_and_saveexec_b64 s[6:7], vcc
	s_cbranch_execz .LBB62_16
; %bb.18:                               ;   in Loop: Header=BB62_17 Depth=1
	v_lshlrev_b64 v[12:13], 3, v[2:3]
	v_mov_b32_e32 v3, s21
	v_add_co_u32_e32 v12, vcc, s20, v12
	v_addc_co_u32_e32 v13, vcc, v3, v13, vcc
	global_load_dwordx2 v[14:15], v[12:13], off
	s_mov_b64 s[12:13], 0
	s_waitcnt vmcnt(0)
	v_mul_f32_e64 v3, v15, -s3
	v_mul_f32_e32 v12, s40, v15
	v_fmac_f32_e32 v3, s40, v14
	v_fmac_f32_e32 v12, s3, v14
	s_branch .LBB62_20
.LBB62_19:                              ;   in Loop: Header=BB62_20 Depth=2
	s_or_b64 exec, exec, s[16:17]
	v_add_u32_e32 v4, 64, v4
	v_cmp_ge_i32_e32 vcc, v4, v11
	s_or_b64 s[12:13], vcc, s[12:13]
	s_andn2_b64 exec, exec, s[12:13]
	s_cbranch_execz .LBB62_16
.LBB62_20:                              ;   Parent Loop BB62_17 Depth=1
                                        ; =>  This Loop Header: Depth=2
                                        ;       Child Loop BB62_22 Depth 3
	v_ashrrev_i32_e32 v5, 31, v4
	v_lshlrev_b64 v[14:15], 2, v[4:5]
	v_mov_b32_e32 v13, s9
	v_add_co_u32_e32 v14, vcc, s8, v14
	v_addc_co_u32_e32 v15, vcc, v13, v15, vcc
	global_load_dword v13, v[14:15], off
	v_lshlrev_b64 v[14:15], 3, v[4:5]
	v_mov_b32_e32 v5, s11
	v_add_co_u32_e32 v14, vcc, s10, v14
	v_addc_co_u32_e32 v15, vcc, v5, v15, vcc
	global_load_dwordx2 v[16:17], v[14:15], off
	s_mov_b64 s[16:17], 0
	s_waitcnt vmcnt(1)
	v_subrev_u32_e32 v5, s73, v13
	v_mul_lo_u32 v15, v5, s19
	v_and_b32_e32 v15, 0x7fff, v15
	s_waitcnt vmcnt(0)
	v_mul_f32_e64 v13, v17, -v12
	v_mul_f32_e32 v14, v3, v17
	v_fmac_f32_e32 v13, v3, v16
	v_fmac_f32_e32 v14, v12, v16
	s_branch .LBB62_22
.LBB62_21:                              ;   in Loop: Header=BB62_22 Depth=3
	s_or_b64 exec, exec, s[24:25]
	s_xor_b64 s[24:25], s[26:27], -1
	s_and_b64 s[24:25], exec, s[24:25]
	s_or_b64 s[16:17], s[24:25], s[16:17]
	s_andn2_b64 exec, exec, s[16:17]
	s_cbranch_execz .LBB62_19
.LBB62_22:                              ;   Parent Loop BB62_17 Depth=1
                                        ;     Parent Loop BB62_20 Depth=2
                                        ; =>    This Inner Loop Header: Depth=3
	v_lshl_add_u32 v16, v15, 2, 0
	ds_read_b32 v17, v16
                                        ; implicit-def: $sgpr26_sgpr27
	s_waitcnt lgkmcnt(0)
	v_cmp_ne_u32_e32 vcc, v17, v5
	s_and_saveexec_b64 s[24:25], vcc
	s_xor_b64 s[24:25], exec, s[24:25]
	s_cbranch_execz .LBB62_30
; %bb.23:                               ;   in Loop: Header=BB62_22 Depth=3
	v_cmp_ne_u32_e32 vcc, s33, v17
                                        ; implicit-def: $sgpr26_sgpr27
	s_and_saveexec_b64 s[30:31], vcc
	s_xor_b64 s[30:31], exec, s[30:31]
; %bb.24:                               ;   in Loop: Header=BB62_22 Depth=3
	v_add_u32_e32 v15, 1, v15
	v_and_b32_e32 v15, 0x7fff, v15
	s_mov_b64 s[26:27], -1
                                        ; implicit-def: $vgpr16
; %bb.25:                               ;   in Loop: Header=BB62_22 Depth=3
	s_andn2_saveexec_b64 s[30:31], s[30:31]
	s_cbranch_execz .LBB62_29
; %bb.26:                               ;   in Loop: Header=BB62_22 Depth=3
	v_mov_b32_e32 v17, s33
	ds_cmpst_rtn_b32 v16, v16, v17, v5
	s_mov_b64 s[36:37], -1
	s_waitcnt lgkmcnt(0)
	v_cmp_eq_u32_e32 vcc, s33, v16
	s_and_saveexec_b64 s[34:35], vcc
	s_cbranch_execz .LBB62_28
; %bb.27:                               ;   in Loop: Header=BB62_22 Depth=3
	v_lshl_add_u32 v16, v15, 3, 0
	v_add_u32_e32 v16, 0x20000, v16
	ds_add_f32 v16, v13
	ds_add_f32 v16, v14 offset:4
	s_xor_b64 s[36:37], exec, -1
.LBB62_28:                              ;   in Loop: Header=BB62_22 Depth=3
	s_or_b64 exec, exec, s[34:35]
	s_andn2_b64 s[26:27], s[26:27], exec
	s_and_b64 s[34:35], s[36:37], exec
	s_or_b64 s[26:27], s[26:27], s[34:35]
.LBB62_29:                              ;   in Loop: Header=BB62_22 Depth=3
	s_or_b64 exec, exec, s[30:31]
	s_and_b64 s[26:27], s[26:27], exec
.LBB62_30:                              ;   in Loop: Header=BB62_22 Depth=3
	s_andn2_saveexec_b64 s[24:25], s[24:25]
	s_cbranch_execz .LBB62_21
; %bb.31:                               ;   in Loop: Header=BB62_22 Depth=3
	v_lshl_add_u32 v16, v15, 3, 0
	v_add_u32_e32 v16, 0x20000, v16
	ds_add_f32 v16, v13
	ds_add_f32 v16, v14 offset:4
	s_andn2_b64 s[26:27], s[26:27], exec
	s_branch .LBB62_21
.LBB62_32:
	s_or_b64 exec, exec, s[0:1]
.LBB62_33:
	s_andn2_b64 vcc, exec, s[28:29]
	s_cbranch_vccnz .LBB62_50
; %bb.34:
	s_waitcnt lgkmcnt(0)
	s_ashr_i32 s53, s52, 31
	s_lshl_b64 s[0:1], s[52:53], 2
	s_add_u32 s0, s14, s0
	s_addc_u32 s1, s15, s1
	s_load_dwordx2 s[0:1], s[0:1], 0x0
	v_subrev_u32_e32 v2, s75, v0
	s_waitcnt lgkmcnt(0)
	s_sub_i32 s16, s1, s75
	v_add_u32_e32 v2, s0, v2
	v_cmp_gt_i32_e32 vcc, s16, v2
	s_and_saveexec_b64 s[0:1], vcc
	s_cbranch_execz .LBB62_49
; %bb.35:
	s_mov_b64 s[2:3], 0
	v_mov_b32_e32 v4, s45
	v_mov_b32_e32 v5, s47
	s_movk_i32 s17, 0x89
	s_branch .LBB62_37
.LBB62_36:                              ;   in Loop: Header=BB62_37 Depth=1
	s_or_b64 exec, exec, s[4:5]
	v_add_u32_e32 v2, 0x400, v2
	v_cmp_le_i32_e32 vcc, s16, v2
	s_or_b64 s[2:3], vcc, s[2:3]
	s_andn2_b64 exec, exec, s[2:3]
	s_cbranch_execz .LBB62_49
.LBB62_37:                              ; =>This Loop Header: Depth=1
                                        ;     Child Loop BB62_39 Depth 2
	v_ashrrev_i32_e32 v3, 31, v2
	v_lshlrev_b64 v[8:9], 2, v[2:3]
	v_add_co_u32_e32 v8, vcc, s44, v8
	v_addc_co_u32_e32 v9, vcc, v4, v9, vcc
	global_load_dword v12, v[8:9], off
	v_lshlrev_b64 v[8:9], 3, v[2:3]
	v_add_co_u32_e32 v8, vcc, s46, v8
	v_addc_co_u32_e32 v9, vcc, v5, v9, vcc
	global_load_dwordx2 v[10:11], v[8:9], off
	s_mov_b64 s[4:5], 0
	s_waitcnt vmcnt(1)
	v_subrev_u32_e32 v3, s75, v12
	s_waitcnt vmcnt(0)
	v_mul_f32_e64 v8, v11, -s39
	v_mul_f32_e32 v9, s38, v11
	v_fmac_f32_e32 v8, s38, v10
	v_fmac_f32_e32 v9, s39, v10
	v_mul_lo_u32 v10, v3, s17
	v_and_b32_e32 v10, 0x7fff, v10
	s_branch .LBB62_39
.LBB62_38:                              ;   in Loop: Header=BB62_39 Depth=2
	s_or_b64 exec, exec, s[6:7]
	s_xor_b64 s[6:7], s[8:9], -1
	s_and_b64 s[6:7], exec, s[6:7]
	s_or_b64 s[4:5], s[6:7], s[4:5]
	s_andn2_b64 exec, exec, s[4:5]
	s_cbranch_execz .LBB62_36
.LBB62_39:                              ;   Parent Loop BB62_37 Depth=1
                                        ; =>  This Inner Loop Header: Depth=2
	v_lshl_add_u32 v11, v10, 2, 0
	ds_read_b32 v12, v11
                                        ; implicit-def: $sgpr8_sgpr9
	s_waitcnt lgkmcnt(0)
	v_cmp_ne_u32_e32 vcc, v12, v3
	s_and_saveexec_b64 s[6:7], vcc
	s_xor_b64 s[6:7], exec, s[6:7]
	s_cbranch_execz .LBB62_47
; %bb.40:                               ;   in Loop: Header=BB62_39 Depth=2
	v_cmp_ne_u32_e32 vcc, s33, v12
                                        ; implicit-def: $sgpr8_sgpr9
	s_and_saveexec_b64 s[10:11], vcc
	s_xor_b64 s[10:11], exec, s[10:11]
; %bb.41:                               ;   in Loop: Header=BB62_39 Depth=2
	v_add_u32_e32 v10, 1, v10
	v_and_b32_e32 v10, 0x7fff, v10
	s_mov_b64 s[8:9], -1
                                        ; implicit-def: $vgpr11
; %bb.42:                               ;   in Loop: Header=BB62_39 Depth=2
	s_andn2_saveexec_b64 s[10:11], s[10:11]
	s_cbranch_execz .LBB62_46
; %bb.43:                               ;   in Loop: Header=BB62_39 Depth=2
	v_mov_b32_e32 v12, s33
	ds_cmpst_rtn_b32 v11, v11, v12, v3
	s_mov_b64 s[14:15], -1
	s_waitcnt lgkmcnt(0)
	v_cmp_eq_u32_e32 vcc, s33, v11
	s_and_saveexec_b64 s[12:13], vcc
	s_cbranch_execz .LBB62_45
; %bb.44:                               ;   in Loop: Header=BB62_39 Depth=2
	v_lshl_add_u32 v11, v10, 3, 0
	v_add_u32_e32 v11, 0x20000, v11
	ds_add_f32 v11, v8
	ds_add_f32 v11, v9 offset:4
	s_xor_b64 s[14:15], exec, -1
.LBB62_45:                              ;   in Loop: Header=BB62_39 Depth=2
	s_or_b64 exec, exec, s[12:13]
	s_andn2_b64 s[8:9], s[8:9], exec
	s_and_b64 s[12:13], s[14:15], exec
	s_or_b64 s[8:9], s[8:9], s[12:13]
.LBB62_46:                              ;   in Loop: Header=BB62_39 Depth=2
	s_or_b64 exec, exec, s[10:11]
	s_and_b64 s[8:9], s[8:9], exec
.LBB62_47:                              ;   in Loop: Header=BB62_39 Depth=2
	s_andn2_saveexec_b64 s[6:7], s[6:7]
	s_cbranch_execz .LBB62_38
; %bb.48:                               ;   in Loop: Header=BB62_39 Depth=2
	v_lshl_add_u32 v11, v10, 3, 0
	v_add_u32_e32 v11, 0x20000, v11
	ds_add_f32 v11, v8
	ds_add_f32 v11, v9 offset:4
	s_andn2_b64 s[8:9], s[8:9], exec
	s_branch .LBB62_38
.LBB62_49:
	s_or_b64 exec, exec, s[0:1]
.LBB62_50:
	s_waitcnt lgkmcnt(0)
	v_writelane_b32 v24, s52, 2
	v_writelane_b32 v24, s53, 3
	;; [unrolled: 1-line block ×10, first 2 shown]
	s_add_i32 s0, 0, 0x60000
	v_writelane_b32 v24, s0, 12
	s_add_i32 s60, 0, 0x60004
	v_writelane_b32 v24, s60, 13
	;; [unrolled: 2-line block ×5, first 2 shown]
	s_add_i32 s60, 0, 0x60014
	v_lshrrev_b32_e32 v4, 3, v0
	v_writelane_b32 v24, s60, 17
	s_add_i32 s60, 0, 0x60018
	v_mbcnt_lo_u32_b32 v2, -1, 0
	v_and_b32_e32 v4, 0x7c, v4
	v_writelane_b32 v24, s60, 18
	s_add_i32 s60, 0, 0x6001c
	v_mbcnt_hi_u32_b32 v2, -1, v2
	v_add_u32_e32 v9, s0, v4
	s_movk_i32 s0, 0x3ff
	v_writelane_b32 v24, s60, 19
	s_add_i32 s60, 0, 0x60020
	v_sub_u32_e32 v2, 63, v2
	v_cmp_eq_u32_e32 vcc, s0, v0
	s_movk_i32 s0, 0x5f
	s_movk_i32 s2, 0x7f
	;; [unrolled: 1-line block ×29, first 2 shown]
	v_writelane_b32 v24, s60, 20
	s_add_i32 s60, 0, 0x60024
	v_mov_b32_e32 v8, 0
	v_lshrrev_b64 v[2:3], v2, -1
	v_cmp_lt_u32_e64 s[0:1], s0, v0
	v_cmp_lt_u32_e64 s[2:3], s2, v0
	;; [unrolled: 1-line block ×29, first 2 shown]
	v_writelane_b32 v24, s60, 21
	s_add_i32 s88, 0, 0x60028
	s_add_i32 s89, 0, 0x6002c
	;; [unrolled: 1-line block ×22, first 2 shown]
	s_movk_i32 s85, 0x7bff
	v_cmp_lt_u32_e64 s[60:61], 31, v0
	v_cmp_lt_u32_e64 s[62:63], 63, v0
	s_mov_b64 s[66:67], 0
	s_barrier
	s_branch .LBB62_52
.LBB62_51:                              ;   in Loop: Header=BB62_52 Depth=1
	s_or_b64 exec, exec, s[64:65]
	v_mov_b32_e32 v4, s84
	s_waitcnt lgkmcnt(0)
	s_barrier
	ds_read_b32 v4, v4
	v_add_u32_e32 v1, 0x400, v1
	v_cmp_lt_u32_e64 s[64:65], s85, v1
	v_add_u32_e32 v6, 0x2000, v6
	s_or_b64 s[66:67], s[64:65], s[66:67]
	s_waitcnt lgkmcnt(0)
	v_add_u32_e32 v8, v4, v8
	v_add_u32_e32 v7, 0x1000, v7
	s_andn2_b64 exec, exec, s[66:67]
	s_cbranch_execz .LBB62_118
.LBB62_52:                              ; =>This Inner Loop Header: Depth=1
	ds_read_b32 v10, v7
	ds_read2_b32 v[4:5], v6 offset1:1
	s_waitcnt lgkmcnt(0)
	s_barrier
	v_cmp_gt_i32_e64 s[64:65], s33, v10
	v_and_b32_e32 v12, s64, v2
	s_bcnt1_i32_b64 s72, s[64:65]
	v_and_b32_e32 v11, s65, v3
	v_bcnt_u32_b32 v12, v12, 0
	v_bcnt_u32_b32 v11, v11, v12
	v_mov_b32_e32 v12, s72
	ds_write_b32 v9, v12
	s_waitcnt lgkmcnt(0)
	s_barrier
	s_and_saveexec_b64 s[72:73], s[60:61]
	s_cbranch_execnz .LBB62_85
; %bb.53:                               ;   in Loop: Header=BB62_52 Depth=1
	s_or_b64 exec, exec, s[72:73]
	s_and_saveexec_b64 s[72:73], s[62:63]
	s_cbranch_execnz .LBB62_86
.LBB62_54:                              ;   in Loop: Header=BB62_52 Depth=1
	s_or_b64 exec, exec, s[72:73]
	s_and_saveexec_b64 s[72:73], s[0:1]
	s_cbranch_execnz .LBB62_87
.LBB62_55:                              ;   in Loop: Header=BB62_52 Depth=1
	s_or_b64 exec, exec, s[72:73]
	s_and_saveexec_b64 s[72:73], s[2:3]
	s_cbranch_execnz .LBB62_88
.LBB62_56:                              ;   in Loop: Header=BB62_52 Depth=1
	s_or_b64 exec, exec, s[72:73]
	s_and_saveexec_b64 s[72:73], s[4:5]
	s_cbranch_execnz .LBB62_89
.LBB62_57:                              ;   in Loop: Header=BB62_52 Depth=1
	s_or_b64 exec, exec, s[72:73]
	s_and_saveexec_b64 s[72:73], s[6:7]
	s_cbranch_execnz .LBB62_90
.LBB62_58:                              ;   in Loop: Header=BB62_52 Depth=1
	s_or_b64 exec, exec, s[72:73]
	s_and_saveexec_b64 s[72:73], s[8:9]
	s_cbranch_execnz .LBB62_91
.LBB62_59:                              ;   in Loop: Header=BB62_52 Depth=1
	s_or_b64 exec, exec, s[72:73]
	s_and_saveexec_b64 s[72:73], s[10:11]
	s_cbranch_execnz .LBB62_92
.LBB62_60:                              ;   in Loop: Header=BB62_52 Depth=1
	s_or_b64 exec, exec, s[72:73]
	s_and_saveexec_b64 s[72:73], s[12:13]
	s_cbranch_execnz .LBB62_93
.LBB62_61:                              ;   in Loop: Header=BB62_52 Depth=1
	s_or_b64 exec, exec, s[72:73]
	s_and_saveexec_b64 s[72:73], s[14:15]
	s_cbranch_execnz .LBB62_94
.LBB62_62:                              ;   in Loop: Header=BB62_52 Depth=1
	s_or_b64 exec, exec, s[72:73]
	s_and_saveexec_b64 s[72:73], s[16:17]
	s_cbranch_execnz .LBB62_95
.LBB62_63:                              ;   in Loop: Header=BB62_52 Depth=1
	s_or_b64 exec, exec, s[72:73]
	s_and_saveexec_b64 s[72:73], s[18:19]
	s_cbranch_execnz .LBB62_96
.LBB62_64:                              ;   in Loop: Header=BB62_52 Depth=1
	s_or_b64 exec, exec, s[72:73]
	s_and_saveexec_b64 s[72:73], s[20:21]
	s_cbranch_execnz .LBB62_97
.LBB62_65:                              ;   in Loop: Header=BB62_52 Depth=1
	s_or_b64 exec, exec, s[72:73]
	s_and_saveexec_b64 s[72:73], s[22:23]
	s_cbranch_execnz .LBB62_98
.LBB62_66:                              ;   in Loop: Header=BB62_52 Depth=1
	s_or_b64 exec, exec, s[72:73]
	s_and_saveexec_b64 s[72:73], s[24:25]
	s_cbranch_execnz .LBB62_99
.LBB62_67:                              ;   in Loop: Header=BB62_52 Depth=1
	s_or_b64 exec, exec, s[72:73]
	s_and_saveexec_b64 s[72:73], s[26:27]
	s_cbranch_execnz .LBB62_100
.LBB62_68:                              ;   in Loop: Header=BB62_52 Depth=1
	s_or_b64 exec, exec, s[72:73]
	s_and_saveexec_b64 s[72:73], s[28:29]
	s_cbranch_execnz .LBB62_101
.LBB62_69:                              ;   in Loop: Header=BB62_52 Depth=1
	s_or_b64 exec, exec, s[72:73]
	s_and_saveexec_b64 s[72:73], s[30:31]
	s_cbranch_execnz .LBB62_102
.LBB62_70:                              ;   in Loop: Header=BB62_52 Depth=1
	s_or_b64 exec, exec, s[72:73]
	s_and_saveexec_b64 s[72:73], s[34:35]
	s_cbranch_execnz .LBB62_103
.LBB62_71:                              ;   in Loop: Header=BB62_52 Depth=1
	s_or_b64 exec, exec, s[72:73]
	s_and_saveexec_b64 s[72:73], s[36:37]
	s_cbranch_execnz .LBB62_104
.LBB62_72:                              ;   in Loop: Header=BB62_52 Depth=1
	s_or_b64 exec, exec, s[72:73]
	s_and_saveexec_b64 s[72:73], s[38:39]
	s_cbranch_execnz .LBB62_105
.LBB62_73:                              ;   in Loop: Header=BB62_52 Depth=1
	s_or_b64 exec, exec, s[72:73]
	s_and_saveexec_b64 s[72:73], s[40:41]
	s_cbranch_execnz .LBB62_106
.LBB62_74:                              ;   in Loop: Header=BB62_52 Depth=1
	s_or_b64 exec, exec, s[72:73]
	s_and_saveexec_b64 s[72:73], s[42:43]
	s_cbranch_execnz .LBB62_107
.LBB62_75:                              ;   in Loop: Header=BB62_52 Depth=1
	s_or_b64 exec, exec, s[72:73]
	s_and_saveexec_b64 s[72:73], s[44:45]
	s_cbranch_execnz .LBB62_108
.LBB62_76:                              ;   in Loop: Header=BB62_52 Depth=1
	s_or_b64 exec, exec, s[72:73]
	s_and_saveexec_b64 s[72:73], s[46:47]
	s_cbranch_execnz .LBB62_109
.LBB62_77:                              ;   in Loop: Header=BB62_52 Depth=1
	s_or_b64 exec, exec, s[72:73]
	s_and_saveexec_b64 s[72:73], s[48:49]
	s_cbranch_execnz .LBB62_110
.LBB62_78:                              ;   in Loop: Header=BB62_52 Depth=1
	s_or_b64 exec, exec, s[72:73]
	s_and_saveexec_b64 s[72:73], s[50:51]
	s_cbranch_execnz .LBB62_111
.LBB62_79:                              ;   in Loop: Header=BB62_52 Depth=1
	s_or_b64 exec, exec, s[72:73]
	s_and_saveexec_b64 s[72:73], s[52:53]
	s_cbranch_execnz .LBB62_112
.LBB62_80:                              ;   in Loop: Header=BB62_52 Depth=1
	s_or_b64 exec, exec, s[72:73]
	s_and_saveexec_b64 s[72:73], s[54:55]
	s_cbranch_execnz .LBB62_113
.LBB62_81:                              ;   in Loop: Header=BB62_52 Depth=1
	s_or_b64 exec, exec, s[72:73]
	s_and_saveexec_b64 s[72:73], s[56:57]
	s_cbranch_execnz .LBB62_114
.LBB62_82:                              ;   in Loop: Header=BB62_52 Depth=1
	s_or_b64 exec, exec, s[72:73]
	s_and_saveexec_b64 s[72:73], s[58:59]
	s_cbranch_execnz .LBB62_115
.LBB62_83:                              ;   in Loop: Header=BB62_52 Depth=1
	s_or_b64 exec, exec, s[72:73]
	s_and_saveexec_b64 s[72:73], s[64:65]
	s_cbranch_execnz .LBB62_116
.LBB62_84:                              ;   in Loop: Header=BB62_52 Depth=1
	s_or_b64 exec, exec, s[72:73]
	s_and_saveexec_b64 s[64:65], vcc
	s_cbranch_execz .LBB62_51
	s_branch .LBB62_117
.LBB62_85:                              ;   in Loop: Header=BB62_52 Depth=1
	v_readlane_b32 s86, v24, 12
	v_mov_b32_e32 v12, s86
	ds_read_b32 v12, v12
	s_waitcnt lgkmcnt(0)
	v_add_u32_e32 v11, v12, v11
	s_or_b64 exec, exec, s[72:73]
	s_and_saveexec_b64 s[72:73], s[62:63]
	s_cbranch_execz .LBB62_54
.LBB62_86:                              ;   in Loop: Header=BB62_52 Depth=1
	v_readlane_b32 s86, v24, 13
	v_mov_b32_e32 v12, s86
	ds_read_b32 v12, v12
	s_waitcnt lgkmcnt(0)
	v_add_u32_e32 v11, v12, v11
	s_or_b64 exec, exec, s[72:73]
	s_and_saveexec_b64 s[72:73], s[0:1]
	s_cbranch_execz .LBB62_55
.LBB62_87:                              ;   in Loop: Header=BB62_52 Depth=1
	v_readlane_b32 s86, v24, 14
	v_mov_b32_e32 v12, s86
	ds_read_b32 v12, v12
	s_waitcnt lgkmcnt(0)
	v_add_u32_e32 v11, v12, v11
	s_or_b64 exec, exec, s[72:73]
	s_and_saveexec_b64 s[72:73], s[2:3]
	s_cbranch_execz .LBB62_56
.LBB62_88:                              ;   in Loop: Header=BB62_52 Depth=1
	v_readlane_b32 s86, v24, 15
	v_mov_b32_e32 v12, s86
	ds_read_b32 v12, v12
	s_waitcnt lgkmcnt(0)
	v_add_u32_e32 v11, v12, v11
	s_or_b64 exec, exec, s[72:73]
	s_and_saveexec_b64 s[72:73], s[4:5]
	s_cbranch_execz .LBB62_57
.LBB62_89:                              ;   in Loop: Header=BB62_52 Depth=1
	v_readlane_b32 s86, v24, 16
	v_mov_b32_e32 v12, s86
	ds_read_b32 v12, v12
	s_waitcnt lgkmcnt(0)
	v_add_u32_e32 v11, v12, v11
	s_or_b64 exec, exec, s[72:73]
	s_and_saveexec_b64 s[72:73], s[6:7]
	s_cbranch_execz .LBB62_58
.LBB62_90:                              ;   in Loop: Header=BB62_52 Depth=1
	v_readlane_b32 s86, v24, 17
	v_mov_b32_e32 v12, s86
	ds_read_b32 v12, v12
	s_waitcnt lgkmcnt(0)
	v_add_u32_e32 v11, v12, v11
	s_or_b64 exec, exec, s[72:73]
	s_and_saveexec_b64 s[72:73], s[8:9]
	s_cbranch_execz .LBB62_59
.LBB62_91:                              ;   in Loop: Header=BB62_52 Depth=1
	v_readlane_b32 s86, v24, 18
	v_mov_b32_e32 v12, s86
	ds_read_b32 v12, v12
	s_waitcnt lgkmcnt(0)
	v_add_u32_e32 v11, v12, v11
	s_or_b64 exec, exec, s[72:73]
	s_and_saveexec_b64 s[72:73], s[10:11]
	s_cbranch_execz .LBB62_60
.LBB62_92:                              ;   in Loop: Header=BB62_52 Depth=1
	v_readlane_b32 s86, v24, 19
	v_mov_b32_e32 v12, s86
	ds_read_b32 v12, v12
	s_waitcnt lgkmcnt(0)
	v_add_u32_e32 v11, v12, v11
	s_or_b64 exec, exec, s[72:73]
	s_and_saveexec_b64 s[72:73], s[12:13]
	s_cbranch_execz .LBB62_61
.LBB62_93:                              ;   in Loop: Header=BB62_52 Depth=1
	v_readlane_b32 s86, v24, 20
	v_mov_b32_e32 v12, s86
	ds_read_b32 v12, v12
	s_waitcnt lgkmcnt(0)
	v_add_u32_e32 v11, v12, v11
	s_or_b64 exec, exec, s[72:73]
	s_and_saveexec_b64 s[72:73], s[14:15]
	s_cbranch_execz .LBB62_62
.LBB62_94:                              ;   in Loop: Header=BB62_52 Depth=1
	v_readlane_b32 s86, v24, 21
	v_mov_b32_e32 v12, s86
	ds_read_b32 v12, v12
	s_waitcnt lgkmcnt(0)
	v_add_u32_e32 v11, v12, v11
	s_or_b64 exec, exec, s[72:73]
	s_and_saveexec_b64 s[72:73], s[16:17]
	s_cbranch_execz .LBB62_63
.LBB62_95:                              ;   in Loop: Header=BB62_52 Depth=1
	v_mov_b32_e32 v12, s88
	ds_read_b32 v12, v12
	s_waitcnt lgkmcnt(0)
	v_add_u32_e32 v11, v12, v11
	s_or_b64 exec, exec, s[72:73]
	s_and_saveexec_b64 s[72:73], s[18:19]
	s_cbranch_execz .LBB62_64
.LBB62_96:                              ;   in Loop: Header=BB62_52 Depth=1
	v_mov_b32_e32 v12, s89
	ds_read_b32 v12, v12
	s_waitcnt lgkmcnt(0)
	v_add_u32_e32 v11, v12, v11
	s_or_b64 exec, exec, s[72:73]
	s_and_saveexec_b64 s[72:73], s[20:21]
	s_cbranch_execz .LBB62_65
.LBB62_97:                              ;   in Loop: Header=BB62_52 Depth=1
	v_mov_b32_e32 v12, s90
	ds_read_b32 v12, v12
	s_waitcnt lgkmcnt(0)
	v_add_u32_e32 v11, v12, v11
	s_or_b64 exec, exec, s[72:73]
	s_and_saveexec_b64 s[72:73], s[22:23]
	s_cbranch_execz .LBB62_66
.LBB62_98:                              ;   in Loop: Header=BB62_52 Depth=1
	v_mov_b32_e32 v12, s91
	ds_read_b32 v12, v12
	s_waitcnt lgkmcnt(0)
	v_add_u32_e32 v11, v12, v11
	s_or_b64 exec, exec, s[72:73]
	s_and_saveexec_b64 s[72:73], s[24:25]
	s_cbranch_execz .LBB62_67
.LBB62_99:                              ;   in Loop: Header=BB62_52 Depth=1
	v_mov_b32_e32 v12, s92
	ds_read_b32 v12, v12
	s_waitcnt lgkmcnt(0)
	v_add_u32_e32 v11, v12, v11
	s_or_b64 exec, exec, s[72:73]
	s_and_saveexec_b64 s[72:73], s[26:27]
	s_cbranch_execz .LBB62_68
.LBB62_100:                             ;   in Loop: Header=BB62_52 Depth=1
	v_mov_b32_e32 v12, s93
	ds_read_b32 v12, v12
	s_waitcnt lgkmcnt(0)
	v_add_u32_e32 v11, v12, v11
	s_or_b64 exec, exec, s[72:73]
	s_and_saveexec_b64 s[72:73], s[28:29]
	s_cbranch_execz .LBB62_69
.LBB62_101:                             ;   in Loop: Header=BB62_52 Depth=1
	v_mov_b32_e32 v12, s94
	ds_read_b32 v12, v12
	s_waitcnt lgkmcnt(0)
	v_add_u32_e32 v11, v12, v11
	s_or_b64 exec, exec, s[72:73]
	s_and_saveexec_b64 s[72:73], s[30:31]
	s_cbranch_execz .LBB62_70
.LBB62_102:                             ;   in Loop: Header=BB62_52 Depth=1
	v_mov_b32_e32 v12, s95
	ds_read_b32 v12, v12
	s_waitcnt lgkmcnt(0)
	v_add_u32_e32 v11, v12, v11
	s_or_b64 exec, exec, s[72:73]
	s_and_saveexec_b64 s[72:73], s[34:35]
	s_cbranch_execz .LBB62_71
.LBB62_103:                             ;   in Loop: Header=BB62_52 Depth=1
	v_mov_b32_e32 v12, s76
	ds_read_b32 v12, v12
	s_waitcnt lgkmcnt(0)
	v_add_u32_e32 v11, v12, v11
	s_or_b64 exec, exec, s[72:73]
	s_and_saveexec_b64 s[72:73], s[36:37]
	s_cbranch_execz .LBB62_72
.LBB62_104:                             ;   in Loop: Header=BB62_52 Depth=1
	v_mov_b32_e32 v12, s77
	ds_read_b32 v12, v12
	s_waitcnt lgkmcnt(0)
	v_add_u32_e32 v11, v12, v11
	s_or_b64 exec, exec, s[72:73]
	s_and_saveexec_b64 s[72:73], s[38:39]
	s_cbranch_execz .LBB62_73
.LBB62_105:                             ;   in Loop: Header=BB62_52 Depth=1
	v_mov_b32_e32 v12, s78
	ds_read_b32 v12, v12
	s_waitcnt lgkmcnt(0)
	v_add_u32_e32 v11, v12, v11
	s_or_b64 exec, exec, s[72:73]
	s_and_saveexec_b64 s[72:73], s[40:41]
	s_cbranch_execz .LBB62_74
.LBB62_106:                             ;   in Loop: Header=BB62_52 Depth=1
	v_mov_b32_e32 v12, s68
	ds_read_b32 v12, v12
	s_waitcnt lgkmcnt(0)
	v_add_u32_e32 v11, v12, v11
	s_or_b64 exec, exec, s[72:73]
	s_and_saveexec_b64 s[72:73], s[42:43]
	s_cbranch_execz .LBB62_75
.LBB62_107:                             ;   in Loop: Header=BB62_52 Depth=1
	v_mov_b32_e32 v12, s69
	ds_read_b32 v12, v12
	s_waitcnt lgkmcnt(0)
	v_add_u32_e32 v11, v12, v11
	s_or_b64 exec, exec, s[72:73]
	s_and_saveexec_b64 s[72:73], s[44:45]
	s_cbranch_execz .LBB62_76
.LBB62_108:                             ;   in Loop: Header=BB62_52 Depth=1
	v_mov_b32_e32 v12, s70
	ds_read_b32 v12, v12
	s_waitcnt lgkmcnt(0)
	v_add_u32_e32 v11, v12, v11
	s_or_b64 exec, exec, s[72:73]
	s_and_saveexec_b64 s[72:73], s[46:47]
	s_cbranch_execz .LBB62_77
.LBB62_109:                             ;   in Loop: Header=BB62_52 Depth=1
	v_mov_b32_e32 v12, s71
	ds_read_b32 v12, v12
	s_waitcnt lgkmcnt(0)
	v_add_u32_e32 v11, v12, v11
	s_or_b64 exec, exec, s[72:73]
	s_and_saveexec_b64 s[72:73], s[48:49]
	s_cbranch_execz .LBB62_78
.LBB62_110:                             ;   in Loop: Header=BB62_52 Depth=1
	v_mov_b32_e32 v12, s75
	ds_read_b32 v12, v12
	s_waitcnt lgkmcnt(0)
	v_add_u32_e32 v11, v12, v11
	s_or_b64 exec, exec, s[72:73]
	s_and_saveexec_b64 s[72:73], s[50:51]
	s_cbranch_execz .LBB62_79
.LBB62_111:                             ;   in Loop: Header=BB62_52 Depth=1
	v_mov_b32_e32 v12, s79
	ds_read_b32 v12, v12
	s_waitcnt lgkmcnt(0)
	v_add_u32_e32 v11, v12, v11
	s_or_b64 exec, exec, s[72:73]
	s_and_saveexec_b64 s[72:73], s[52:53]
	s_cbranch_execz .LBB62_80
.LBB62_112:                             ;   in Loop: Header=BB62_52 Depth=1
	v_mov_b32_e32 v12, s80
	ds_read_b32 v12, v12
	s_waitcnt lgkmcnt(0)
	v_add_u32_e32 v11, v12, v11
	s_or_b64 exec, exec, s[72:73]
	s_and_saveexec_b64 s[72:73], s[54:55]
	s_cbranch_execz .LBB62_81
.LBB62_113:                             ;   in Loop: Header=BB62_52 Depth=1
	v_mov_b32_e32 v12, s81
	ds_read_b32 v12, v12
	s_waitcnt lgkmcnt(0)
	v_add_u32_e32 v11, v12, v11
	s_or_b64 exec, exec, s[72:73]
	s_and_saveexec_b64 s[72:73], s[56:57]
	s_cbranch_execz .LBB62_82
.LBB62_114:                             ;   in Loop: Header=BB62_52 Depth=1
	v_mov_b32_e32 v12, s82
	ds_read_b32 v12, v12
	s_waitcnt lgkmcnt(0)
	v_add_u32_e32 v11, v12, v11
	s_or_b64 exec, exec, s[72:73]
	s_and_saveexec_b64 s[72:73], s[58:59]
	s_cbranch_execz .LBB62_83
.LBB62_115:                             ;   in Loop: Header=BB62_52 Depth=1
	v_mov_b32_e32 v12, s83
	ds_read_b32 v12, v12
	s_waitcnt lgkmcnt(0)
	v_add_u32_e32 v11, v12, v11
	s_or_b64 exec, exec, s[72:73]
	s_and_saveexec_b64 s[72:73], s[64:65]
	s_cbranch_execz .LBB62_84
.LBB62_116:                             ;   in Loop: Header=BB62_52 Depth=1
	v_add3_u32 v12, v8, -1, v11
	v_lshl_add_u32 v13, v12, 2, 0
	v_lshl_add_u32 v12, v12, 3, 0
	v_add_u32_e32 v12, 0x20000, v12
	ds_write_b32 v13, v10
	ds_write2_b32 v12, v4, v5 offset1:1
	s_or_b64 exec, exec, s[72:73]
	s_and_saveexec_b64 s[64:65], vcc
	s_cbranch_execz .LBB62_51
.LBB62_117:                             ;   in Loop: Header=BB62_52 Depth=1
	v_mov_b32_e32 v4, s84
	ds_write_b32 v4, v11
	s_branch .LBB62_51
.LBB62_118:
	s_or_b64 exec, exec, s[66:67]
	v_readlane_b32 s0, v24, 2
	v_readlane_b32 s1, v24, 3
	s_ashr_i32 s1, s0, 31
	v_readlane_b32 s16, v24, 4
	s_lshl_b64 s[0:1], s[0:1], 2
	v_readlane_b32 s20, v24, 8
	v_readlane_b32 s21, v24, 9
	s_add_u32 s0, s20, s0
	s_addc_u32 s1, s21, s1
	s_load_dwordx2 s[0:1], s[0:1], 0x0
	v_readlane_b32 s22, v24, 10
	v_readlane_b32 s23, v24, 11
	;; [unrolled: 1-line block ×4, first 2 shown]
	s_waitcnt lgkmcnt(0)
	s_sub_i32 s14, s1, s0
	v_cmp_gt_i32_e32 vcc, s14, v0
	v_readlane_b32 s19, v24, 7
	s_and_saveexec_b64 s[2:3], vcc
	s_cbranch_execz .LBB62_133
; %bb.119:
	s_sub_i32 s6, s0, s74
	s_add_i32 s0, s14, -2
	s_lshr_b32 s1, s0, 1
	s_add_i32 s2, s1, 1
	s_cmp_gt_u32 s14, 1
	s_cselect_b64 s[8:9], -1, 0
	s_and_b32 s15, s14, -2
	s_and_b32 s4, s2, 7
	s_cmp_gt_u32 s0, 13
	s_cselect_b64 s[0:1], -1, 0
	s_and_b32 s16, s2, -8
	s_cmp_lg_u32 s4, 0
	s_cselect_b64 s[2:3], -1, 0
	s_cmp_lg_u32 s14, s15
	s_cselect_b64 s[10:11], -1, 0
	s_lshl_b32 s17, s4, 3
	v_cndmask_b32_e64 v1, 0, 1, s[0:1]
	v_readlane_b32 s4, v24, 0
	v_cmp_ne_u32_e64 s[0:1], 1, v1
	v_cndmask_b32_e64 v1, 0, 1, s[2:3]
	v_readlane_b32 s5, v24, 1
	s_mov_b32 s7, 0
	s_mov_b64 s[12:13], 0
	v_cmp_ne_u32_e64 s[2:3], 1, v1
	v_mov_b32_e32 v1, s23
	v_mov_b32_e32 v6, s5
	s_branch .LBB62_121
.LBB62_120:                             ;   in Loop: Header=BB62_121 Depth=1
	v_ashrrev_i32_e32 v5, 31, v4
	v_lshlrev_b64 v[8:9], 2, v[4:5]
	v_add_co_u32_e32 v8, vcc, s22, v8
	v_addc_co_u32_e32 v9, vcc, v1, v9, vcc
	v_lshlrev_b64 v[4:5], 3, v[4:5]
	v_readlane_b32 s4, v24, 0
	v_add_co_u32_e32 v4, vcc, s4, v4
	v_addc_co_u32_e32 v5, vcc, v6, v5, vcc
	v_add_u32_e32 v0, 0x400, v0
	v_cmp_le_i32_e32 vcc, s14, v0
	s_waitcnt lgkmcnt(1)
	v_add_u32_e32 v7, s74, v7
	s_or_b64 s[12:13], vcc, s[12:13]
	global_store_dword v[8:9], v7, off
	v_readlane_b32 s5, v24, 1
	s_waitcnt lgkmcnt(0)
	global_store_dwordx2 v[4:5], v[2:3], off
	s_andn2_b64 exec, exec, s[12:13]
	s_cbranch_execz .LBB62_133
.LBB62_121:                             ; =>This Loop Header: Depth=1
                                        ;     Child Loop BB62_124 Depth 2
                                        ;     Child Loop BB62_129 Depth 2
	;; [unrolled: 1-line block ×3, first 2 shown]
	v_lshl_add_u32 v3, v0, 3, 0
	v_lshl_add_u32 v2, v0, 2, 0
	v_add_u32_e32 v3, 0x20000, v3
	ds_read_b32 v7, v2
	ds_read2_b32 v[2:3], v3 offset1:1
	s_and_b64 vcc, exec, s[8:9]
	s_cbranch_vccz .LBB62_126
; %bb.122:                              ;   in Loop: Header=BB62_121 Depth=1
	s_and_b64 vcc, exec, s[0:1]
	s_cbranch_vccnz .LBB62_127
; %bb.123:                              ;   in Loop: Header=BB62_121 Depth=1
	s_mov_b32 s19, 0
	v_mov_b32_e32 v4, s6
	v_mov_b32_e32 v5, 0
	s_mov_b32 s20, s16
	s_mov_b32 s18, 0
.LBB62_124:                             ;   Parent Loop BB62_121 Depth=1
                                        ; =>  This Inner Loop Header: Depth=2
	v_mov_b32_e32 v22, s19
	ds_read2_b32 v[8:9], v22 offset1:1
	ds_read2_b32 v[10:11], v22 offset0:2 offset1:3
	ds_read2_b32 v[12:13], v22 offset0:4 offset1:5
	;; [unrolled: 1-line block ×7, first 2 shown]
	s_waitcnt lgkmcnt(7)
	v_cmp_gt_i32_e32 vcc, v7, v9
	v_cndmask_b32_e64 v9, 0, 1, vcc
	v_cmp_gt_i32_e32 vcc, v7, v8
	s_waitcnt lgkmcnt(5)
	v_cmp_gt_i32_e64 s[4:5], v7, v12
	v_cndmask_b32_e64 v8, 0, 1, vcc
	v_cmp_gt_i32_e32 vcc, v7, v11
	v_cndmask_b32_e64 v11, 0, 1, s[4:5]
	v_cmp_gt_i32_e64 s[4:5], v7, v13
	v_cndmask_b32_e64 v12, 0, 1, s[4:5]
	s_waitcnt lgkmcnt(3)
	v_cmp_gt_i32_e64 s[4:5], v7, v17
	v_cndmask_b32_e64 v13, 0, 1, s[4:5]
	v_cmp_gt_i32_e64 s[4:5], v7, v16
	v_cndmask_b32_e64 v16, 0, 1, s[4:5]
	s_waitcnt lgkmcnt(1)
	v_cmp_gt_i32_e64 s[4:5], v7, v20
	v_cndmask_b32_e64 v17, 0, 1, s[4:5]
	v_cmp_gt_i32_e64 s[4:5], v7, v21
	v_cndmask_b32_e64 v20, 0, 1, s[4:5]
	v_cmp_gt_i32_e64 s[4:5], v7, v10
	v_addc_co_u32_e64 v4, s[4:5], v4, v8, s[4:5]
	v_addc_co_u32_e32 v5, vcc, v5, v9, vcc
	v_cmp_gt_i32_e32 vcc, v7, v14
	v_cmp_gt_i32_e64 s[4:5], v7, v15
	v_addc_co_u32_e64 v5, s[4:5], v5, v12, s[4:5]
	v_addc_co_u32_e32 v4, vcc, v4, v11, vcc
	v_cmp_gt_i32_e32 vcc, v7, v19
	v_cmp_gt_i32_e64 s[4:5], v7, v18
	v_addc_co_u32_e64 v4, s[4:5], v4, v16, s[4:5]
	v_addc_co_u32_e32 v5, vcc, v5, v13, vcc
	s_add_i32 s18, s18, 16
	s_add_i32 s19, s19, 64
	s_add_i32 s20, s20, -8
	s_waitcnt lgkmcnt(0)
	v_cmp_gt_i32_e32 vcc, v7, v22
	v_cmp_gt_i32_e64 s[4:5], v7, v23
	s_cmp_lg_u32 s20, 0
	v_addc_co_u32_e64 v5, s[4:5], v5, v20, s[4:5]
	v_addc_co_u32_e32 v4, vcc, v4, v17, vcc
	s_cbranch_scc1 .LBB62_124
; %bb.125:                              ;   in Loop: Header=BB62_121 Depth=1
	s_and_b64 vcc, exec, s[2:3]
	s_cbranch_vccz .LBB62_128
	s_branch .LBB62_130
.LBB62_126:                             ;   in Loop: Header=BB62_121 Depth=1
	v_mov_b32_e32 v4, s6
	s_mov_b32 s18, 0
	s_cbranch_execz .LBB62_120
	s_branch .LBB62_131
.LBB62_127:                             ;   in Loop: Header=BB62_121 Depth=1
	v_pk_mov_b32 v[4:5], s[6:7], s[6:7] op_sel:[0,1]
	s_mov_b32 s18, 0
	s_and_b64 vcc, exec, s[2:3]
	s_cbranch_vccnz .LBB62_130
.LBB62_128:                             ;   in Loop: Header=BB62_121 Depth=1
	s_lshl_b32 s4, s18, 2
	s_add_i32 s4, s4, 0
	s_mov_b32 s5, s17
.LBB62_129:                             ;   Parent Loop BB62_121 Depth=1
                                        ; =>  This Inner Loop Header: Depth=2
	v_mov_b32_e32 v8, s4
	ds_read2_b32 v[8:9], v8 offset1:1
	s_add_i32 s4, s4, 8
	s_add_i32 s5, s5, -8
	s_cmp_lg_u32 s5, 0
	s_waitcnt lgkmcnt(0)
	v_cmp_gt_i32_e32 vcc, v7, v9
	v_addc_co_u32_e32 v5, vcc, 0, v5, vcc
	v_cmp_gt_i32_e32 vcc, v7, v8
	v_addc_co_u32_e32 v4, vcc, 0, v4, vcc
	s_cbranch_scc1 .LBB62_129
.LBB62_130:                             ;   in Loop: Header=BB62_121 Depth=1
	v_add_u32_e32 v4, v4, v5
	s_mov_b32 s18, s15
	s_mov_b64 s[4:5], s[10:11]
	s_and_b64 vcc, exec, s[4:5]
	s_cbranch_vccz .LBB62_120
.LBB62_131:                             ;   in Loop: Header=BB62_121 Depth=1
	s_lshl_b32 s4, s18, 2
	s_add_i32 s4, s4, 0
.LBB62_132:                             ;   Parent Loop BB62_121 Depth=1
                                        ; =>  This Inner Loop Header: Depth=2
	v_mov_b32_e32 v5, s4
	ds_read_b32 v5, v5
	s_add_i32 s18, s18, 1
	s_add_i32 s4, s4, 4
	s_cmp_ge_i32 s18, s14
	s_waitcnt lgkmcnt(0)
	v_cmp_gt_i32_e32 vcc, v7, v5
	v_addc_co_u32_e32 v4, vcc, 0, v4, vcc
	s_cbranch_scc0 .LBB62_132
	s_branch .LBB62_120
.LBB62_133:
	s_endpgm
	.section	.rodata,"a",@progbits
	.p2align	6, 0x0
	.amdhsa_kernel _ZN9rocsparseL26csrgemm_fill_block_per_rowILj1024ELj64ELj32768ELj137ELj32Eii21rocsparse_complex_numIfEEEvT5_PKS3_S5_NS_24const_host_device_scalarIT6_EEPKT4_S5_PKS7_SB_S5_SD_S8_SB_S5_SD_SB_PS3_PS7_21rocsparse_index_base_SG_SG_SG_bbb
		.amdhsa_group_segment_fixed_size 0
		.amdhsa_private_segment_fixed_size 0
		.amdhsa_kernarg_size 156
		.amdhsa_user_sgpr_count 6
		.amdhsa_user_sgpr_private_segment_buffer 1
		.amdhsa_user_sgpr_dispatch_ptr 0
		.amdhsa_user_sgpr_queue_ptr 0
		.amdhsa_user_sgpr_kernarg_segment_ptr 1
		.amdhsa_user_sgpr_dispatch_id 0
		.amdhsa_user_sgpr_flat_scratch_init 0
		.amdhsa_user_sgpr_kernarg_preload_length 0
		.amdhsa_user_sgpr_kernarg_preload_offset 0
		.amdhsa_user_sgpr_private_segment_size 0
		.amdhsa_uses_dynamic_stack 0
		.amdhsa_system_sgpr_private_segment_wavefront_offset 0
		.amdhsa_system_sgpr_workgroup_id_x 1
		.amdhsa_system_sgpr_workgroup_id_y 0
		.amdhsa_system_sgpr_workgroup_id_z 0
		.amdhsa_system_sgpr_workgroup_info 0
		.amdhsa_system_vgpr_workitem_id 0
		.amdhsa_next_free_vgpr 25
		.amdhsa_next_free_sgpr 96
		.amdhsa_accum_offset 28
		.amdhsa_reserve_vcc 1
		.amdhsa_reserve_flat_scratch 0
		.amdhsa_float_round_mode_32 0
		.amdhsa_float_round_mode_16_64 0
		.amdhsa_float_denorm_mode_32 3
		.amdhsa_float_denorm_mode_16_64 3
		.amdhsa_dx10_clamp 1
		.amdhsa_ieee_mode 1
		.amdhsa_fp16_overflow 0
		.amdhsa_tg_split 0
		.amdhsa_exception_fp_ieee_invalid_op 0
		.amdhsa_exception_fp_denorm_src 0
		.amdhsa_exception_fp_ieee_div_zero 0
		.amdhsa_exception_fp_ieee_overflow 0
		.amdhsa_exception_fp_ieee_underflow 0
		.amdhsa_exception_fp_ieee_inexact 0
		.amdhsa_exception_int_div_zero 0
	.end_amdhsa_kernel
	.section	.text._ZN9rocsparseL26csrgemm_fill_block_per_rowILj1024ELj64ELj32768ELj137ELj32Eii21rocsparse_complex_numIfEEEvT5_PKS3_S5_NS_24const_host_device_scalarIT6_EEPKT4_S5_PKS7_SB_S5_SD_S8_SB_S5_SD_SB_PS3_PS7_21rocsparse_index_base_SG_SG_SG_bbb,"axG",@progbits,_ZN9rocsparseL26csrgemm_fill_block_per_rowILj1024ELj64ELj32768ELj137ELj32Eii21rocsparse_complex_numIfEEEvT5_PKS3_S5_NS_24const_host_device_scalarIT6_EEPKT4_S5_PKS7_SB_S5_SD_S8_SB_S5_SD_SB_PS3_PS7_21rocsparse_index_base_SG_SG_SG_bbb,comdat
.Lfunc_end62:
	.size	_ZN9rocsparseL26csrgemm_fill_block_per_rowILj1024ELj64ELj32768ELj137ELj32Eii21rocsparse_complex_numIfEEEvT5_PKS3_S5_NS_24const_host_device_scalarIT6_EEPKT4_S5_PKS7_SB_S5_SD_S8_SB_S5_SD_SB_PS3_PS7_21rocsparse_index_base_SG_SG_SG_bbb, .Lfunc_end62-_ZN9rocsparseL26csrgemm_fill_block_per_rowILj1024ELj64ELj32768ELj137ELj32Eii21rocsparse_complex_numIfEEEvT5_PKS3_S5_NS_24const_host_device_scalarIT6_EEPKT4_S5_PKS7_SB_S5_SD_S8_SB_S5_SD_SB_PS3_PS7_21rocsparse_index_base_SG_SG_SG_bbb
                                        ; -- End function
	.section	.AMDGPU.csdata,"",@progbits
; Kernel info:
; codeLenInByte = 5044
; NumSgprs: 100
; NumVgprs: 25
; NumAgprs: 0
; TotalNumVgprs: 25
; ScratchSize: 0
; MemoryBound: 0
; FloatMode: 240
; IeeeMode: 1
; LDSByteSize: 0 bytes/workgroup (compile time only)
; SGPRBlocks: 12
; VGPRBlocks: 3
; NumSGPRsForWavesPerEU: 100
; NumVGPRsForWavesPerEU: 25
; AccumOffset: 28
; Occupancy: 8
; WaveLimiterHint : 1
; COMPUTE_PGM_RSRC2:SCRATCH_EN: 0
; COMPUTE_PGM_RSRC2:USER_SGPR: 6
; COMPUTE_PGM_RSRC2:TRAP_HANDLER: 0
; COMPUTE_PGM_RSRC2:TGID_X_EN: 1
; COMPUTE_PGM_RSRC2:TGID_Y_EN: 0
; COMPUTE_PGM_RSRC2:TGID_Z_EN: 0
; COMPUTE_PGM_RSRC2:TIDIG_COMP_CNT: 0
; COMPUTE_PGM_RSRC3_GFX90A:ACCUM_OFFSET: 6
; COMPUTE_PGM_RSRC3_GFX90A:TG_SPLIT: 0
	.section	.text._ZN9rocsparseL26csrgemm_fill_block_per_rowILj1024ELj64ELj32768ELj137ELj64Eii21rocsparse_complex_numIfEEEvT5_PKS3_S5_NS_24const_host_device_scalarIT6_EEPKT4_S5_PKS7_SB_S5_SD_S8_SB_S5_SD_SB_PS3_PS7_21rocsparse_index_base_SG_SG_SG_bbb,"axG",@progbits,_ZN9rocsparseL26csrgemm_fill_block_per_rowILj1024ELj64ELj32768ELj137ELj64Eii21rocsparse_complex_numIfEEEvT5_PKS3_S5_NS_24const_host_device_scalarIT6_EEPKT4_S5_PKS7_SB_S5_SD_S8_SB_S5_SD_SB_PS3_PS7_21rocsparse_index_base_SG_SG_SG_bbb,comdat
	.globl	_ZN9rocsparseL26csrgemm_fill_block_per_rowILj1024ELj64ELj32768ELj137ELj64Eii21rocsparse_complex_numIfEEEvT5_PKS3_S5_NS_24const_host_device_scalarIT6_EEPKT4_S5_PKS7_SB_S5_SD_S8_SB_S5_SD_SB_PS3_PS7_21rocsparse_index_base_SG_SG_SG_bbb ; -- Begin function _ZN9rocsparseL26csrgemm_fill_block_per_rowILj1024ELj64ELj32768ELj137ELj64Eii21rocsparse_complex_numIfEEEvT5_PKS3_S5_NS_24const_host_device_scalarIT6_EEPKT4_S5_PKS7_SB_S5_SD_S8_SB_S5_SD_SB_PS3_PS7_21rocsparse_index_base_SG_SG_SG_bbb
	.p2align	8
	.type	_ZN9rocsparseL26csrgemm_fill_block_per_rowILj1024ELj64ELj32768ELj137ELj64Eii21rocsparse_complex_numIfEEEvT5_PKS3_S5_NS_24const_host_device_scalarIT6_EEPKT4_S5_PKS7_SB_S5_SD_S8_SB_S5_SD_SB_PS3_PS7_21rocsparse_index_base_SG_SG_SG_bbb,@function
_ZN9rocsparseL26csrgemm_fill_block_per_rowILj1024ELj64ELj32768ELj137ELj64Eii21rocsparse_complex_numIfEEEvT5_PKS3_S5_NS_24const_host_device_scalarIT6_EEPKT4_S5_PKS7_SB_S5_SD_S8_SB_S5_SD_SB_PS3_PS7_21rocsparse_index_base_SG_SG_SG_bbb: ; @_ZN9rocsparseL26csrgemm_fill_block_per_rowILj1024ELj64ELj32768ELj137ELj64Eii21rocsparse_complex_numIfEEEvT5_PKS3_S5_NS_24const_host_device_scalarIT6_EEPKT4_S5_PKS7_SB_S5_SD_S8_SB_S5_SD_SB_PS3_PS7_21rocsparse_index_base_SG_SG_SG_bbb
; %bb.0:
	s_load_dwordx8 s[36:43], s[4:5], 0x60
	s_load_dwordx8 s[8:15], s[4:5], 0x40
	s_load_dword s7, s[4:5], 0x98
	s_load_dwordx4 s[24:27], s[4:5], 0x8
	s_load_dwordx8 s[16:23], s[4:5], 0x20
	s_load_dwordx2 s[34:35], s[4:5], 0x80
	s_load_dwordx4 s[44:47], s[4:5], 0x88
	s_waitcnt lgkmcnt(0)
	s_bitcmp1_b32 s7, 0
	s_cselect_b64 s[30:31], -1, 0
	s_bitcmp1_b32 s7, 16
	s_cselect_b64 s[0:1], -1, 0
	s_xor_b64 s[0:1], s[0:1], -1
	v_cndmask_b32_e64 v1, 0, 1, s[0:1]
	s_mov_b32 s3, 0
	s_bitcmp0_b32 s7, 0
	v_cmp_ne_u32_e64 s[0:1], 1, v1
	s_mov_b32 s56, 0
	s_cbranch_scc1 .LBB63_5
; %bb.1:
	s_load_dwordx2 s[2:3], s[4:5], 0x18
	s_and_b64 vcc, exec, s[0:1]
	s_waitcnt lgkmcnt(0)
	s_mov_b32 s56, s2
	s_cbranch_vccnz .LBB63_3
; %bb.2:
	s_load_dword s56, s[2:3], 0x0
.LBB63_3:
	s_and_b64 vcc, exec, s[0:1]
	s_cbranch_vccnz .LBB63_5
; %bb.4:
	s_load_dword s3, s[2:3], 0x4
.LBB63_5:
	s_bitcmp1_b32 s7, 8
	s_cselect_b64 s[28:29], -1, 0
	s_bfe_u32 s2, s7, 0x10008
	s_mov_b32 s55, 0
	s_cmp_eq_u32 s2, 0
	s_mov_b32 s54, 0
	s_cbranch_scc1 .LBB63_11
; %bb.6:
	s_and_b64 vcc, exec, s[0:1]
	s_mov_b32 s54, s12
	s_cbranch_vccnz .LBB63_8
; %bb.7:
	s_load_dword s54, s[12:13], 0x0
.LBB63_8:
	s_and_b64 vcc, exec, s[0:1]
	s_cbranch_vccnz .LBB63_10
; %bb.9:
	s_load_dword s13, s[12:13], 0x4
.LBB63_10:
	s_waitcnt lgkmcnt(0)
	s_mov_b32 s55, s13
.LBB63_11:
	s_load_dword s33, s[4:5], 0x0
	v_lshl_add_u32 v2, v0, 3, 0
	v_or_b32_e32 v1, 0xfffffc00, v0
	v_add_u32_e32 v6, 0x20000, v2
	v_lshl_add_u32 v7, v0, 2, 0
	s_mov_b64 s[0:1], 0
	s_waitcnt lgkmcnt(0)
	v_mov_b32_e32 v2, s33
	v_mov_b32_e32 v3, 0
	s_movk_i32 s2, 0x7bff
	v_mov_b32_e32 v4, v7
	v_mov_b32_e32 v5, v6
	;; [unrolled: 1-line block ×3, first 2 shown]
.LBB63_12:                              ; =>This Inner Loop Header: Depth=1
	v_add_u32_e32 v8, 0x400, v8
	v_cmp_lt_u32_e32 vcc, s2, v8
	ds_write_b32 v4, v2
	ds_write2_b32 v5, v3, v3 offset1:1
	v_add_u32_e32 v5, 0x2000, v5
	s_or_b64 s[0:1], vcc, s[0:1]
	v_add_u32_e32 v4, 0x1000, v4
	s_andn2_b64 exec, exec, s[0:1]
	s_cbranch_execnz .LBB63_12
; %bb.13:
	s_or_b64 exec, exec, s[0:1]
	s_waitcnt lgkmcnt(0)
	s_barrier
	s_load_dword s0, s[24:25], 0x0
	s_mov_b32 s1, 0
	v_lshrrev_b32_e32 v8, 6, v0
	s_waitcnt lgkmcnt(0)
	s_add_i32 s0, s0, s6
	s_lshl_b64 s[0:1], s[0:1], 2
	s_add_u32 s0, s26, s0
	s_addc_u32 s1, s27, s1
	s_load_dword s48, s[0:1], 0x0
	s_and_b64 vcc, exec, s[30:31]
	s_cbranch_vccz .LBB63_33
; %bb.14:
	s_waitcnt lgkmcnt(0)
	s_ashr_i32 s49, s48, 31
	s_lshl_b64 s[0:1], s[48:49], 2
	s_add_u32 s0, s16, s0
	s_addc_u32 s1, s17, s1
	s_load_dwordx2 s[0:1], s[0:1], 0x0
	v_subrev_u32_e32 v2, s44, v8
	s_waitcnt lgkmcnt(0)
	s_sub_i32 s2, s1, s44
	v_add_u32_e32 v2, s0, v2
	v_cmp_gt_i32_e32 vcc, s2, v2
	s_and_saveexec_b64 s[0:1], vcc
	s_cbranch_execz .LBB63_32
; %bb.15:
	v_and_b32_e32 v3, 63, v0
	v_subrev_u32_e32 v9, s45, v3
	s_mov_b64 s[4:5], 0
	v_mov_b32_e32 v10, s19
	v_mov_b32_e32 v11, s23
	s_movk_i32 s19, 0x89
	s_branch .LBB63_17
.LBB63_16:                              ;   in Loop: Header=BB63_17 Depth=1
	s_or_b64 exec, exec, s[6:7]
	v_add_u32_e32 v2, 16, v2
	v_cmp_le_i32_e32 vcc, s2, v2
	s_or_b64 s[4:5], vcc, s[4:5]
	s_andn2_b64 exec, exec, s[4:5]
	s_cbranch_execz .LBB63_32
.LBB63_17:                              ; =>This Loop Header: Depth=1
                                        ;     Child Loop BB63_20 Depth 2
                                        ;       Child Loop BB63_22 Depth 3
	v_ashrrev_i32_e32 v3, 31, v2
	v_lshlrev_b64 v[4:5], 2, v[2:3]
	v_add_co_u32_e32 v4, vcc, s18, v4
	v_addc_co_u32_e32 v5, vcc, v10, v5, vcc
	global_load_dword v4, v[4:5], off
	s_waitcnt vmcnt(0)
	v_subrev_u32_e32 v4, s44, v4
	v_ashrrev_i32_e32 v5, 31, v4
	v_lshlrev_b64 v[4:5], 2, v[4:5]
	v_add_co_u32_e32 v4, vcc, s22, v4
	v_addc_co_u32_e32 v5, vcc, v11, v5, vcc
	global_load_dwordx2 v[4:5], v[4:5], off
	s_waitcnt vmcnt(0)
	v_subrev_u32_e32 v12, s45, v5
	v_add_u32_e32 v4, v4, v9
	v_cmp_lt_i32_e32 vcc, v4, v12
	s_and_saveexec_b64 s[6:7], vcc
	s_cbranch_execz .LBB63_16
; %bb.18:                               ;   in Loop: Header=BB63_17 Depth=1
	v_lshlrev_b64 v[14:15], 3, v[2:3]
	v_mov_b32_e32 v3, s21
	v_add_co_u32_e32 v14, vcc, s20, v14
	v_addc_co_u32_e32 v15, vcc, v3, v15, vcc
	global_load_dwordx2 v[14:15], v[14:15], off
	s_mov_b64 s[12:13], 0
	s_waitcnt vmcnt(0)
	v_mul_f32_e64 v3, v15, -s3
	v_mul_f32_e32 v13, s56, v15
	v_fmac_f32_e32 v3, s56, v14
	v_fmac_f32_e32 v13, s3, v14
	s_branch .LBB63_20
.LBB63_19:                              ;   in Loop: Header=BB63_20 Depth=2
	s_or_b64 exec, exec, s[16:17]
	v_add_u32_e32 v4, 64, v4
	v_cmp_ge_i32_e32 vcc, v4, v12
	s_or_b64 s[12:13], vcc, s[12:13]
	s_andn2_b64 exec, exec, s[12:13]
	s_cbranch_execz .LBB63_16
.LBB63_20:                              ;   Parent Loop BB63_17 Depth=1
                                        ; =>  This Loop Header: Depth=2
                                        ;       Child Loop BB63_22 Depth 3
	v_ashrrev_i32_e32 v5, 31, v4
	v_lshlrev_b64 v[14:15], 2, v[4:5]
	v_mov_b32_e32 v16, s9
	v_add_co_u32_e32 v14, vcc, s8, v14
	v_addc_co_u32_e32 v15, vcc, v16, v15, vcc
	global_load_dword v18, v[14:15], off
	v_lshlrev_b64 v[14:15], 3, v[4:5]
	v_mov_b32_e32 v5, s11
	v_add_co_u32_e32 v14, vcc, s10, v14
	v_addc_co_u32_e32 v15, vcc, v5, v15, vcc
	global_load_dwordx2 v[16:17], v[14:15], off
	s_mov_b64 s[16:17], 0
	s_waitcnt vmcnt(1)
	v_subrev_u32_e32 v5, s45, v18
	s_waitcnt vmcnt(0)
	v_mul_f32_e64 v14, v17, -v13
	v_mul_f32_e32 v15, v3, v17
	v_fmac_f32_e32 v14, v3, v16
	v_fmac_f32_e32 v15, v13, v16
	v_mul_lo_u32 v16, v5, s19
	v_and_b32_e32 v16, 0x7fff, v16
	s_branch .LBB63_22
.LBB63_21:                              ;   in Loop: Header=BB63_22 Depth=3
	s_or_b64 exec, exec, s[24:25]
	s_xor_b64 s[24:25], s[26:27], -1
	s_and_b64 s[24:25], exec, s[24:25]
	s_or_b64 s[16:17], s[24:25], s[16:17]
	s_andn2_b64 exec, exec, s[16:17]
	s_cbranch_execz .LBB63_19
.LBB63_22:                              ;   Parent Loop BB63_17 Depth=1
                                        ;     Parent Loop BB63_20 Depth=2
                                        ; =>    This Inner Loop Header: Depth=3
	v_lshl_add_u32 v17, v16, 2, 0
	ds_read_b32 v18, v17
                                        ; implicit-def: $sgpr26_sgpr27
	s_waitcnt lgkmcnt(0)
	v_cmp_ne_u32_e32 vcc, v18, v5
	s_and_saveexec_b64 s[24:25], vcc
	s_xor_b64 s[24:25], exec, s[24:25]
	s_cbranch_execz .LBB63_30
; %bb.23:                               ;   in Loop: Header=BB63_22 Depth=3
	v_cmp_ne_u32_e32 vcc, s33, v18
                                        ; implicit-def: $sgpr26_sgpr27
	s_and_saveexec_b64 s[30:31], vcc
	s_xor_b64 s[30:31], exec, s[30:31]
; %bb.24:                               ;   in Loop: Header=BB63_22 Depth=3
	v_add_u32_e32 v16, 1, v16
	v_and_b32_e32 v16, 0x7fff, v16
	s_mov_b64 s[26:27], -1
                                        ; implicit-def: $vgpr17
; %bb.25:                               ;   in Loop: Header=BB63_22 Depth=3
	s_andn2_saveexec_b64 s[30:31], s[30:31]
	s_cbranch_execz .LBB63_29
; %bb.26:                               ;   in Loop: Header=BB63_22 Depth=3
	v_mov_b32_e32 v18, s33
	ds_cmpst_rtn_b32 v17, v17, v18, v5
	s_mov_b64 s[52:53], -1
	s_waitcnt lgkmcnt(0)
	v_cmp_eq_u32_e32 vcc, s33, v17
	s_and_saveexec_b64 s[50:51], vcc
	s_cbranch_execz .LBB63_28
; %bb.27:                               ;   in Loop: Header=BB63_22 Depth=3
	v_lshl_add_u32 v17, v16, 3, 0
	v_add_u32_e32 v17, 0x20000, v17
	ds_add_f32 v17, v14
	ds_add_f32 v17, v15 offset:4
	s_xor_b64 s[52:53], exec, -1
.LBB63_28:                              ;   in Loop: Header=BB63_22 Depth=3
	s_or_b64 exec, exec, s[50:51]
	s_andn2_b64 s[26:27], s[26:27], exec
	s_and_b64 s[50:51], s[52:53], exec
	s_or_b64 s[26:27], s[26:27], s[50:51]
.LBB63_29:                              ;   in Loop: Header=BB63_22 Depth=3
	s_or_b64 exec, exec, s[30:31]
	s_and_b64 s[26:27], s[26:27], exec
.LBB63_30:                              ;   in Loop: Header=BB63_22 Depth=3
	s_andn2_saveexec_b64 s[24:25], s[24:25]
	s_cbranch_execz .LBB63_21
; %bb.31:                               ;   in Loop: Header=BB63_22 Depth=3
	v_lshl_add_u32 v17, v16, 3, 0
	v_add_u32_e32 v17, 0x20000, v17
	ds_add_f32 v17, v14
	ds_add_f32 v17, v15 offset:4
	s_andn2_b64 s[26:27], s[26:27], exec
	s_branch .LBB63_21
.LBB63_32:
	s_or_b64 exec, exec, s[0:1]
.LBB63_33:
	s_andn2_b64 vcc, exec, s[28:29]
	s_cbranch_vccnz .LBB63_50
; %bb.34:
	s_waitcnt lgkmcnt(0)
	s_ashr_i32 s49, s48, 31
	s_lshl_b64 s[0:1], s[48:49], 2
	s_add_u32 s0, s14, s0
	s_addc_u32 s1, s15, s1
	s_load_dwordx2 s[0:1], s[0:1], 0x0
	v_subrev_u32_e32 v2, s47, v0
	s_waitcnt lgkmcnt(0)
	s_sub_i32 s16, s1, s47
	v_add_u32_e32 v2, s0, v2
	v_cmp_gt_i32_e32 vcc, s16, v2
	s_and_saveexec_b64 s[0:1], vcc
	s_cbranch_execz .LBB63_49
; %bb.35:
	s_mov_b64 s[2:3], 0
	v_mov_b32_e32 v4, s37
	v_mov_b32_e32 v5, s39
	s_movk_i32 s17, 0x89
	s_branch .LBB63_37
.LBB63_36:                              ;   in Loop: Header=BB63_37 Depth=1
	s_or_b64 exec, exec, s[4:5]
	v_add_u32_e32 v2, 0x400, v2
	v_cmp_le_i32_e32 vcc, s16, v2
	s_or_b64 s[2:3], vcc, s[2:3]
	s_andn2_b64 exec, exec, s[2:3]
	s_cbranch_execz .LBB63_49
.LBB63_37:                              ; =>This Loop Header: Depth=1
                                        ;     Child Loop BB63_39 Depth 2
	v_ashrrev_i32_e32 v3, 31, v2
	v_lshlrev_b64 v[10:11], 2, v[2:3]
	v_add_co_u32_e32 v10, vcc, s36, v10
	v_addc_co_u32_e32 v11, vcc, v4, v11, vcc
	global_load_dword v9, v[10:11], off
	v_lshlrev_b64 v[10:11], 3, v[2:3]
	v_add_co_u32_e32 v10, vcc, s38, v10
	v_addc_co_u32_e32 v11, vcc, v5, v11, vcc
	global_load_dwordx2 v[12:13], v[10:11], off
	s_mov_b64 s[4:5], 0
	s_waitcnt vmcnt(1)
	v_subrev_u32_e32 v3, s47, v9
	v_mul_lo_u32 v11, v3, s17
	v_and_b32_e32 v11, 0x7fff, v11
	s_waitcnt vmcnt(0)
	v_mul_f32_e64 v9, v13, -s55
	v_mul_f32_e32 v10, s54, v13
	v_fmac_f32_e32 v9, s54, v12
	v_fmac_f32_e32 v10, s55, v12
	s_branch .LBB63_39
.LBB63_38:                              ;   in Loop: Header=BB63_39 Depth=2
	s_or_b64 exec, exec, s[6:7]
	s_xor_b64 s[6:7], s[8:9], -1
	s_and_b64 s[6:7], exec, s[6:7]
	s_or_b64 s[4:5], s[6:7], s[4:5]
	s_andn2_b64 exec, exec, s[4:5]
	s_cbranch_execz .LBB63_36
.LBB63_39:                              ;   Parent Loop BB63_37 Depth=1
                                        ; =>  This Inner Loop Header: Depth=2
	v_lshl_add_u32 v12, v11, 2, 0
	ds_read_b32 v13, v12
                                        ; implicit-def: $sgpr8_sgpr9
	s_waitcnt lgkmcnt(0)
	v_cmp_ne_u32_e32 vcc, v13, v3
	s_and_saveexec_b64 s[6:7], vcc
	s_xor_b64 s[6:7], exec, s[6:7]
	s_cbranch_execz .LBB63_47
; %bb.40:                               ;   in Loop: Header=BB63_39 Depth=2
	v_cmp_ne_u32_e32 vcc, s33, v13
                                        ; implicit-def: $sgpr8_sgpr9
	s_and_saveexec_b64 s[10:11], vcc
	s_xor_b64 s[10:11], exec, s[10:11]
; %bb.41:                               ;   in Loop: Header=BB63_39 Depth=2
	v_add_u32_e32 v11, 1, v11
	v_and_b32_e32 v11, 0x7fff, v11
	s_mov_b64 s[8:9], -1
                                        ; implicit-def: $vgpr12
; %bb.42:                               ;   in Loop: Header=BB63_39 Depth=2
	s_andn2_saveexec_b64 s[10:11], s[10:11]
	s_cbranch_execz .LBB63_46
; %bb.43:                               ;   in Loop: Header=BB63_39 Depth=2
	v_mov_b32_e32 v13, s33
	ds_cmpst_rtn_b32 v12, v12, v13, v3
	s_mov_b64 s[14:15], -1
	s_waitcnt lgkmcnt(0)
	v_cmp_eq_u32_e32 vcc, s33, v12
	s_and_saveexec_b64 s[12:13], vcc
	s_cbranch_execz .LBB63_45
; %bb.44:                               ;   in Loop: Header=BB63_39 Depth=2
	v_lshl_add_u32 v12, v11, 3, 0
	v_add_u32_e32 v12, 0x20000, v12
	ds_add_f32 v12, v9
	ds_add_f32 v12, v10 offset:4
	s_xor_b64 s[14:15], exec, -1
.LBB63_45:                              ;   in Loop: Header=BB63_39 Depth=2
	s_or_b64 exec, exec, s[12:13]
	s_andn2_b64 s[8:9], s[8:9], exec
	s_and_b64 s[12:13], s[14:15], exec
	s_or_b64 s[8:9], s[8:9], s[12:13]
.LBB63_46:                              ;   in Loop: Header=BB63_39 Depth=2
	s_or_b64 exec, exec, s[10:11]
	s_and_b64 s[8:9], s[8:9], exec
.LBB63_47:                              ;   in Loop: Header=BB63_39 Depth=2
	s_andn2_saveexec_b64 s[6:7], s[6:7]
	s_cbranch_execz .LBB63_38
; %bb.48:                               ;   in Loop: Header=BB63_39 Depth=2
	v_lshl_add_u32 v12, v11, 3, 0
	v_add_u32_e32 v12, 0x20000, v12
	ds_add_f32 v12, v9
	ds_add_f32 v12, v10 offset:4
	s_andn2_b64 s[8:9], s[8:9], exec
	s_branch .LBB63_38
.LBB63_49:
	s_or_b64 exec, exec, s[0:1]
.LBB63_50:
	v_mbcnt_lo_u32_b32 v2, -1, 0
	v_mbcnt_hi_u32_b32 v2, -1, v2
	v_sub_u32_e32 v2, 63, v2
	s_add_i32 s44, 0, 0x60000
	s_movk_i32 s0, 0x3ff
	s_movk_i32 s2, 0x7f
	;; [unrolled: 1-line block ×15, first 2 shown]
	s_add_i32 s61, 0, 0x6003c
	v_mov_b32_e32 v9, 0
	v_lshrrev_b64 v[2:3], v2, -1
	v_lshl_add_u32 v8, v8, 2, s44
	v_cmp_eq_u32_e32 vcc, s0, v0
	v_cmp_lt_u32_e64 s[0:1], 63, v0
	v_cmp_lt_u32_e64 s[2:3], s2, v0
	;; [unrolled: 1-line block ×15, first 2 shown]
	s_mov_b64 s[36:37], 0
	s_add_i32 s45, 0, 0x60004
	s_add_i32 s47, 0, 0x60008
	;; [unrolled: 1-line block ×14, first 2 shown]
	v_mov_b32_e32 v10, s61
	s_movk_i32 s62, 0x7bff
	s_waitcnt lgkmcnt(0)
	s_barrier
	s_branch .LBB63_52
.LBB63_51:                              ;   in Loop: Header=BB63_52 Depth=1
	s_or_b64 exec, exec, s[30:31]
	s_waitcnt lgkmcnt(0)
	s_barrier
	ds_read_b32 v4, v10
	v_add_u32_e32 v1, 0x400, v1
	v_cmp_lt_u32_e64 s[30:31], s62, v1
	v_add_u32_e32 v6, 0x2000, v6
	s_or_b64 s[36:37], s[30:31], s[36:37]
	s_waitcnt lgkmcnt(0)
	v_add_u32_e32 v9, v4, v9
	v_add_u32_e32 v7, 0x1000, v7
	s_andn2_b64 exec, exec, s[36:37]
	s_cbranch_execz .LBB63_86
.LBB63_52:                              ; =>This Inner Loop Header: Depth=1
	ds_read_b32 v11, v7
	ds_read2_b32 v[4:5], v6 offset1:1
	s_waitcnt lgkmcnt(0)
	s_barrier
	v_cmp_gt_i32_e64 s[30:31], s33, v11
	v_and_b32_e32 v13, s30, v2
	s_bcnt1_i32_b64 s38, s[30:31]
	v_and_b32_e32 v12, s31, v3
	v_bcnt_u32_b32 v13, v13, 0
	v_bcnt_u32_b32 v12, v12, v13
	v_mov_b32_e32 v13, s38
	ds_write_b32 v8, v13
	s_waitcnt lgkmcnt(0)
	s_barrier
	s_and_saveexec_b64 s[38:39], s[0:1]
	s_cbranch_execnz .LBB63_69
; %bb.53:                               ;   in Loop: Header=BB63_52 Depth=1
	s_or_b64 exec, exec, s[38:39]
	s_and_saveexec_b64 s[38:39], s[2:3]
	s_cbranch_execnz .LBB63_70
.LBB63_54:                              ;   in Loop: Header=BB63_52 Depth=1
	s_or_b64 exec, exec, s[38:39]
	s_and_saveexec_b64 s[38:39], s[4:5]
	s_cbranch_execnz .LBB63_71
.LBB63_55:                              ;   in Loop: Header=BB63_52 Depth=1
	s_or_b64 exec, exec, s[38:39]
	s_and_saveexec_b64 s[38:39], s[6:7]
	s_cbranch_execnz .LBB63_72
.LBB63_56:                              ;   in Loop: Header=BB63_52 Depth=1
	s_or_b64 exec, exec, s[38:39]
	s_and_saveexec_b64 s[38:39], s[8:9]
	s_cbranch_execnz .LBB63_73
.LBB63_57:                              ;   in Loop: Header=BB63_52 Depth=1
	s_or_b64 exec, exec, s[38:39]
	s_and_saveexec_b64 s[38:39], s[10:11]
	s_cbranch_execnz .LBB63_74
.LBB63_58:                              ;   in Loop: Header=BB63_52 Depth=1
	s_or_b64 exec, exec, s[38:39]
	s_and_saveexec_b64 s[38:39], s[12:13]
	s_cbranch_execnz .LBB63_75
.LBB63_59:                              ;   in Loop: Header=BB63_52 Depth=1
	s_or_b64 exec, exec, s[38:39]
	s_and_saveexec_b64 s[38:39], s[14:15]
	s_cbranch_execnz .LBB63_76
.LBB63_60:                              ;   in Loop: Header=BB63_52 Depth=1
	s_or_b64 exec, exec, s[38:39]
	s_and_saveexec_b64 s[38:39], s[16:17]
	s_cbranch_execnz .LBB63_77
.LBB63_61:                              ;   in Loop: Header=BB63_52 Depth=1
	s_or_b64 exec, exec, s[38:39]
	s_and_saveexec_b64 s[38:39], s[18:19]
	s_cbranch_execnz .LBB63_78
.LBB63_62:                              ;   in Loop: Header=BB63_52 Depth=1
	s_or_b64 exec, exec, s[38:39]
	s_and_saveexec_b64 s[38:39], s[20:21]
	s_cbranch_execnz .LBB63_79
.LBB63_63:                              ;   in Loop: Header=BB63_52 Depth=1
	s_or_b64 exec, exec, s[38:39]
	s_and_saveexec_b64 s[38:39], s[22:23]
	s_cbranch_execnz .LBB63_80
.LBB63_64:                              ;   in Loop: Header=BB63_52 Depth=1
	s_or_b64 exec, exec, s[38:39]
	s_and_saveexec_b64 s[38:39], s[24:25]
	s_cbranch_execnz .LBB63_81
.LBB63_65:                              ;   in Loop: Header=BB63_52 Depth=1
	s_or_b64 exec, exec, s[38:39]
	s_and_saveexec_b64 s[38:39], s[26:27]
	s_cbranch_execnz .LBB63_82
.LBB63_66:                              ;   in Loop: Header=BB63_52 Depth=1
	s_or_b64 exec, exec, s[38:39]
	s_and_saveexec_b64 s[38:39], s[28:29]
	s_cbranch_execnz .LBB63_83
.LBB63_67:                              ;   in Loop: Header=BB63_52 Depth=1
	s_or_b64 exec, exec, s[38:39]
	s_and_saveexec_b64 s[38:39], s[30:31]
	s_cbranch_execnz .LBB63_84
.LBB63_68:                              ;   in Loop: Header=BB63_52 Depth=1
	s_or_b64 exec, exec, s[38:39]
	s_and_saveexec_b64 s[30:31], vcc
	s_cbranch_execz .LBB63_51
	s_branch .LBB63_85
.LBB63_69:                              ;   in Loop: Header=BB63_52 Depth=1
	v_mov_b32_e32 v13, s44
	ds_read_b32 v13, v13
	s_waitcnt lgkmcnt(0)
	v_add_u32_e32 v12, v13, v12
	s_or_b64 exec, exec, s[38:39]
	s_and_saveexec_b64 s[38:39], s[2:3]
	s_cbranch_execz .LBB63_54
.LBB63_70:                              ;   in Loop: Header=BB63_52 Depth=1
	v_mov_b32_e32 v13, s45
	ds_read_b32 v13, v13
	s_waitcnt lgkmcnt(0)
	v_add_u32_e32 v12, v13, v12
	s_or_b64 exec, exec, s[38:39]
	s_and_saveexec_b64 s[38:39], s[4:5]
	s_cbranch_execz .LBB63_55
.LBB63_71:                              ;   in Loop: Header=BB63_52 Depth=1
	v_mov_b32_e32 v13, s47
	ds_read_b32 v13, v13
	s_waitcnt lgkmcnt(0)
	v_add_u32_e32 v12, v13, v12
	s_or_b64 exec, exec, s[38:39]
	s_and_saveexec_b64 s[38:39], s[6:7]
	s_cbranch_execz .LBB63_56
.LBB63_72:                              ;   in Loop: Header=BB63_52 Depth=1
	v_mov_b32_e32 v13, s49
	ds_read_b32 v13, v13
	s_waitcnt lgkmcnt(0)
	v_add_u32_e32 v12, v13, v12
	s_or_b64 exec, exec, s[38:39]
	s_and_saveexec_b64 s[38:39], s[8:9]
	s_cbranch_execz .LBB63_57
.LBB63_73:                              ;   in Loop: Header=BB63_52 Depth=1
	v_mov_b32_e32 v13, s50
	ds_read_b32 v13, v13
	s_waitcnt lgkmcnt(0)
	v_add_u32_e32 v12, v13, v12
	s_or_b64 exec, exec, s[38:39]
	s_and_saveexec_b64 s[38:39], s[10:11]
	s_cbranch_execz .LBB63_58
.LBB63_74:                              ;   in Loop: Header=BB63_52 Depth=1
	v_mov_b32_e32 v13, s51
	ds_read_b32 v13, v13
	s_waitcnt lgkmcnt(0)
	v_add_u32_e32 v12, v13, v12
	s_or_b64 exec, exec, s[38:39]
	s_and_saveexec_b64 s[38:39], s[12:13]
	s_cbranch_execz .LBB63_59
.LBB63_75:                              ;   in Loop: Header=BB63_52 Depth=1
	v_mov_b32_e32 v13, s52
	ds_read_b32 v13, v13
	s_waitcnt lgkmcnt(0)
	v_add_u32_e32 v12, v13, v12
	s_or_b64 exec, exec, s[38:39]
	s_and_saveexec_b64 s[38:39], s[14:15]
	s_cbranch_execz .LBB63_60
.LBB63_76:                              ;   in Loop: Header=BB63_52 Depth=1
	v_mov_b32_e32 v13, s53
	ds_read_b32 v13, v13
	s_waitcnt lgkmcnt(0)
	v_add_u32_e32 v12, v13, v12
	s_or_b64 exec, exec, s[38:39]
	s_and_saveexec_b64 s[38:39], s[16:17]
	s_cbranch_execz .LBB63_61
.LBB63_77:                              ;   in Loop: Header=BB63_52 Depth=1
	v_mov_b32_e32 v13, s54
	ds_read_b32 v13, v13
	s_waitcnt lgkmcnt(0)
	v_add_u32_e32 v12, v13, v12
	s_or_b64 exec, exec, s[38:39]
	s_and_saveexec_b64 s[38:39], s[18:19]
	s_cbranch_execz .LBB63_62
.LBB63_78:                              ;   in Loop: Header=BB63_52 Depth=1
	v_mov_b32_e32 v13, s55
	ds_read_b32 v13, v13
	s_waitcnt lgkmcnt(0)
	v_add_u32_e32 v12, v13, v12
	s_or_b64 exec, exec, s[38:39]
	s_and_saveexec_b64 s[38:39], s[20:21]
	s_cbranch_execz .LBB63_63
.LBB63_79:                              ;   in Loop: Header=BB63_52 Depth=1
	v_mov_b32_e32 v13, s56
	ds_read_b32 v13, v13
	s_waitcnt lgkmcnt(0)
	v_add_u32_e32 v12, v13, v12
	s_or_b64 exec, exec, s[38:39]
	s_and_saveexec_b64 s[38:39], s[22:23]
	s_cbranch_execz .LBB63_64
.LBB63_80:                              ;   in Loop: Header=BB63_52 Depth=1
	v_mov_b32_e32 v13, s57
	ds_read_b32 v13, v13
	s_waitcnt lgkmcnt(0)
	v_add_u32_e32 v12, v13, v12
	s_or_b64 exec, exec, s[38:39]
	s_and_saveexec_b64 s[38:39], s[24:25]
	s_cbranch_execz .LBB63_65
.LBB63_81:                              ;   in Loop: Header=BB63_52 Depth=1
	v_mov_b32_e32 v13, s58
	ds_read_b32 v13, v13
	s_waitcnt lgkmcnt(0)
	v_add_u32_e32 v12, v13, v12
	s_or_b64 exec, exec, s[38:39]
	s_and_saveexec_b64 s[38:39], s[26:27]
	s_cbranch_execz .LBB63_66
.LBB63_82:                              ;   in Loop: Header=BB63_52 Depth=1
	v_mov_b32_e32 v13, s59
	ds_read_b32 v13, v13
	s_waitcnt lgkmcnt(0)
	v_add_u32_e32 v12, v13, v12
	s_or_b64 exec, exec, s[38:39]
	s_and_saveexec_b64 s[38:39], s[28:29]
	s_cbranch_execz .LBB63_67
.LBB63_83:                              ;   in Loop: Header=BB63_52 Depth=1
	v_mov_b32_e32 v13, s60
	ds_read_b32 v13, v13
	s_waitcnt lgkmcnt(0)
	v_add_u32_e32 v12, v13, v12
	s_or_b64 exec, exec, s[38:39]
	s_and_saveexec_b64 s[38:39], s[30:31]
	s_cbranch_execz .LBB63_68
.LBB63_84:                              ;   in Loop: Header=BB63_52 Depth=1
	v_add3_u32 v13, v9, -1, v12
	v_lshl_add_u32 v14, v13, 2, 0
	v_lshl_add_u32 v13, v13, 3, 0
	v_add_u32_e32 v13, 0x20000, v13
	ds_write_b32 v14, v11
	ds_write2_b32 v13, v4, v5 offset1:1
	s_or_b64 exec, exec, s[38:39]
	s_and_saveexec_b64 s[30:31], vcc
	s_cbranch_execz .LBB63_51
.LBB63_85:                              ;   in Loop: Header=BB63_52 Depth=1
	v_mov_b32_e32 v4, s61
	ds_write_b32 v4, v12
	s_branch .LBB63_51
.LBB63_86:
	s_or_b64 exec, exec, s[36:37]
	s_ashr_i32 s49, s48, 31
	s_lshl_b64 s[0:1], s[48:49], 2
	s_add_u32 s0, s40, s0
	s_addc_u32 s1, s41, s1
	s_load_dwordx2 s[0:1], s[0:1], 0x0
	s_waitcnt lgkmcnt(0)
	s_sub_i32 s14, s1, s0
	v_cmp_gt_i32_e32 vcc, s14, v0
	s_and_saveexec_b64 s[2:3], vcc
	s_cbranch_execz .LBB63_101
; %bb.87:
	s_sub_i32 s6, s0, s46
	s_add_i32 s0, s14, -2
	s_lshr_b32 s1, s0, 1
	s_add_i32 s2, s1, 1
	s_cmp_gt_u32 s14, 1
	s_cselect_b64 s[8:9], -1, 0
	s_and_b32 s15, s14, -2
	s_and_b32 s4, s2, 7
	s_cmp_gt_u32 s0, 13
	s_cselect_b64 s[0:1], -1, 0
	s_and_b32 s16, s2, -8
	s_cmp_lg_u32 s4, 0
	s_cselect_b64 s[2:3], -1, 0
	v_cndmask_b32_e64 v1, 0, 1, s[0:1]
	s_cmp_lg_u32 s14, s15
	v_cmp_ne_u32_e64 s[0:1], 1, v1
	v_cndmask_b32_e64 v1, 0, 1, s[2:3]
	s_mov_b32 s7, 0
	s_cselect_b64 s[10:11], -1, 0
	s_lshl_b32 s17, s4, 3
	s_mov_b64 s[12:13], 0
	v_cmp_ne_u32_e64 s[2:3], 1, v1
	v_mov_b32_e32 v1, s43
	v_mov_b32_e32 v6, s35
	s_branch .LBB63_89
.LBB63_88:                              ;   in Loop: Header=BB63_89 Depth=1
	v_ashrrev_i32_e32 v5, 31, v4
	v_lshlrev_b64 v[8:9], 2, v[4:5]
	v_add_co_u32_e32 v8, vcc, s42, v8
	v_addc_co_u32_e32 v9, vcc, v1, v9, vcc
	v_lshlrev_b64 v[4:5], 3, v[4:5]
	v_add_co_u32_e32 v4, vcc, s34, v4
	v_addc_co_u32_e32 v5, vcc, v6, v5, vcc
	v_add_u32_e32 v0, 0x400, v0
	v_cmp_le_i32_e32 vcc, s14, v0
	s_waitcnt lgkmcnt(1)
	v_add_u32_e32 v7, s46, v7
	s_or_b64 s[12:13], vcc, s[12:13]
	global_store_dword v[8:9], v7, off
	s_waitcnt lgkmcnt(0)
	global_store_dwordx2 v[4:5], v[2:3], off
	s_andn2_b64 exec, exec, s[12:13]
	s_cbranch_execz .LBB63_101
.LBB63_89:                              ; =>This Loop Header: Depth=1
                                        ;     Child Loop BB63_92 Depth 2
                                        ;     Child Loop BB63_97 Depth 2
	;; [unrolled: 1-line block ×3, first 2 shown]
	v_lshl_add_u32 v3, v0, 3, 0
	v_lshl_add_u32 v2, v0, 2, 0
	v_add_u32_e32 v3, 0x20000, v3
	ds_read_b32 v7, v2
	ds_read2_b32 v[2:3], v3 offset1:1
	s_and_b64 vcc, exec, s[8:9]
	s_cbranch_vccz .LBB63_94
; %bb.90:                               ;   in Loop: Header=BB63_89 Depth=1
	s_and_b64 vcc, exec, s[0:1]
	s_cbranch_vccnz .LBB63_95
; %bb.91:                               ;   in Loop: Header=BB63_89 Depth=1
	s_mov_b32 s19, 0
	v_mov_b32_e32 v4, s6
	v_mov_b32_e32 v5, 0
	s_mov_b32 s20, s16
	s_mov_b32 s18, 0
.LBB63_92:                              ;   Parent Loop BB63_89 Depth=1
                                        ; =>  This Inner Loop Header: Depth=2
	v_mov_b32_e32 v22, s19
	ds_read2_b32 v[8:9], v22 offset1:1
	ds_read2_b32 v[10:11], v22 offset0:2 offset1:3
	ds_read2_b32 v[12:13], v22 offset0:4 offset1:5
	;; [unrolled: 1-line block ×7, first 2 shown]
	s_waitcnt lgkmcnt(7)
	v_cmp_gt_i32_e32 vcc, v7, v9
	v_cndmask_b32_e64 v9, 0, 1, vcc
	v_cmp_gt_i32_e32 vcc, v7, v8
	s_waitcnt lgkmcnt(5)
	v_cmp_gt_i32_e64 s[4:5], v7, v12
	v_cndmask_b32_e64 v8, 0, 1, vcc
	v_cmp_gt_i32_e32 vcc, v7, v11
	v_cndmask_b32_e64 v11, 0, 1, s[4:5]
	v_cmp_gt_i32_e64 s[4:5], v7, v13
	v_cndmask_b32_e64 v12, 0, 1, s[4:5]
	s_waitcnt lgkmcnt(3)
	v_cmp_gt_i32_e64 s[4:5], v7, v17
	v_cndmask_b32_e64 v13, 0, 1, s[4:5]
	v_cmp_gt_i32_e64 s[4:5], v7, v16
	v_cndmask_b32_e64 v16, 0, 1, s[4:5]
	s_waitcnt lgkmcnt(1)
	v_cmp_gt_i32_e64 s[4:5], v7, v20
	v_cndmask_b32_e64 v17, 0, 1, s[4:5]
	v_cmp_gt_i32_e64 s[4:5], v7, v21
	v_cndmask_b32_e64 v20, 0, 1, s[4:5]
	v_cmp_gt_i32_e64 s[4:5], v7, v10
	v_addc_co_u32_e64 v4, s[4:5], v4, v8, s[4:5]
	v_addc_co_u32_e32 v5, vcc, v5, v9, vcc
	v_cmp_gt_i32_e32 vcc, v7, v14
	v_cmp_gt_i32_e64 s[4:5], v7, v15
	v_addc_co_u32_e64 v5, s[4:5], v5, v12, s[4:5]
	v_addc_co_u32_e32 v4, vcc, v4, v11, vcc
	v_cmp_gt_i32_e32 vcc, v7, v19
	v_cmp_gt_i32_e64 s[4:5], v7, v18
	v_addc_co_u32_e64 v4, s[4:5], v4, v16, s[4:5]
	v_addc_co_u32_e32 v5, vcc, v5, v13, vcc
	s_add_i32 s18, s18, 16
	s_add_i32 s19, s19, 64
	s_add_i32 s20, s20, -8
	s_waitcnt lgkmcnt(0)
	v_cmp_gt_i32_e32 vcc, v7, v22
	v_cmp_gt_i32_e64 s[4:5], v7, v23
	s_cmp_lg_u32 s20, 0
	v_addc_co_u32_e64 v5, s[4:5], v5, v20, s[4:5]
	v_addc_co_u32_e32 v4, vcc, v4, v17, vcc
	s_cbranch_scc1 .LBB63_92
; %bb.93:                               ;   in Loop: Header=BB63_89 Depth=1
	s_and_b64 vcc, exec, s[2:3]
	s_cbranch_vccz .LBB63_96
	s_branch .LBB63_98
.LBB63_94:                              ;   in Loop: Header=BB63_89 Depth=1
	v_mov_b32_e32 v4, s6
	s_mov_b32 s18, 0
	s_cbranch_execz .LBB63_88
	s_branch .LBB63_99
.LBB63_95:                              ;   in Loop: Header=BB63_89 Depth=1
	v_pk_mov_b32 v[4:5], s[6:7], s[6:7] op_sel:[0,1]
	s_mov_b32 s18, 0
	s_and_b64 vcc, exec, s[2:3]
	s_cbranch_vccnz .LBB63_98
.LBB63_96:                              ;   in Loop: Header=BB63_89 Depth=1
	s_lshl_b32 s4, s18, 2
	s_add_i32 s4, s4, 0
	s_mov_b32 s5, s17
.LBB63_97:                              ;   Parent Loop BB63_89 Depth=1
                                        ; =>  This Inner Loop Header: Depth=2
	v_mov_b32_e32 v8, s4
	ds_read2_b32 v[8:9], v8 offset1:1
	s_add_i32 s4, s4, 8
	s_add_i32 s5, s5, -8
	s_cmp_lg_u32 s5, 0
	s_waitcnt lgkmcnt(0)
	v_cmp_gt_i32_e32 vcc, v7, v9
	v_addc_co_u32_e32 v5, vcc, 0, v5, vcc
	v_cmp_gt_i32_e32 vcc, v7, v8
	v_addc_co_u32_e32 v4, vcc, 0, v4, vcc
	s_cbranch_scc1 .LBB63_97
.LBB63_98:                              ;   in Loop: Header=BB63_89 Depth=1
	v_add_u32_e32 v4, v4, v5
	s_mov_b32 s18, s15
	s_mov_b64 s[4:5], s[10:11]
	s_and_b64 vcc, exec, s[4:5]
	s_cbranch_vccz .LBB63_88
.LBB63_99:                              ;   in Loop: Header=BB63_89 Depth=1
	s_lshl_b32 s4, s18, 2
	s_add_i32 s4, s4, 0
.LBB63_100:                             ;   Parent Loop BB63_89 Depth=1
                                        ; =>  This Inner Loop Header: Depth=2
	v_mov_b32_e32 v5, s4
	ds_read_b32 v5, v5
	s_add_i32 s18, s18, 1
	s_add_i32 s4, s4, 4
	s_cmp_ge_i32 s18, s14
	s_waitcnt lgkmcnt(0)
	v_cmp_gt_i32_e32 vcc, v7, v5
	v_addc_co_u32_e32 v4, vcc, 0, v4, vcc
	s_cbranch_scc0 .LBB63_100
	s_branch .LBB63_88
.LBB63_101:
	s_endpgm
	.section	.rodata,"a",@progbits
	.p2align	6, 0x0
	.amdhsa_kernel _ZN9rocsparseL26csrgemm_fill_block_per_rowILj1024ELj64ELj32768ELj137ELj64Eii21rocsparse_complex_numIfEEEvT5_PKS3_S5_NS_24const_host_device_scalarIT6_EEPKT4_S5_PKS7_SB_S5_SD_S8_SB_S5_SD_SB_PS3_PS7_21rocsparse_index_base_SG_SG_SG_bbb
		.amdhsa_group_segment_fixed_size 0
		.amdhsa_private_segment_fixed_size 0
		.amdhsa_kernarg_size 156
		.amdhsa_user_sgpr_count 6
		.amdhsa_user_sgpr_private_segment_buffer 1
		.amdhsa_user_sgpr_dispatch_ptr 0
		.amdhsa_user_sgpr_queue_ptr 0
		.amdhsa_user_sgpr_kernarg_segment_ptr 1
		.amdhsa_user_sgpr_dispatch_id 0
		.amdhsa_user_sgpr_flat_scratch_init 0
		.amdhsa_user_sgpr_kernarg_preload_length 0
		.amdhsa_user_sgpr_kernarg_preload_offset 0
		.amdhsa_user_sgpr_private_segment_size 0
		.amdhsa_uses_dynamic_stack 0
		.amdhsa_system_sgpr_private_segment_wavefront_offset 0
		.amdhsa_system_sgpr_workgroup_id_x 1
		.amdhsa_system_sgpr_workgroup_id_y 0
		.amdhsa_system_sgpr_workgroup_id_z 0
		.amdhsa_system_sgpr_workgroup_info 0
		.amdhsa_system_vgpr_workitem_id 0
		.amdhsa_next_free_vgpr 24
		.amdhsa_next_free_sgpr 63
		.amdhsa_accum_offset 24
		.amdhsa_reserve_vcc 1
		.amdhsa_reserve_flat_scratch 0
		.amdhsa_float_round_mode_32 0
		.amdhsa_float_round_mode_16_64 0
		.amdhsa_float_denorm_mode_32 3
		.amdhsa_float_denorm_mode_16_64 3
		.amdhsa_dx10_clamp 1
		.amdhsa_ieee_mode 1
		.amdhsa_fp16_overflow 0
		.amdhsa_tg_split 0
		.amdhsa_exception_fp_ieee_invalid_op 0
		.amdhsa_exception_fp_denorm_src 0
		.amdhsa_exception_fp_ieee_div_zero 0
		.amdhsa_exception_fp_ieee_overflow 0
		.amdhsa_exception_fp_ieee_underflow 0
		.amdhsa_exception_fp_ieee_inexact 0
		.amdhsa_exception_int_div_zero 0
	.end_amdhsa_kernel
	.section	.text._ZN9rocsparseL26csrgemm_fill_block_per_rowILj1024ELj64ELj32768ELj137ELj64Eii21rocsparse_complex_numIfEEEvT5_PKS3_S5_NS_24const_host_device_scalarIT6_EEPKT4_S5_PKS7_SB_S5_SD_S8_SB_S5_SD_SB_PS3_PS7_21rocsparse_index_base_SG_SG_SG_bbb,"axG",@progbits,_ZN9rocsparseL26csrgemm_fill_block_per_rowILj1024ELj64ELj32768ELj137ELj64Eii21rocsparse_complex_numIfEEEvT5_PKS3_S5_NS_24const_host_device_scalarIT6_EEPKT4_S5_PKS7_SB_S5_SD_S8_SB_S5_SD_SB_PS3_PS7_21rocsparse_index_base_SG_SG_SG_bbb,comdat
.Lfunc_end63:
	.size	_ZN9rocsparseL26csrgemm_fill_block_per_rowILj1024ELj64ELj32768ELj137ELj64Eii21rocsparse_complex_numIfEEEvT5_PKS3_S5_NS_24const_host_device_scalarIT6_EEPKT4_S5_PKS7_SB_S5_SD_S8_SB_S5_SD_SB_PS3_PS7_21rocsparse_index_base_SG_SG_SG_bbb, .Lfunc_end63-_ZN9rocsparseL26csrgemm_fill_block_per_rowILj1024ELj64ELj32768ELj137ELj64Eii21rocsparse_complex_numIfEEEvT5_PKS3_S5_NS_24const_host_device_scalarIT6_EEPKT4_S5_PKS7_SB_S5_SD_S8_SB_S5_SD_SB_PS3_PS7_21rocsparse_index_base_SG_SG_SG_bbb
                                        ; -- End function
	.section	.AMDGPU.csdata,"",@progbits
; Kernel info:
; codeLenInByte = 3648
; NumSgprs: 67
; NumVgprs: 24
; NumAgprs: 0
; TotalNumVgprs: 24
; ScratchSize: 0
; MemoryBound: 0
; FloatMode: 240
; IeeeMode: 1
; LDSByteSize: 0 bytes/workgroup (compile time only)
; SGPRBlocks: 8
; VGPRBlocks: 2
; NumSGPRsForWavesPerEU: 67
; NumVGPRsForWavesPerEU: 24
; AccumOffset: 24
; Occupancy: 8
; WaveLimiterHint : 1
; COMPUTE_PGM_RSRC2:SCRATCH_EN: 0
; COMPUTE_PGM_RSRC2:USER_SGPR: 6
; COMPUTE_PGM_RSRC2:TRAP_HANDLER: 0
; COMPUTE_PGM_RSRC2:TGID_X_EN: 1
; COMPUTE_PGM_RSRC2:TGID_Y_EN: 0
; COMPUTE_PGM_RSRC2:TGID_Z_EN: 0
; COMPUTE_PGM_RSRC2:TIDIG_COMP_CNT: 0
; COMPUTE_PGM_RSRC3_GFX90A:ACCUM_OFFSET: 5
; COMPUTE_PGM_RSRC3_GFX90A:TG_SPLIT: 0
	.section	.text._ZN9rocsparseL36csrgemm_fill_block_per_row_multipassILj512ELj16ELj2048ELj32Eii21rocsparse_complex_numIfEEEvT4_PKS3_S5_NS_24const_host_device_scalarIT5_EEPKT3_S5_PKS7_SB_S5_SD_S8_SB_S5_SD_SB_PS3_PS7_PS9_21rocsparse_index_base_SH_SH_SH_bbb,"axG",@progbits,_ZN9rocsparseL36csrgemm_fill_block_per_row_multipassILj512ELj16ELj2048ELj32Eii21rocsparse_complex_numIfEEEvT4_PKS3_S5_NS_24const_host_device_scalarIT5_EEPKT3_S5_PKS7_SB_S5_SD_S8_SB_S5_SD_SB_PS3_PS7_PS9_21rocsparse_index_base_SH_SH_SH_bbb,comdat
	.globl	_ZN9rocsparseL36csrgemm_fill_block_per_row_multipassILj512ELj16ELj2048ELj32Eii21rocsparse_complex_numIfEEEvT4_PKS3_S5_NS_24const_host_device_scalarIT5_EEPKT3_S5_PKS7_SB_S5_SD_S8_SB_S5_SD_SB_PS3_PS7_PS9_21rocsparse_index_base_SH_SH_SH_bbb ; -- Begin function _ZN9rocsparseL36csrgemm_fill_block_per_row_multipassILj512ELj16ELj2048ELj32Eii21rocsparse_complex_numIfEEEvT4_PKS3_S5_NS_24const_host_device_scalarIT5_EEPKT3_S5_PKS7_SB_S5_SD_S8_SB_S5_SD_SB_PS3_PS7_PS9_21rocsparse_index_base_SH_SH_SH_bbb
	.p2align	8
	.type	_ZN9rocsparseL36csrgemm_fill_block_per_row_multipassILj512ELj16ELj2048ELj32Eii21rocsparse_complex_numIfEEEvT4_PKS3_S5_NS_24const_host_device_scalarIT5_EEPKT3_S5_PKS7_SB_S5_SD_S8_SB_S5_SD_SB_PS3_PS7_PS9_21rocsparse_index_base_SH_SH_SH_bbb,@function
_ZN9rocsparseL36csrgemm_fill_block_per_row_multipassILj512ELj16ELj2048ELj32Eii21rocsparse_complex_numIfEEEvT4_PKS3_S5_NS_24const_host_device_scalarIT5_EEPKT3_S5_PKS7_SB_S5_SD_S8_SB_S5_SD_SB_PS3_PS7_PS9_21rocsparse_index_base_SH_SH_SH_bbb: ; @_ZN9rocsparseL36csrgemm_fill_block_per_row_multipassILj512ELj16ELj2048ELj32Eii21rocsparse_complex_numIfEEEvT4_PKS3_S5_NS_24const_host_device_scalarIT5_EEPKT3_S5_PKS7_SB_S5_SD_S8_SB_S5_SD_SB_PS3_PS7_PS9_21rocsparse_index_base_SH_SH_SH_bbb
; %bb.0:
	s_load_dwordx8 s[40:47], s[4:5], 0x80
	s_load_dword s7, s[4:5], 0xa0
	s_load_dwordx8 s[48:55], s[4:5], 0x60
	s_load_dwordx8 s[56:63], s[4:5], 0x40
	s_load_dwordx4 s[8:11], s[4:5], 0x8
	s_load_dwordx8 s[64:71], s[4:5], 0x20
	s_waitcnt lgkmcnt(0)
	s_bitcmp1_b32 s7, 0
	s_cselect_b64 s[12:13], -1, 0
	s_bitcmp1_b32 s7, 16
	s_cselect_b64 s[0:1], -1, 0
	s_xor_b64 s[2:3], s[0:1], -1
	s_mov_b32 s73, 0
	s_bitcmp0_b32 s7, 0
	s_mov_b32 s33, 0
	s_cbranch_scc1 .LBB64_5
; %bb.1:
	s_load_dwordx2 s[72:73], s[4:5], 0x18
	v_cndmask_b32_e64 v1, 0, 1, s[2:3]
	v_cmp_ne_u32_e64 s[0:1], 1, v1
	s_andn2_b64 vcc, exec, s[2:3]
	s_waitcnt lgkmcnt(0)
	s_mov_b32 s33, s72
	s_cbranch_vccnz .LBB64_3
; %bb.2:
	s_load_dword s33, s[72:73], 0x0
.LBB64_3:
	s_and_b64 vcc, exec, s[0:1]
	s_cbranch_vccnz .LBB64_5
; %bb.4:
	s_load_dword s73, s[72:73], 0x4
.LBB64_5:
	s_bitcmp1_b32 s7, 8
	s_cselect_b64 s[0:1], -1, 0
                                        ; implicit-def: $vgpr34 : SGPR spill to VGPR lane
	s_mov_b32 s92, 0
	v_writelane_b32 v34, s0, 0
	v_writelane_b32 v34, s1, 1
	s_bfe_u32 s0, s7, 0x10008
	s_cmp_eq_u32 s0, 0
	s_mov_b32 s72, 0
	s_cbranch_scc1 .LBB64_11
; %bb.6:
	v_cndmask_b32_e64 v1, 0, 1, s[2:3]
	v_cmp_ne_u32_e64 s[0:1], 1, v1
	s_andn2_b64 vcc, exec, s[2:3]
	s_mov_b32 s72, s60
	s_cbranch_vccnz .LBB64_8
; %bb.7:
	s_load_dword s72, s[60:61], 0x0
.LBB64_8:
	s_and_b64 vcc, exec, s[0:1]
	s_cbranch_vccnz .LBB64_10
; %bb.9:
	s_load_dword s61, s[60:61], 0x4
.LBB64_10:
	s_waitcnt lgkmcnt(0)
	s_mov_b32 s92, s61
.LBB64_11:
	s_load_dword s0, s[8:9], 0x0
	s_mov_b32 s61, 0
	v_cndmask_b32_e64 v1, 0, 1, s[12:13]
	s_waitcnt lgkmcnt(0)
	s_add_i32 s60, s0, s6
	s_lshl_b64 s[0:1], s[60:61], 2
	s_add_u32 s0, s10, s0
	s_addc_u32 s1, s11, s1
	s_load_dword s2, s[0:1], 0x0
	v_cmp_ne_u32_e64 s[0:1], 1, v1
	s_andn2_b64 vcc, exec, s[12:13]
	s_mov_b32 s6, 0
	s_cbranch_vccz .LBB64_14
; %bb.12:
	s_and_b64 vcc, exec, s[0:1]
	s_cbranch_vccz .LBB64_15
.LBB64_13:
	s_load_dword s60, s[4:5], 0x0
	s_waitcnt lgkmcnt(0)
	s_cmp_lt_i32 s60, 1
	s_cbranch_scc0 .LBB64_16
	s_branch .LBB64_69
.LBB64_14:
	s_waitcnt lgkmcnt(0)
	s_ashr_i32 s3, s2, 31
	s_lshl_b64 s[6:7], s[2:3], 2
	s_add_u32 s6, s64, s6
	s_addc_u32 s7, s65, s7
	s_load_dword s3, s[6:7], 0x0
	s_waitcnt lgkmcnt(0)
	s_sub_i32 s6, s3, s44
	s_and_b64 vcc, exec, s[0:1]
	s_cbranch_vccnz .LBB64_13
.LBB64_15:
	s_waitcnt lgkmcnt(0)
	s_ashr_i32 s3, s2, 31
	s_lshl_b64 s[0:1], s[2:3], 2
	s_add_u32 s0, s64, s0
	s_addc_u32 s1, s65, s1
	s_load_dword s0, s[0:1], 0x4
	s_waitcnt lgkmcnt(0)
	s_sub_i32 s61, s0, s44
	s_load_dword s60, s[4:5], 0x0
	s_waitcnt lgkmcnt(0)
	s_cmp_lt_i32 s60, 1
	s_cbranch_scc1 .LBB64_69
.LBB64_16:
	s_ashr_i32 s3, s2, 31
	s_lshl_b64 s[4:5], s[2:3], 2
	s_add_u32 s0, s52, s4
	s_addc_u32 s1, s53, s5
	s_load_dword s2, s[0:1], 0x0
	v_lshrrev_b32_e32 v2, 4, v0
	v_add_u32_e32 v14, s6, v2
	v_mbcnt_lo_u32_b32 v3, -1, 0
	v_cmp_gt_i32_e32 vcc, s61, v14
	s_waitcnt lgkmcnt(0)
	s_sub_i32 s38, s2, s46
	s_add_u32 s4, s62, s4
	s_addc_u32 s5, s63, s5
	v_mbcnt_hi_u32_b32 v3, -1, v3
	v_writelane_b32 v34, s4, 2
	v_sub_u32_e32 v3, 63, v3
	s_and_b64 s[62:63], s[12:13], vcc
	v_and_b32_e32 v1, 15, v0
	v_writelane_b32 v34, s5, 3
	v_mov_b32_e32 v2, 0
	v_lshrrev_b64 v[4:5], v3, -1
	v_lshrrev_b32_e32 v3, 3, v0
	s_movk_i32 s4, 0x1ff
	s_movk_i32 s10, 0x60
	;; [unrolled: 1-line block ×14, first 2 shown]
	s_add_u32 s93, s70, 4
	s_mov_b32 s52, 0
	v_cmp_eq_u32_e64 s[0:1], 0, v0
	v_cmp_eq_u32_e64 s[2:3], 15, v1
	v_subrev_u32_e32 v15, s47, v0
	v_and_b32_e32 v16, 60, v3
	v_cmp_eq_u32_e64 s[4:5], s4, v0
	v_cmp_gt_u32_e64 s[6:7], 32, v0
	v_cmp_gt_u32_e64 s[8:9], 64, v0
	;; [unrolled: 1-line block ×15, first 2 shown]
	s_addc_u32 s94, s71, 0
	v_or_b32_e32 v17, 0xfffffe00, v0
	v_lshlrev_b32_e32 v18, 3, v0
	v_mov_b32_e32 v21, 0x800
	v_mov_b32_e32 v19, s38
	;; [unrolled: 1-line block ×3, first 2 shown]
	s_movk_i32 s95, 0x5ff
	v_mov_b32_e32 v20, 1
	s_branch .LBB64_18
.LBB64_17:                              ;   in Loop: Header=BB64_18 Depth=1
	s_or_b64 exec, exec, s[38:39]
	ds_read_b32 v6, v2 offset:18432
	s_waitcnt lgkmcnt(0)
	s_barrier
	v_cmp_le_i32_e32 vcc, s60, v6
	v_readfirstlane_b32 s52, v6
	v_add_u32_e32 v21, 0x800, v6
	s_cbranch_vccnz .LBB64_69
.LBB64_18:                              ; =>This Loop Header: Depth=1
                                        ;     Child Loop BB64_19 Depth 2
                                        ;     Child Loop BB64_25 Depth 2
                                        ;       Child Loop BB64_31 Depth 3
                                        ;     Child Loop BB64_48 Depth 2
                                        ;     Child Loop BB64_60 Depth 2
                                        ;     Child Loop BB64_65 Depth 2
	s_mov_b64 s[38:39], 0
	v_mov_b32_e32 v6, v18
	v_mov_b32_e32 v7, v17
.LBB64_19:                              ;   Parent Loop BB64_18 Depth=1
                                        ; =>  This Inner Loop Header: Depth=2
	ds_write_b8 v7, v2 offset:16896
	ds_write_b64 v6, v[2:3]
	v_add_u32_e32 v7, 0x200, v7
	v_cmp_lt_u32_e32 vcc, s95, v7
	s_or_b64 s[38:39], vcc, s[38:39]
	v_add_u32_e32 v6, 0x1000, v6
	s_andn2_b64 exec, exec, s[38:39]
	s_cbranch_execnz .LBB64_19
; %bb.20:                               ;   in Loop: Header=BB64_18 Depth=1
	s_or_b64 exec, exec, s[38:39]
	s_and_saveexec_b64 s[38:39], s[0:1]
	s_cbranch_execz .LBB64_22
; %bb.21:                               ;   in Loop: Header=BB64_18 Depth=1
	v_mov_b32_e32 v6, s60
	ds_write_b32 v2, v6 offset:18432
.LBB64_22:                              ;   in Loop: Header=BB64_18 Depth=1
	s_or_b64 exec, exec, s[38:39]
	v_mov_b32_e32 v22, s60
	s_waitcnt lgkmcnt(0)
	s_barrier
	s_and_saveexec_b64 s[64:65], s[62:63]
	s_cbranch_execz .LBB64_44
; %bb.23:                               ;   in Loop: Header=BB64_18 Depth=1
	s_cmp_lg_u32 s52, 0
	s_mov_b64 s[76:77], 0
	s_cselect_b64 s[78:79], -1, 0
	v_mov_b32_e32 v22, s60
	v_mov_b32_e32 v6, v14
	s_branch .LBB64_25
.LBB64_24:                              ;   in Loop: Header=BB64_25 Depth=2
	s_or_b64 exec, exec, s[38:39]
	v_add_u32_e32 v6, 32, v6
	v_cmp_le_i32_e32 vcc, s61, v6
	s_or_b64 s[76:77], vcc, s[76:77]
	s_andn2_b64 exec, exec, s[76:77]
	s_cbranch_execz .LBB64_43
.LBB64_25:                              ;   Parent Loop BB64_18 Depth=1
                                        ; =>  This Loop Header: Depth=2
                                        ;       Child Loop BB64_31 Depth 3
	v_ashrrev_i32_e32 v7, 31, v6
	v_lshlrev_b64 v[8:9], 2, v[6:7]
	v_mov_b32_e32 v11, s67
	v_add_co_u32_e32 v10, vcc, s66, v8
	v_addc_co_u32_e32 v11, vcc, v11, v9, vcc
	global_load_dword v12, v[10:11], off
	v_lshlrev_b64 v[10:11], 3, v[6:7]
	v_mov_b32_e32 v7, s69
	v_add_co_u32_e32 v10, vcc, s68, v10
	v_addc_co_u32_e32 v11, vcc, v7, v11, vcc
	global_load_dwordx2 v[10:11], v[10:11], off
	s_and_b64 vcc, exec, s[78:79]
	s_waitcnt vmcnt(1)
	v_subrev_u32_e32 v12, s44, v12
	v_ashrrev_i32_e32 v13, 31, v12
	s_cbranch_vccz .LBB64_42
; %bb.26:                               ;   in Loop: Header=BB64_25 Depth=2
	v_mov_b32_e32 v7, s43
	v_add_co_u32_e32 v24, vcc, s42, v8
	v_addc_co_u32_e32 v25, vcc, v7, v9, vcc
	global_load_dword v7, v[24:25], off
	s_cbranch_execnz .LBB64_28
.LBB64_27:                              ;   in Loop: Header=BB64_25 Depth=2
	v_lshlrev_b64 v[24:25], 2, v[12:13]
	s_waitcnt vmcnt(0)
	v_mov_b32_e32 v7, s71
	v_add_co_u32_e32 v24, vcc, s70, v24
	v_addc_co_u32_e32 v25, vcc, v7, v25, vcc
	global_load_dword v7, v[24:25], off
	s_waitcnt vmcnt(0)
	v_subrev_u32_e32 v7, s45, v7
.LBB64_28:                              ;   in Loop: Header=BB64_25 Depth=2
	v_lshlrev_b64 v[12:13], 2, v[12:13]
	v_mov_b32_e32 v23, s94
	v_add_co_u32_e32 v12, vcc, s93, v12
	v_addc_co_u32_e32 v13, vcc, v23, v13, vcc
	global_load_dword v12, v[12:13], off
	s_waitcnt vmcnt(1)
	v_add_u32_e32 v7, v7, v1
	s_waitcnt vmcnt(0)
	v_subrev_u32_e32 v12, s45, v12
	v_cmp_lt_i32_e32 vcc, v7, v12
	s_and_saveexec_b64 s[80:81], vcc
	s_cbranch_execz .LBB64_40
; %bb.29:                               ;   in Loop: Header=BB64_25 Depth=2
	v_mul_f32_e64 v13, v11, -s73
	v_mul_f32_e32 v23, s33, v11
	v_fmac_f32_e32 v13, s33, v10
	v_fmac_f32_e32 v23, s73, v10
	s_mov_b64 s[84:85], 0
	v_mov_b32_e32 v10, v7
                                        ; implicit-def: $sgpr82_sgpr83
                                        ; implicit-def: $sgpr86_sgpr87
	s_branch .LBB64_31
.LBB64_30:                              ;   in Loop: Header=BB64_31 Depth=3
	s_or_b64 exec, exec, s[88:89]
	s_and_b64 s[38:39], exec, s[90:91]
	s_or_b64 s[84:85], s[38:39], s[84:85]
	s_andn2_b64 s[38:39], s[82:83], exec
	s_and_b64 s[74:75], s[86:87], exec
	s_or_b64 s[82:83], s[38:39], s[74:75]
	v_mov_b32_e32 v10, v25
	s_andn2_b64 exec, exec, s[84:85]
	s_cbranch_execz .LBB64_37
.LBB64_31:                              ;   Parent Loop BB64_18 Depth=1
                                        ;     Parent Loop BB64_25 Depth=2
                                        ; =>    This Inner Loop Header: Depth=3
	v_ashrrev_i32_e32 v11, 31, v10
	v_lshlrev_b64 v[24:25], 2, v[10:11]
	v_mov_b32_e32 v26, s57
	v_add_co_u32_e32 v24, vcc, s56, v24
	v_addc_co_u32_e32 v25, vcc, v26, v25, vcc
	global_load_dword v24, v[24:25], off
                                        ; implicit-def: $sgpr88_sgpr89
	s_waitcnt vmcnt(0)
	v_subrev_u32_e32 v24, s45, v24
	v_cmp_gt_i32_e32 vcc, s52, v24
	v_cmp_ge_i32_e64 s[38:39], v24, v21
	s_or_b64 s[90:91], vcc, s[38:39]
	s_mov_b64 s[38:39], 0
	s_and_saveexec_b64 vcc, s[90:91]
	s_xor_b64 s[90:91], exec, vcc
; %bb.32:                               ;   in Loop: Header=BB64_31 Depth=3
	v_cmp_lt_i32_e32 vcc, v24, v21
	s_mov_b64 s[88:89], -1
	s_and_b64 s[38:39], vcc, exec
; %bb.33:                               ;   in Loop: Header=BB64_31 Depth=3
	s_andn2_saveexec_b64 s[90:91], s[90:91]
	s_cbranch_execz .LBB64_35
; %bb.34:                               ;   in Loop: Header=BB64_31 Depth=3
	v_lshlrev_b64 v[26:27], 3, v[10:11]
	v_mov_b32_e32 v11, s59
	v_add_co_u32_e32 v26, vcc, s58, v26
	v_addc_co_u32_e32 v27, vcc, v11, v27, vcc
	global_load_dwordx2 v[26:27], v[26:27], off
	v_subrev_u32_e32 v11, s52, v24
	ds_write_b8 v11, v20 offset:16384
	v_lshlrev_b32_e32 v11, 3, v11
	s_or_b64 s[38:39], s[38:39], exec
	s_waitcnt vmcnt(0)
	v_mul_f32_e64 v25, v27, -v23
	v_mul_f32_e32 v27, v13, v27
	v_fmac_f32_e32 v25, v13, v26
	v_fmac_f32_e32 v27, v23, v26
	ds_add_f32 v11, v25
	ds_add_f32 v11, v27 offset:4
.LBB64_35:                              ;   in Loop: Header=BB64_31 Depth=3
	s_or_b64 exec, exec, s[90:91]
	s_andn2_b64 s[74:75], s[86:87], exec
	s_and_b64 s[86:87], s[88:89], exec
	s_mov_b64 s[90:91], -1
	s_or_b64 s[86:87], s[74:75], s[86:87]
	v_mov_b32_e32 v11, v10
                                        ; implicit-def: $vgpr25
	s_and_saveexec_b64 s[88:89], s[38:39]
	s_cbranch_execz .LBB64_30
; %bb.36:                               ;   in Loop: Header=BB64_31 Depth=3
	v_add_u32_e32 v25, 16, v10
	v_cmp_ge_i32_e32 vcc, v25, v12
	s_andn2_b64 s[86:87], s[86:87], exec
	s_orn2_b64 s[90:91], vcc, exec
	v_mov_b32_e32 v11, v10
	s_branch .LBB64_30
.LBB64_37:                              ;   in Loop: Header=BB64_25 Depth=2
	s_or_b64 exec, exec, s[84:85]
	s_and_saveexec_b64 s[38:39], s[82:83]
	s_xor_b64 s[38:39], exec, s[38:39]
; %bb.38:                               ;   in Loop: Header=BB64_25 Depth=2
	v_min_i32_e32 v22, v24, v22
	v_mov_b32_e32 v7, v11
; %bb.39:                               ;   in Loop: Header=BB64_25 Depth=2
	s_or_b64 exec, exec, s[38:39]
.LBB64_40:                              ;   in Loop: Header=BB64_25 Depth=2
	s_or_b64 exec, exec, s[80:81]
	v_mov_b32_dpp v10, v7 row_shr:1 row_mask:0xf bank_mask:0xf
	v_min_i32_e32 v7, v10, v7
	s_nop 1
	v_mov_b32_dpp v10, v7 row_shr:2 row_mask:0xf bank_mask:0xf
	v_min_i32_e32 v7, v10, v7
	s_nop 1
	;; [unrolled: 3-line block ×3, first 2 shown]
	v_mov_b32_dpp v10, v7 row_shr:8 row_mask:0xf bank_mask:0xc
	s_and_saveexec_b64 s[38:39], s[2:3]
	s_cbranch_execz .LBB64_24
; %bb.41:                               ;   in Loop: Header=BB64_25 Depth=2
	v_min_i32_e32 v7, v10, v7
	v_mov_b32_e32 v10, s43
	v_add_co_u32_e32 v8, vcc, s42, v8
	v_addc_co_u32_e32 v9, vcc, v10, v9, vcc
	global_store_dword v[8:9], v7, off
	s_branch .LBB64_24
.LBB64_42:                              ;   in Loop: Header=BB64_25 Depth=2
                                        ; implicit-def: $vgpr7
	s_branch .LBB64_27
.LBB64_43:                              ;   in Loop: Header=BB64_18 Depth=1
	s_or_b64 exec, exec, s[76:77]
.LBB64_44:                              ;   in Loop: Header=BB64_18 Depth=1
	s_or_b64 exec, exec, s[64:65]
	v_readlane_b32 s38, v34, 0
	v_readlane_b32 s39, v34, 1
	s_andn2_b64 vcc, exec, s[38:39]
	s_cbranch_vccnz .LBB64_58
; %bb.45:                               ;   in Loop: Header=BB64_18 Depth=1
	v_readlane_b32 s38, v34, 2
	v_readlane_b32 s39, v34, 3
	s_load_dwordx2 s[38:39], s[38:39], 0x0
	s_waitcnt lgkmcnt(0)
	s_sub_i32 s53, s39, s47
	v_add_u32_e32 v6, s38, v15
	v_cmp_gt_i32_e32 vcc, s53, v6
	s_and_saveexec_b64 s[64:65], vcc
	s_cbranch_execz .LBB64_57
; %bb.46:                               ;   in Loop: Header=BB64_18 Depth=1
	s_mov_b64 s[76:77], 0
                                        ; implicit-def: $sgpr78_sgpr79
                                        ; implicit-def: $sgpr80_sgpr81
	s_branch .LBB64_48
.LBB64_47:                              ;   in Loop: Header=BB64_48 Depth=2
	s_or_b64 exec, exec, s[82:83]
	s_and_b64 s[38:39], exec, s[84:85]
	s_or_b64 s[76:77], s[38:39], s[76:77]
	s_andn2_b64 s[38:39], s[78:79], exec
	s_and_b64 s[74:75], s[80:81], exec
	s_or_b64 s[78:79], s[38:39], s[74:75]
	s_andn2_b64 exec, exec, s[76:77]
	s_cbranch_execz .LBB64_54
.LBB64_48:                              ;   Parent Loop BB64_18 Depth=1
                                        ; =>  This Inner Loop Header: Depth=2
	v_ashrrev_i32_e32 v7, 31, v6
	v_lshlrev_b64 v[8:9], 2, v[6:7]
	v_mov_b32_e32 v10, s49
	v_add_co_u32_e32 v8, vcc, s48, v8
	v_addc_co_u32_e32 v9, vcc, v10, v9, vcc
	global_load_dword v8, v[8:9], off
                                        ; implicit-def: $sgpr82_sgpr83
	s_waitcnt vmcnt(0)
	v_subrev_u32_e32 v8, s47, v8
	v_cmp_gt_i32_e32 vcc, s52, v8
	v_cmp_ge_i32_e64 s[38:39], v8, v21
	s_or_b64 s[74:75], vcc, s[38:39]
	s_mov_b64 s[38:39], 0
	s_and_saveexec_b64 s[84:85], s[74:75]
	s_xor_b64 s[84:85], exec, s[84:85]
; %bb.49:                               ;   in Loop: Header=BB64_48 Depth=2
	v_cmp_lt_i32_e32 vcc, v8, v21
	s_mov_b64 s[82:83], -1
	s_and_b64 s[38:39], vcc, exec
; %bb.50:                               ;   in Loop: Header=BB64_48 Depth=2
	s_andn2_saveexec_b64 s[84:85], s[84:85]
	s_cbranch_execz .LBB64_52
; %bb.51:                               ;   in Loop: Header=BB64_48 Depth=2
	v_lshlrev_b64 v[10:11], 3, v[6:7]
	v_mov_b32_e32 v7, s51
	v_add_co_u32_e32 v10, vcc, s50, v10
	v_addc_co_u32_e32 v11, vcc, v7, v11, vcc
	global_load_dwordx2 v[10:11], v[10:11], off
	v_subrev_u32_e32 v7, s52, v8
	ds_write_b8 v7, v20 offset:16384
	v_lshlrev_b32_e32 v7, 3, v7
	s_or_b64 s[38:39], s[38:39], exec
	s_waitcnt vmcnt(0)
	v_mul_f32_e64 v9, v11, -s92
	v_mul_f32_e32 v11, s72, v11
	v_fmac_f32_e32 v9, s72, v10
	v_fmac_f32_e32 v11, s92, v10
	ds_add_f32 v7, v9
	ds_add_f32 v7, v11 offset:4
.LBB64_52:                              ;   in Loop: Header=BB64_48 Depth=2
	s_or_b64 exec, exec, s[84:85]
	s_andn2_b64 s[74:75], s[80:81], exec
	s_and_b64 s[80:81], s[82:83], exec
	s_mov_b64 s[84:85], -1
	s_or_b64 s[80:81], s[74:75], s[80:81]
	s_and_saveexec_b64 s[82:83], s[38:39]
	s_cbranch_execz .LBB64_47
; %bb.53:                               ;   in Loop: Header=BB64_48 Depth=2
	v_add_u32_e32 v6, 0x200, v6
	v_cmp_le_i32_e32 vcc, s53, v6
	s_andn2_b64 s[80:81], s[80:81], exec
	s_orn2_b64 s[84:85], vcc, exec
	s_branch .LBB64_47
.LBB64_54:                              ;   in Loop: Header=BB64_18 Depth=1
	s_or_b64 exec, exec, s[76:77]
	s_and_saveexec_b64 s[38:39], s[78:79]
	s_xor_b64 s[38:39], exec, s[38:39]
; %bb.55:                               ;   in Loop: Header=BB64_18 Depth=1
	v_min_i32_e32 v22, v8, v22
; %bb.56:                               ;   in Loop: Header=BB64_18 Depth=1
	s_or_b64 exec, exec, s[38:39]
.LBB64_57:                              ;   in Loop: Header=BB64_18 Depth=1
	s_or_b64 exec, exec, s[64:65]
.LBB64_58:                              ;   in Loop: Header=BB64_18 Depth=1
	v_mov_b32_dpp v6, v22 row_shr:1 row_mask:0xf bank_mask:0xf
	v_min_i32_e32 v6, v6, v22
	s_nop 1
	v_mov_b32_dpp v7, v6 row_shr:2 row_mask:0xf bank_mask:0xf
	v_min_i32_e32 v6, v7, v6
	s_nop 1
	v_mov_b32_dpp v7, v6 row_shr:4 row_mask:0xf bank_mask:0xe
	v_min_i32_e32 v6, v7, v6
	s_nop 1
	v_mov_b32_dpp v7, v6 row_shr:8 row_mask:0xf bank_mask:0xc
	s_and_saveexec_b64 s[38:39], s[2:3]
	s_cbranch_execz .LBB64_63
; %bb.59:                               ;   in Loop: Header=BB64_18 Depth=1
	s_mov_b64 s[64:65], exec
	v_min_i32_e32 v6, v7, v6
	s_brev_b32 s53, -2
.LBB64_60:                              ;   Parent Loop BB64_18 Depth=1
                                        ; =>  This Inner Loop Header: Depth=2
	s_ff1_i32_b64 s74, s[64:65]
	v_readlane_b32 s76, v6, s74
	s_lshl_b64 s[74:75], 1, s74
	s_min_i32 s53, s53, s76
	s_andn2_b64 s[64:65], s[64:65], s[74:75]
	s_cmp_lg_u64 s[64:65], 0
	s_cbranch_scc1 .LBB64_60
; %bb.61:                               ;   in Loop: Header=BB64_18 Depth=1
	v_mbcnt_lo_u32_b32 v6, exec_lo, 0
	v_mbcnt_hi_u32_b32 v6, exec_hi, v6
	v_cmp_eq_u32_e32 vcc, 0, v6
	s_and_saveexec_b64 s[64:65], vcc
	s_xor_b64 s[64:65], exec, s[64:65]
	s_cbranch_execz .LBB64_63
; %bb.62:                               ;   in Loop: Header=BB64_18 Depth=1
	v_mov_b32_e32 v6, s53
	ds_min_i32 v2, v6 offset:18432
.LBB64_63:                              ;   in Loop: Header=BB64_18 Depth=1
	s_or_b64 exec, exec, s[38:39]
	s_add_i32 s52, s46, s52
	s_mov_b64 s[38:39], 0
	v_mov_b32_e32 v8, v18
	v_mov_b32_e32 v9, v0
	s_waitcnt lgkmcnt(0)
	s_barrier
	s_branch .LBB64_65
.LBB64_64:                              ;   in Loop: Header=BB64_65 Depth=2
	s_or_b64 exec, exec, s[64:65]
	s_waitcnt lgkmcnt(0)
	s_barrier
	ds_read_b32 v6, v2 offset:60
	v_add_u32_e32 v7, 0x200, v9
	v_cmp_lt_u32_e32 vcc, s95, v9
	v_add_u32_e32 v8, 0x1000, v8
	s_or_b64 s[38:39], vcc, s[38:39]
	s_waitcnt lgkmcnt(0)
	v_add_u32_e32 v19, v6, v19
	v_mov_b32_e32 v9, v7
	s_andn2_b64 exec, exec, s[38:39]
	s_cbranch_execz .LBB64_17
.LBB64_65:                              ;   Parent Loop BB64_18 Depth=1
                                        ; =>  This Inner Loop Header: Depth=2
	ds_read_u8 v21, v9 offset:16384
	ds_read_b64 v[6:7], v8
	s_waitcnt lgkmcnt(0)
	s_barrier
	v_cmp_ne_u16_e32 vcc, 0, v21
	s_bcnt1_i32_b64 s53, vcc
	v_and_b32_e32 v10, vcc_lo, v4
	v_bcnt_u32_b32 v23, v10, 0
	v_mov_b32_e32 v10, s53
	ds_write_b32 v16, v10
	s_waitcnt lgkmcnt(0)
	s_barrier
	ds_read_b128 v[10:13], v2
	v_and_b32_e32 v22, vcc_hi, v5
	v_bcnt_u32_b32 v33, v22, v23
	ds_read_b128 v[22:25], v2 offset:16
	ds_read_b128 v[26:29], v2 offset:32
	ds_read_b96 v[30:32], v2 offset:48
	s_waitcnt lgkmcnt(3)
	v_cndmask_b32_e64 v10, v10, 0, s[6:7]
	v_add_u32_e32 v10, v10, v33
	v_cndmask_b32_e64 v11, v11, 0, s[8:9]
	v_cndmask_b32_e64 v12, v12, 0, s[10:11]
	v_add3_u32 v10, v10, v11, v12
	v_cndmask_b32_e64 v11, v13, 0, s[12:13]
	s_waitcnt lgkmcnt(2)
	v_cndmask_b32_e64 v12, v22, 0, s[14:15]
	v_add3_u32 v10, v10, v11, v12
	v_cndmask_b32_e64 v11, v23, 0, s[16:17]
	v_cndmask_b32_e64 v12, v24, 0, s[18:19]
	v_add3_u32 v10, v10, v11, v12
	v_cndmask_b32_e64 v11, v25, 0, s[20:21]
	s_waitcnt lgkmcnt(1)
	v_cndmask_b32_e64 v12, v26, 0, s[22:23]
	v_add3_u32 v10, v10, v11, v12
	;; [unrolled: 7-line block ×3, first 2 shown]
	v_cndmask_b32_e64 v11, v31, 0, s[34:35]
	v_cndmask_b32_e64 v12, v32, 0, s[36:37]
	v_add3_u32 v10, v10, v11, v12
	v_and_b32_e32 v11, 1, v21
	v_cmp_eq_u32_e32 vcc, 1, v11
	s_and_saveexec_b64 s[64:65], vcc
	s_cbranch_execz .LBB64_67
; %bb.66:                               ;   in Loop: Header=BB64_65 Depth=2
	v_add3_u32 v12, v19, v10, -1
	v_ashrrev_i32_e32 v13, 31, v12
	v_lshlrev_b64 v[22:23], 2, v[12:13]
	v_mov_b32_e32 v21, s55
	v_add_co_u32_e32 v22, vcc, s54, v22
	v_addc_co_u32_e32 v23, vcc, v21, v23, vcc
	v_lshlrev_b64 v[12:13], 3, v[12:13]
	v_add_u32_e32 v11, s52, v9
	v_mov_b32_e32 v21, s41
	v_add_co_u32_e32 v12, vcc, s40, v12
	v_addc_co_u32_e32 v13, vcc, v21, v13, vcc
	global_store_dword v[22:23], v11, off
	global_store_dwordx2 v[12:13], v[6:7], off
.LBB64_67:                              ;   in Loop: Header=BB64_65 Depth=2
	s_or_b64 exec, exec, s[64:65]
	s_and_saveexec_b64 s[64:65], s[4:5]
	s_cbranch_execz .LBB64_64
; %bb.68:                               ;   in Loop: Header=BB64_65 Depth=2
	ds_write_b32 v2, v10 offset:60
	s_branch .LBB64_64
.LBB64_69:
	s_endpgm
	.section	.rodata,"a",@progbits
	.p2align	6, 0x0
	.amdhsa_kernel _ZN9rocsparseL36csrgemm_fill_block_per_row_multipassILj512ELj16ELj2048ELj32Eii21rocsparse_complex_numIfEEEvT4_PKS3_S5_NS_24const_host_device_scalarIT5_EEPKT3_S5_PKS7_SB_S5_SD_S8_SB_S5_SD_SB_PS3_PS7_PS9_21rocsparse_index_base_SH_SH_SH_bbb
		.amdhsa_group_segment_fixed_size 18436
		.amdhsa_private_segment_fixed_size 0
		.amdhsa_kernarg_size 164
		.amdhsa_user_sgpr_count 6
		.amdhsa_user_sgpr_private_segment_buffer 1
		.amdhsa_user_sgpr_dispatch_ptr 0
		.amdhsa_user_sgpr_queue_ptr 0
		.amdhsa_user_sgpr_kernarg_segment_ptr 1
		.amdhsa_user_sgpr_dispatch_id 0
		.amdhsa_user_sgpr_flat_scratch_init 0
		.amdhsa_user_sgpr_kernarg_preload_length 0
		.amdhsa_user_sgpr_kernarg_preload_offset 0
		.amdhsa_user_sgpr_private_segment_size 0
		.amdhsa_uses_dynamic_stack 0
		.amdhsa_system_sgpr_private_segment_wavefront_offset 0
		.amdhsa_system_sgpr_workgroup_id_x 1
		.amdhsa_system_sgpr_workgroup_id_y 0
		.amdhsa_system_sgpr_workgroup_id_z 0
		.amdhsa_system_sgpr_workgroup_info 0
		.amdhsa_system_vgpr_workitem_id 0
		.amdhsa_next_free_vgpr 35
		.amdhsa_next_free_sgpr 96
		.amdhsa_accum_offset 36
		.amdhsa_reserve_vcc 1
		.amdhsa_reserve_flat_scratch 0
		.amdhsa_float_round_mode_32 0
		.amdhsa_float_round_mode_16_64 0
		.amdhsa_float_denorm_mode_32 3
		.amdhsa_float_denorm_mode_16_64 3
		.amdhsa_dx10_clamp 1
		.amdhsa_ieee_mode 1
		.amdhsa_fp16_overflow 0
		.amdhsa_tg_split 0
		.amdhsa_exception_fp_ieee_invalid_op 0
		.amdhsa_exception_fp_denorm_src 0
		.amdhsa_exception_fp_ieee_div_zero 0
		.amdhsa_exception_fp_ieee_overflow 0
		.amdhsa_exception_fp_ieee_underflow 0
		.amdhsa_exception_fp_ieee_inexact 0
		.amdhsa_exception_int_div_zero 0
	.end_amdhsa_kernel
	.section	.text._ZN9rocsparseL36csrgemm_fill_block_per_row_multipassILj512ELj16ELj2048ELj32Eii21rocsparse_complex_numIfEEEvT4_PKS3_S5_NS_24const_host_device_scalarIT5_EEPKT3_S5_PKS7_SB_S5_SD_S8_SB_S5_SD_SB_PS3_PS7_PS9_21rocsparse_index_base_SH_SH_SH_bbb,"axG",@progbits,_ZN9rocsparseL36csrgemm_fill_block_per_row_multipassILj512ELj16ELj2048ELj32Eii21rocsparse_complex_numIfEEEvT4_PKS3_S5_NS_24const_host_device_scalarIT5_EEPKT3_S5_PKS7_SB_S5_SD_S8_SB_S5_SD_SB_PS3_PS7_PS9_21rocsparse_index_base_SH_SH_SH_bbb,comdat
.Lfunc_end64:
	.size	_ZN9rocsparseL36csrgemm_fill_block_per_row_multipassILj512ELj16ELj2048ELj32Eii21rocsparse_complex_numIfEEEvT4_PKS3_S5_NS_24const_host_device_scalarIT5_EEPKT3_S5_PKS7_SB_S5_SD_S8_SB_S5_SD_SB_PS3_PS7_PS9_21rocsparse_index_base_SH_SH_SH_bbb, .Lfunc_end64-_ZN9rocsparseL36csrgemm_fill_block_per_row_multipassILj512ELj16ELj2048ELj32Eii21rocsparse_complex_numIfEEEvT4_PKS3_S5_NS_24const_host_device_scalarIT5_EEPKT3_S5_PKS7_SB_S5_SD_S8_SB_S5_SD_SB_PS3_PS7_PS9_21rocsparse_index_base_SH_SH_SH_bbb
                                        ; -- End function
	.section	.AMDGPU.csdata,"",@progbits
; Kernel info:
; codeLenInByte = 2692
; NumSgprs: 100
; NumVgprs: 35
; NumAgprs: 0
; TotalNumVgprs: 35
; ScratchSize: 0
; MemoryBound: 0
; FloatMode: 240
; IeeeMode: 1
; LDSByteSize: 18436 bytes/workgroup (compile time only)
; SGPRBlocks: 12
; VGPRBlocks: 4
; NumSGPRsForWavesPerEU: 100
; NumVGPRsForWavesPerEU: 35
; AccumOffset: 36
; Occupancy: 6
; WaveLimiterHint : 1
; COMPUTE_PGM_RSRC2:SCRATCH_EN: 0
; COMPUTE_PGM_RSRC2:USER_SGPR: 6
; COMPUTE_PGM_RSRC2:TRAP_HANDLER: 0
; COMPUTE_PGM_RSRC2:TGID_X_EN: 1
; COMPUTE_PGM_RSRC2:TGID_Y_EN: 0
; COMPUTE_PGM_RSRC2:TGID_Z_EN: 0
; COMPUTE_PGM_RSRC2:TIDIG_COMP_CNT: 0
; COMPUTE_PGM_RSRC3_GFX90A:ACCUM_OFFSET: 8
; COMPUTE_PGM_RSRC3_GFX90A:TG_SPLIT: 0
	.section	.text._ZN9rocsparseL36csrgemm_fill_block_per_row_multipassILj512ELj16ELj2048ELj64Eii21rocsparse_complex_numIfEEEvT4_PKS3_S5_NS_24const_host_device_scalarIT5_EEPKT3_S5_PKS7_SB_S5_SD_S8_SB_S5_SD_SB_PS3_PS7_PS9_21rocsparse_index_base_SH_SH_SH_bbb,"axG",@progbits,_ZN9rocsparseL36csrgemm_fill_block_per_row_multipassILj512ELj16ELj2048ELj64Eii21rocsparse_complex_numIfEEEvT4_PKS3_S5_NS_24const_host_device_scalarIT5_EEPKT3_S5_PKS7_SB_S5_SD_S8_SB_S5_SD_SB_PS3_PS7_PS9_21rocsparse_index_base_SH_SH_SH_bbb,comdat
	.globl	_ZN9rocsparseL36csrgemm_fill_block_per_row_multipassILj512ELj16ELj2048ELj64Eii21rocsparse_complex_numIfEEEvT4_PKS3_S5_NS_24const_host_device_scalarIT5_EEPKT3_S5_PKS7_SB_S5_SD_S8_SB_S5_SD_SB_PS3_PS7_PS9_21rocsparse_index_base_SH_SH_SH_bbb ; -- Begin function _ZN9rocsparseL36csrgemm_fill_block_per_row_multipassILj512ELj16ELj2048ELj64Eii21rocsparse_complex_numIfEEEvT4_PKS3_S5_NS_24const_host_device_scalarIT5_EEPKT3_S5_PKS7_SB_S5_SD_S8_SB_S5_SD_SB_PS3_PS7_PS9_21rocsparse_index_base_SH_SH_SH_bbb
	.p2align	8
	.type	_ZN9rocsparseL36csrgemm_fill_block_per_row_multipassILj512ELj16ELj2048ELj64Eii21rocsparse_complex_numIfEEEvT4_PKS3_S5_NS_24const_host_device_scalarIT5_EEPKT3_S5_PKS7_SB_S5_SD_S8_SB_S5_SD_SB_PS3_PS7_PS9_21rocsparse_index_base_SH_SH_SH_bbb,@function
_ZN9rocsparseL36csrgemm_fill_block_per_row_multipassILj512ELj16ELj2048ELj64Eii21rocsparse_complex_numIfEEEvT4_PKS3_S5_NS_24const_host_device_scalarIT5_EEPKT3_S5_PKS7_SB_S5_SD_S8_SB_S5_SD_SB_PS3_PS7_PS9_21rocsparse_index_base_SH_SH_SH_bbb: ; @_ZN9rocsparseL36csrgemm_fill_block_per_row_multipassILj512ELj16ELj2048ELj64Eii21rocsparse_complex_numIfEEEvT4_PKS3_S5_NS_24const_host_device_scalarIT5_EEPKT3_S5_PKS7_SB_S5_SD_S8_SB_S5_SD_SB_PS3_PS7_PS9_21rocsparse_index_base_SH_SH_SH_bbb
; %bb.0:
	s_load_dwordx8 s[24:31], s[4:5], 0x80
	s_load_dword s7, s[4:5], 0xa0
	s_load_dwordx8 s[36:43], s[4:5], 0x60
	s_load_dwordx8 s[44:51], s[4:5], 0x40
	s_load_dwordx4 s[8:11], s[4:5], 0x8
	s_load_dwordx8 s[52:59], s[4:5], 0x20
	s_waitcnt lgkmcnt(0)
	s_bitcmp1_b32 s7, 0
	s_cselect_b64 s[12:13], -1, 0
	s_bitcmp1_b32 s7, 16
	s_cselect_b64 s[0:1], -1, 0
	s_xor_b64 s[2:3], s[0:1], -1
	s_mov_b32 s23, 0
	s_bitcmp0_b32 s7, 0
	s_mov_b32 s33, 0
	s_cbranch_scc1 .LBB65_5
; %bb.1:
	s_load_dwordx2 s[22:23], s[4:5], 0x18
	v_cndmask_b32_e64 v1, 0, 1, s[2:3]
	v_cmp_ne_u32_e64 s[0:1], 1, v1
	s_andn2_b64 vcc, exec, s[2:3]
	s_waitcnt lgkmcnt(0)
	s_mov_b32 s33, s22
	s_cbranch_vccnz .LBB65_3
; %bb.2:
	s_load_dword s33, s[22:23], 0x0
.LBB65_3:
	s_and_b64 vcc, exec, s[0:1]
	s_cbranch_vccnz .LBB65_5
; %bb.4:
	s_load_dword s23, s[22:23], 0x4
.LBB65_5:
	s_bitcmp1_b32 s7, 8
	s_cselect_b64 s[34:35], -1, 0
	s_bfe_u32 s0, s7, 0x10008
	s_mov_b32 s76, 0
	s_cmp_eq_u32 s0, 0
	s_mov_b32 s22, 0
	s_cbranch_scc1 .LBB65_11
; %bb.6:
	v_cndmask_b32_e64 v1, 0, 1, s[2:3]
	v_cmp_ne_u32_e64 s[0:1], 1, v1
	s_andn2_b64 vcc, exec, s[2:3]
	s_mov_b32 s22, s48
	s_cbranch_vccnz .LBB65_8
; %bb.7:
	s_load_dword s22, s[48:49], 0x0
.LBB65_8:
	s_and_b64 vcc, exec, s[0:1]
	s_cbranch_vccnz .LBB65_10
; %bb.9:
	s_load_dword s49, s[48:49], 0x4
.LBB65_10:
	s_waitcnt lgkmcnt(0)
	s_mov_b32 s76, s49
.LBB65_11:
	s_load_dword s0, s[8:9], 0x0
	s_mov_b32 s49, 0
	v_cndmask_b32_e64 v1, 0, 1, s[12:13]
	s_waitcnt lgkmcnt(0)
	s_add_i32 s48, s0, s6
	s_lshl_b64 s[0:1], s[48:49], 2
	s_add_u32 s0, s10, s0
	s_addc_u32 s1, s11, s1
	s_load_dword s2, s[0:1], 0x0
	v_cmp_ne_u32_e64 s[0:1], 1, v1
	s_andn2_b64 vcc, exec, s[12:13]
	s_mov_b32 s6, 0
	s_cbranch_vccz .LBB65_14
; %bb.12:
	s_and_b64 vcc, exec, s[0:1]
	s_cbranch_vccz .LBB65_15
.LBB65_13:
	s_load_dword s48, s[4:5], 0x0
	s_waitcnt lgkmcnt(0)
	s_cmp_lt_i32 s48, 1
	s_cbranch_scc0 .LBB65_16
	s_branch .LBB65_69
.LBB65_14:
	s_waitcnt lgkmcnt(0)
	s_ashr_i32 s3, s2, 31
	s_lshl_b64 s[6:7], s[2:3], 2
	s_add_u32 s6, s52, s6
	s_addc_u32 s7, s53, s7
	s_load_dword s3, s[6:7], 0x0
	s_waitcnt lgkmcnt(0)
	s_sub_i32 s6, s3, s28
	s_and_b64 vcc, exec, s[0:1]
	s_cbranch_vccnz .LBB65_13
.LBB65_15:
	s_waitcnt lgkmcnt(0)
	s_ashr_i32 s3, s2, 31
	s_lshl_b64 s[0:1], s[2:3], 2
	s_add_u32 s0, s52, s0
	s_addc_u32 s1, s53, s1
	s_load_dword s0, s[0:1], 0x4
	s_waitcnt lgkmcnt(0)
	s_sub_i32 s49, s0, s28
	s_load_dword s48, s[4:5], 0x0
	s_waitcnt lgkmcnt(0)
	s_cmp_lt_i32 s48, 1
	s_cbranch_scc1 .LBB65_69
.LBB65_16:
	s_ashr_i32 s3, s2, 31
	s_lshl_b64 s[4:5], s[2:3], 2
	s_add_u32 s0, s40, s4
	s_addc_u32 s1, s41, s5
	s_load_dword s2, s[0:1], 0x0
	v_lshrrev_b32_e32 v3, 4, v0
	v_add_u32_e32 v14, s6, v3
	v_cmp_gt_i32_e32 vcc, s49, v14
	v_mbcnt_lo_u32_b32 v4, -1, 0
	s_waitcnt lgkmcnt(0)
	s_sub_i32 s20, s2, s30
	s_add_u32 s40, s50, s4
	s_addc_u32 s41, s51, s5
	v_mbcnt_hi_u32_b32 v4, -1, v4
	s_and_b64 s[50:51], s[12:13], vcc
	v_and_b32_e32 v1, 15, v0
	v_mov_b32_e32 v2, 0
	v_sub_u32_e32 v4, 63, v4
	s_movk_i32 s4, 0x1ff
	s_movk_i32 s8, 0x80
	;; [unrolled: 1-line block ×7, first 2 shown]
	s_add_u32 s77, s58, 4
	s_mov_b32 s80, 0
	v_cmp_eq_u32_e64 s[0:1], 0, v0
	v_cmp_eq_u32_e64 s[2:3], 15, v1
	v_subrev_u32_e32 v15, s31, v0
	v_lshrrev_b64 v[4:5], v4, -1
	v_and_b32_e32 v16, 28, v3
	v_cmp_eq_u32_e64 s[4:5], s4, v0
	v_cmp_gt_u32_e64 s[6:7], 64, v0
	v_cmp_gt_u32_e64 s[8:9], s8, v0
	v_cmp_gt_u32_e64 s[10:11], s10, v0
	v_cmp_gt_u32_e64 s[12:13], s12, v0
	v_cmp_gt_u32_e64 s[14:15], s14, v0
	v_cmp_gt_u32_e64 s[16:17], s16, v0
	v_cmp_gt_u32_e64 s[18:19], s18, v0
	s_addc_u32 s78, s59, 0
	v_or_b32_e32 v17, 0xfffffe00, v0
	v_lshlrev_b32_e32 v18, 3, v0
	v_mov_b32_e32 v21, 0x800
	v_mov_b32_e32 v19, s20
	;; [unrolled: 1-line block ×3, first 2 shown]
	s_movk_i32 s79, 0x5ff
	v_mov_b32_e32 v20, 1
	s_branch .LBB65_18
.LBB65_17:                              ;   in Loop: Header=BB65_18 Depth=1
	s_or_b64 exec, exec, s[20:21]
	ds_read_b32 v6, v2 offset:18432
	s_waitcnt lgkmcnt(0)
	s_barrier
	v_cmp_le_i32_e32 vcc, s48, v6
	v_readfirstlane_b32 s80, v6
	v_add_u32_e32 v21, 0x800, v6
	s_cbranch_vccnz .LBB65_69
.LBB65_18:                              ; =>This Loop Header: Depth=1
                                        ;     Child Loop BB65_19 Depth 2
                                        ;     Child Loop BB65_25 Depth 2
                                        ;       Child Loop BB65_31 Depth 3
                                        ;     Child Loop BB65_48 Depth 2
                                        ;     Child Loop BB65_60 Depth 2
	;; [unrolled: 1-line block ×3, first 2 shown]
	s_mov_b64 s[20:21], 0
	v_mov_b32_e32 v6, v18
	v_mov_b32_e32 v7, v17
.LBB65_19:                              ;   Parent Loop BB65_18 Depth=1
                                        ; =>  This Inner Loop Header: Depth=2
	ds_write_b8 v7, v2 offset:16896
	ds_write_b64 v6, v[2:3]
	v_add_u32_e32 v7, 0x200, v7
	v_cmp_lt_u32_e32 vcc, s79, v7
	s_or_b64 s[20:21], vcc, s[20:21]
	v_add_u32_e32 v6, 0x1000, v6
	s_andn2_b64 exec, exec, s[20:21]
	s_cbranch_execnz .LBB65_19
; %bb.20:                               ;   in Loop: Header=BB65_18 Depth=1
	s_or_b64 exec, exec, s[20:21]
	s_and_saveexec_b64 s[20:21], s[0:1]
	s_cbranch_execz .LBB65_22
; %bb.21:                               ;   in Loop: Header=BB65_18 Depth=1
	v_mov_b32_e32 v6, s48
	ds_write_b32 v2, v6 offset:18432
.LBB65_22:                              ;   in Loop: Header=BB65_18 Depth=1
	s_or_b64 exec, exec, s[20:21]
	v_mov_b32_e32 v22, s48
	s_waitcnt lgkmcnt(0)
	s_barrier
	s_and_saveexec_b64 s[52:53], s[50:51]
	s_cbranch_execz .LBB65_44
; %bb.23:                               ;   in Loop: Header=BB65_18 Depth=1
	s_cmp_lg_u32 s80, 0
	s_mov_b64 s[60:61], 0
	s_cselect_b64 s[62:63], -1, 0
	v_mov_b32_e32 v22, s48
	v_mov_b32_e32 v6, v14
	s_branch .LBB65_25
.LBB65_24:                              ;   in Loop: Header=BB65_25 Depth=2
	s_or_b64 exec, exec, s[20:21]
	v_add_u32_e32 v6, 32, v6
	v_cmp_le_i32_e32 vcc, s49, v6
	s_or_b64 s[60:61], vcc, s[60:61]
	s_andn2_b64 exec, exec, s[60:61]
	s_cbranch_execz .LBB65_43
.LBB65_25:                              ;   Parent Loop BB65_18 Depth=1
                                        ; =>  This Loop Header: Depth=2
                                        ;       Child Loop BB65_31 Depth 3
	v_ashrrev_i32_e32 v7, 31, v6
	v_lshlrev_b64 v[8:9], 2, v[6:7]
	v_mov_b32_e32 v11, s55
	v_add_co_u32_e32 v10, vcc, s54, v8
	v_addc_co_u32_e32 v11, vcc, v11, v9, vcc
	global_load_dword v12, v[10:11], off
	v_lshlrev_b64 v[10:11], 3, v[6:7]
	v_mov_b32_e32 v7, s57
	v_add_co_u32_e32 v10, vcc, s56, v10
	v_addc_co_u32_e32 v11, vcc, v7, v11, vcc
	global_load_dwordx2 v[10:11], v[10:11], off
	s_and_b64 vcc, exec, s[62:63]
	s_waitcnt vmcnt(1)
	v_subrev_u32_e32 v12, s28, v12
	v_ashrrev_i32_e32 v13, 31, v12
	s_cbranch_vccz .LBB65_42
; %bb.26:                               ;   in Loop: Header=BB65_25 Depth=2
	v_mov_b32_e32 v7, s27
	v_add_co_u32_e32 v24, vcc, s26, v8
	v_addc_co_u32_e32 v25, vcc, v7, v9, vcc
	global_load_dword v7, v[24:25], off
	s_cbranch_execnz .LBB65_28
.LBB65_27:                              ;   in Loop: Header=BB65_25 Depth=2
	v_lshlrev_b64 v[24:25], 2, v[12:13]
	s_waitcnt vmcnt(0)
	v_mov_b32_e32 v7, s59
	v_add_co_u32_e32 v24, vcc, s58, v24
	v_addc_co_u32_e32 v25, vcc, v7, v25, vcc
	global_load_dword v7, v[24:25], off
	s_waitcnt vmcnt(0)
	v_subrev_u32_e32 v7, s29, v7
.LBB65_28:                              ;   in Loop: Header=BB65_25 Depth=2
	v_lshlrev_b64 v[12:13], 2, v[12:13]
	v_mov_b32_e32 v23, s78
	v_add_co_u32_e32 v12, vcc, s77, v12
	v_addc_co_u32_e32 v13, vcc, v23, v13, vcc
	global_load_dword v12, v[12:13], off
	s_waitcnt vmcnt(1)
	v_add_u32_e32 v7, v7, v1
	s_waitcnt vmcnt(0)
	v_subrev_u32_e32 v12, s29, v12
	v_cmp_lt_i32_e32 vcc, v7, v12
	s_and_saveexec_b64 s[64:65], vcc
	s_cbranch_execz .LBB65_40
; %bb.29:                               ;   in Loop: Header=BB65_25 Depth=2
	v_mul_f32_e64 v13, v11, -s23
	v_mul_f32_e32 v23, s33, v11
	v_fmac_f32_e32 v13, s33, v10
	v_fmac_f32_e32 v23, s23, v10
	s_mov_b64 s[68:69], 0
	v_mov_b32_e32 v10, v7
                                        ; implicit-def: $sgpr66_sgpr67
                                        ; implicit-def: $sgpr70_sgpr71
	s_branch .LBB65_31
.LBB65_30:                              ;   in Loop: Header=BB65_31 Depth=3
	s_or_b64 exec, exec, s[72:73]
	s_and_b64 s[20:21], exec, s[74:75]
	s_or_b64 s[68:69], s[20:21], s[68:69]
	s_andn2_b64 s[20:21], s[66:67], exec
	s_and_b64 s[66:67], s[70:71], exec
	s_or_b64 s[66:67], s[20:21], s[66:67]
	v_mov_b32_e32 v10, v25
	s_andn2_b64 exec, exec, s[68:69]
	s_cbranch_execz .LBB65_37
.LBB65_31:                              ;   Parent Loop BB65_18 Depth=1
                                        ;     Parent Loop BB65_25 Depth=2
                                        ; =>    This Inner Loop Header: Depth=3
	v_ashrrev_i32_e32 v11, 31, v10
	v_lshlrev_b64 v[24:25], 2, v[10:11]
	v_mov_b32_e32 v26, s45
	v_add_co_u32_e32 v24, vcc, s44, v24
	v_addc_co_u32_e32 v25, vcc, v26, v25, vcc
	global_load_dword v24, v[24:25], off
                                        ; implicit-def: $sgpr72_sgpr73
	s_waitcnt vmcnt(0)
	v_subrev_u32_e32 v24, s29, v24
	v_cmp_gt_i32_e32 vcc, s80, v24
	v_cmp_ge_i32_e64 s[20:21], v24, v21
	s_or_b64 s[74:75], vcc, s[20:21]
	s_mov_b64 s[20:21], 0
	s_and_saveexec_b64 s[82:83], s[74:75]
	s_xor_b64 s[74:75], exec, s[82:83]
; %bb.32:                               ;   in Loop: Header=BB65_31 Depth=3
	v_cmp_lt_i32_e32 vcc, v24, v21
	s_mov_b64 s[72:73], -1
	s_and_b64 s[20:21], vcc, exec
; %bb.33:                               ;   in Loop: Header=BB65_31 Depth=3
	s_andn2_saveexec_b64 s[74:75], s[74:75]
	s_cbranch_execz .LBB65_35
; %bb.34:                               ;   in Loop: Header=BB65_31 Depth=3
	v_lshlrev_b64 v[26:27], 3, v[10:11]
	v_mov_b32_e32 v11, s47
	v_add_co_u32_e32 v26, vcc, s46, v26
	v_addc_co_u32_e32 v27, vcc, v11, v27, vcc
	global_load_dwordx2 v[26:27], v[26:27], off
	v_subrev_u32_e32 v11, s80, v24
	ds_write_b8 v11, v20 offset:16384
	v_lshlrev_b32_e32 v11, 3, v11
	s_or_b64 s[20:21], s[20:21], exec
	s_waitcnt vmcnt(0)
	v_mul_f32_e64 v25, v27, -v23
	v_mul_f32_e32 v27, v13, v27
	v_fmac_f32_e32 v25, v13, v26
	v_fmac_f32_e32 v27, v23, v26
	ds_add_f32 v11, v25
	ds_add_f32 v11, v27 offset:4
.LBB65_35:                              ;   in Loop: Header=BB65_31 Depth=3
	s_or_b64 exec, exec, s[74:75]
	s_andn2_b64 s[70:71], s[70:71], exec
	s_and_b64 s[72:73], s[72:73], exec
	s_mov_b64 s[74:75], -1
	s_or_b64 s[70:71], s[70:71], s[72:73]
	v_mov_b32_e32 v11, v10
                                        ; implicit-def: $vgpr25
	s_and_saveexec_b64 s[72:73], s[20:21]
	s_cbranch_execz .LBB65_30
; %bb.36:                               ;   in Loop: Header=BB65_31 Depth=3
	v_add_u32_e32 v25, 16, v10
	v_cmp_ge_i32_e32 vcc, v25, v12
	s_andn2_b64 s[70:71], s[70:71], exec
	s_orn2_b64 s[74:75], vcc, exec
	v_mov_b32_e32 v11, v10
	s_branch .LBB65_30
.LBB65_37:                              ;   in Loop: Header=BB65_25 Depth=2
	s_or_b64 exec, exec, s[68:69]
	s_and_saveexec_b64 s[20:21], s[66:67]
	s_xor_b64 s[20:21], exec, s[20:21]
; %bb.38:                               ;   in Loop: Header=BB65_25 Depth=2
	v_min_i32_e32 v22, v24, v22
	v_mov_b32_e32 v7, v11
; %bb.39:                               ;   in Loop: Header=BB65_25 Depth=2
	s_or_b64 exec, exec, s[20:21]
.LBB65_40:                              ;   in Loop: Header=BB65_25 Depth=2
	s_or_b64 exec, exec, s[64:65]
	v_mov_b32_dpp v10, v7 row_shr:1 row_mask:0xf bank_mask:0xf
	v_min_i32_e32 v7, v10, v7
	s_nop 1
	v_mov_b32_dpp v10, v7 row_shr:2 row_mask:0xf bank_mask:0xf
	v_min_i32_e32 v7, v10, v7
	s_nop 1
	;; [unrolled: 3-line block ×3, first 2 shown]
	v_mov_b32_dpp v10, v7 row_shr:8 row_mask:0xf bank_mask:0xc
	s_and_saveexec_b64 s[20:21], s[2:3]
	s_cbranch_execz .LBB65_24
; %bb.41:                               ;   in Loop: Header=BB65_25 Depth=2
	v_min_i32_e32 v7, v10, v7
	v_mov_b32_e32 v10, s27
	v_add_co_u32_e32 v8, vcc, s26, v8
	v_addc_co_u32_e32 v9, vcc, v10, v9, vcc
	global_store_dword v[8:9], v7, off
	s_branch .LBB65_24
.LBB65_42:                              ;   in Loop: Header=BB65_25 Depth=2
                                        ; implicit-def: $vgpr7
	s_branch .LBB65_27
.LBB65_43:                              ;   in Loop: Header=BB65_18 Depth=1
	s_or_b64 exec, exec, s[60:61]
.LBB65_44:                              ;   in Loop: Header=BB65_18 Depth=1
	s_or_b64 exec, exec, s[52:53]
	s_andn2_b64 vcc, exec, s[34:35]
	s_cbranch_vccnz .LBB65_58
; %bb.45:                               ;   in Loop: Header=BB65_18 Depth=1
	s_load_dwordx2 s[20:21], s[40:41], 0x0
	s_waitcnt lgkmcnt(0)
	s_sub_i32 s70, s21, s31
	v_add_u32_e32 v6, s20, v15
	v_cmp_gt_i32_e32 vcc, s70, v6
	s_and_saveexec_b64 s[52:53], vcc
	s_cbranch_execz .LBB65_57
; %bb.46:                               ;   in Loop: Header=BB65_18 Depth=1
	s_mov_b64 s[60:61], 0
                                        ; implicit-def: $sgpr62_sgpr63
                                        ; implicit-def: $sgpr64_sgpr65
	s_branch .LBB65_48
.LBB65_47:                              ;   in Loop: Header=BB65_48 Depth=2
	s_or_b64 exec, exec, s[66:67]
	s_and_b64 s[20:21], exec, s[68:69]
	s_or_b64 s[60:61], s[20:21], s[60:61]
	s_andn2_b64 s[20:21], s[62:63], exec
	s_and_b64 s[62:63], s[64:65], exec
	s_or_b64 s[62:63], s[20:21], s[62:63]
	s_andn2_b64 exec, exec, s[60:61]
	s_cbranch_execz .LBB65_54
.LBB65_48:                              ;   Parent Loop BB65_18 Depth=1
                                        ; =>  This Inner Loop Header: Depth=2
	v_ashrrev_i32_e32 v7, 31, v6
	v_lshlrev_b64 v[8:9], 2, v[6:7]
	v_mov_b32_e32 v10, s37
	v_add_co_u32_e32 v8, vcc, s36, v8
	v_addc_co_u32_e32 v9, vcc, v10, v9, vcc
	global_load_dword v8, v[8:9], off
                                        ; implicit-def: $sgpr66_sgpr67
	s_waitcnt vmcnt(0)
	v_subrev_u32_e32 v8, s31, v8
	v_cmp_gt_i32_e32 vcc, s80, v8
	v_cmp_ge_i32_e64 s[20:21], v8, v21
	s_or_b64 s[68:69], vcc, s[20:21]
	s_mov_b64 s[20:21], 0
	s_and_saveexec_b64 s[72:73], s[68:69]
	s_xor_b64 s[68:69], exec, s[72:73]
; %bb.49:                               ;   in Loop: Header=BB65_48 Depth=2
	v_cmp_lt_i32_e32 vcc, v8, v21
	s_mov_b64 s[66:67], -1
	s_and_b64 s[20:21], vcc, exec
; %bb.50:                               ;   in Loop: Header=BB65_48 Depth=2
	s_andn2_saveexec_b64 s[68:69], s[68:69]
	s_cbranch_execz .LBB65_52
; %bb.51:                               ;   in Loop: Header=BB65_48 Depth=2
	v_lshlrev_b64 v[10:11], 3, v[6:7]
	v_mov_b32_e32 v7, s39
	v_add_co_u32_e32 v10, vcc, s38, v10
	v_addc_co_u32_e32 v11, vcc, v7, v11, vcc
	global_load_dwordx2 v[10:11], v[10:11], off
	v_subrev_u32_e32 v7, s80, v8
	ds_write_b8 v7, v20 offset:16384
	v_lshlrev_b32_e32 v7, 3, v7
	s_or_b64 s[20:21], s[20:21], exec
	s_waitcnt vmcnt(0)
	v_mul_f32_e64 v9, v11, -s76
	v_mul_f32_e32 v11, s22, v11
	v_fmac_f32_e32 v9, s22, v10
	v_fmac_f32_e32 v11, s76, v10
	ds_add_f32 v7, v9
	ds_add_f32 v7, v11 offset:4
.LBB65_52:                              ;   in Loop: Header=BB65_48 Depth=2
	s_or_b64 exec, exec, s[68:69]
	s_andn2_b64 s[64:65], s[64:65], exec
	s_and_b64 s[66:67], s[66:67], exec
	s_mov_b64 s[68:69], -1
	s_or_b64 s[64:65], s[64:65], s[66:67]
	s_and_saveexec_b64 s[66:67], s[20:21]
	s_cbranch_execz .LBB65_47
; %bb.53:                               ;   in Loop: Header=BB65_48 Depth=2
	v_add_u32_e32 v6, 0x200, v6
	v_cmp_le_i32_e32 vcc, s70, v6
	s_andn2_b64 s[64:65], s[64:65], exec
	s_orn2_b64 s[68:69], vcc, exec
	s_branch .LBB65_47
.LBB65_54:                              ;   in Loop: Header=BB65_18 Depth=1
	s_or_b64 exec, exec, s[60:61]
	s_and_saveexec_b64 s[20:21], s[62:63]
	s_xor_b64 s[20:21], exec, s[20:21]
; %bb.55:                               ;   in Loop: Header=BB65_18 Depth=1
	v_min_i32_e32 v22, v8, v22
; %bb.56:                               ;   in Loop: Header=BB65_18 Depth=1
	s_or_b64 exec, exec, s[20:21]
.LBB65_57:                              ;   in Loop: Header=BB65_18 Depth=1
	s_or_b64 exec, exec, s[52:53]
.LBB65_58:                              ;   in Loop: Header=BB65_18 Depth=1
	v_mov_b32_dpp v6, v22 row_shr:1 row_mask:0xf bank_mask:0xf
	v_min_i32_e32 v6, v6, v22
	s_nop 1
	v_mov_b32_dpp v7, v6 row_shr:2 row_mask:0xf bank_mask:0xf
	v_min_i32_e32 v6, v7, v6
	s_nop 1
	;; [unrolled: 3-line block ×3, first 2 shown]
	v_mov_b32_dpp v7, v6 row_shr:8 row_mask:0xf bank_mask:0xc
	s_and_saveexec_b64 s[20:21], s[2:3]
	s_cbranch_execz .LBB65_63
; %bb.59:                               ;   in Loop: Header=BB65_18 Depth=1
	s_mov_b64 s[52:53], exec
	v_min_i32_e32 v6, v7, v6
	s_brev_b32 s60, -2
.LBB65_60:                              ;   Parent Loop BB65_18 Depth=1
                                        ; =>  This Inner Loop Header: Depth=2
	s_ff1_i32_b64 s61, s[52:53]
	v_readlane_b32 s64, v6, s61
	s_lshl_b64 s[62:63], 1, s61
	s_min_i32 s60, s60, s64
	s_andn2_b64 s[52:53], s[52:53], s[62:63]
	s_cmp_lg_u64 s[52:53], 0
	s_cbranch_scc1 .LBB65_60
; %bb.61:                               ;   in Loop: Header=BB65_18 Depth=1
	v_mbcnt_lo_u32_b32 v6, exec_lo, 0
	v_mbcnt_hi_u32_b32 v6, exec_hi, v6
	v_cmp_eq_u32_e32 vcc, 0, v6
	s_and_saveexec_b64 s[52:53], vcc
	s_xor_b64 s[52:53], exec, s[52:53]
	s_cbranch_execz .LBB65_63
; %bb.62:                               ;   in Loop: Header=BB65_18 Depth=1
	v_mov_b32_e32 v6, s60
	ds_min_i32 v2, v6 offset:18432
.LBB65_63:                              ;   in Loop: Header=BB65_18 Depth=1
	s_or_b64 exec, exec, s[20:21]
	s_add_i32 s60, s30, s80
	s_mov_b64 s[20:21], 0
	v_mov_b32_e32 v8, v18
	v_mov_b32_e32 v9, v0
	s_waitcnt lgkmcnt(0)
	s_barrier
	s_branch .LBB65_65
.LBB65_64:                              ;   in Loop: Header=BB65_65 Depth=2
	s_or_b64 exec, exec, s[52:53]
	s_waitcnt lgkmcnt(0)
	s_barrier
	ds_read_b32 v6, v2 offset:28
	v_add_u32_e32 v7, 0x200, v9
	v_cmp_lt_u32_e32 vcc, s79, v9
	v_add_u32_e32 v8, 0x1000, v8
	s_or_b64 s[20:21], vcc, s[20:21]
	s_waitcnt lgkmcnt(0)
	v_add_u32_e32 v19, v6, v19
	v_mov_b32_e32 v9, v7
	s_andn2_b64 exec, exec, s[20:21]
	s_cbranch_execz .LBB65_17
.LBB65_65:                              ;   Parent Loop BB65_18 Depth=1
                                        ; =>  This Inner Loop Header: Depth=2
	ds_read_u8 v21, v9 offset:16384
	ds_read_b64 v[6:7], v8
	s_waitcnt lgkmcnt(0)
	s_barrier
	v_cmp_ne_u16_e32 vcc, 0, v21
	s_bcnt1_i32_b64 s52, vcc
	v_mov_b32_e32 v10, s52
	ds_write_b32 v16, v10
	s_waitcnt lgkmcnt(0)
	s_barrier
	ds_read_b128 v[10:13], v2
	v_and_b32_e32 v23, vcc_lo, v4
	v_and_b32_e32 v22, vcc_hi, v5
	v_bcnt_u32_b32 v23, v23, 0
	v_bcnt_u32_b32 v25, v22, v23
	ds_read_b96 v[22:24], v2 offset:16
	s_waitcnt lgkmcnt(1)
	v_cndmask_b32_e64 v10, v10, 0, s[6:7]
	v_add_u32_e32 v10, v10, v25
	v_cndmask_b32_e64 v11, v11, 0, s[8:9]
	v_cndmask_b32_e64 v12, v12, 0, s[10:11]
	v_add3_u32 v10, v10, v11, v12
	v_cndmask_b32_e64 v11, v13, 0, s[12:13]
	s_waitcnt lgkmcnt(0)
	v_cndmask_b32_e64 v12, v22, 0, s[14:15]
	v_add3_u32 v10, v10, v11, v12
	v_cndmask_b32_e64 v11, v23, 0, s[16:17]
	v_cndmask_b32_e64 v12, v24, 0, s[18:19]
	v_add3_u32 v10, v10, v11, v12
	v_and_b32_e32 v11, 1, v21
	v_cmp_eq_u32_e32 vcc, 1, v11
	s_and_saveexec_b64 s[52:53], vcc
	s_cbranch_execz .LBB65_67
; %bb.66:                               ;   in Loop: Header=BB65_65 Depth=2
	v_add3_u32 v12, v19, v10, -1
	v_ashrrev_i32_e32 v13, 31, v12
	v_lshlrev_b64 v[22:23], 2, v[12:13]
	v_mov_b32_e32 v21, s43
	v_add_co_u32_e32 v22, vcc, s42, v22
	v_addc_co_u32_e32 v23, vcc, v21, v23, vcc
	v_lshlrev_b64 v[12:13], 3, v[12:13]
	v_add_u32_e32 v11, s60, v9
	v_mov_b32_e32 v21, s25
	v_add_co_u32_e32 v12, vcc, s24, v12
	v_addc_co_u32_e32 v13, vcc, v21, v13, vcc
	global_store_dword v[22:23], v11, off
	global_store_dwordx2 v[12:13], v[6:7], off
.LBB65_67:                              ;   in Loop: Header=BB65_65 Depth=2
	s_or_b64 exec, exec, s[52:53]
	s_and_saveexec_b64 s[52:53], s[4:5]
	s_cbranch_execz .LBB65_64
; %bb.68:                               ;   in Loop: Header=BB65_65 Depth=2
	ds_write_b32 v2, v10 offset:28
	s_branch .LBB65_64
.LBB65_69:
	s_endpgm
	.section	.rodata,"a",@progbits
	.p2align	6, 0x0
	.amdhsa_kernel _ZN9rocsparseL36csrgemm_fill_block_per_row_multipassILj512ELj16ELj2048ELj64Eii21rocsparse_complex_numIfEEEvT4_PKS3_S5_NS_24const_host_device_scalarIT5_EEPKT3_S5_PKS7_SB_S5_SD_S8_SB_S5_SD_SB_PS3_PS7_PS9_21rocsparse_index_base_SH_SH_SH_bbb
		.amdhsa_group_segment_fixed_size 18436
		.amdhsa_private_segment_fixed_size 0
		.amdhsa_kernarg_size 164
		.amdhsa_user_sgpr_count 6
		.amdhsa_user_sgpr_private_segment_buffer 1
		.amdhsa_user_sgpr_dispatch_ptr 0
		.amdhsa_user_sgpr_queue_ptr 0
		.amdhsa_user_sgpr_kernarg_segment_ptr 1
		.amdhsa_user_sgpr_dispatch_id 0
		.amdhsa_user_sgpr_flat_scratch_init 0
		.amdhsa_user_sgpr_kernarg_preload_length 0
		.amdhsa_user_sgpr_kernarg_preload_offset 0
		.amdhsa_user_sgpr_private_segment_size 0
		.amdhsa_uses_dynamic_stack 0
		.amdhsa_system_sgpr_private_segment_wavefront_offset 0
		.amdhsa_system_sgpr_workgroup_id_x 1
		.amdhsa_system_sgpr_workgroup_id_y 0
		.amdhsa_system_sgpr_workgroup_id_z 0
		.amdhsa_system_sgpr_workgroup_info 0
		.amdhsa_system_vgpr_workitem_id 0
		.amdhsa_next_free_vgpr 28
		.amdhsa_next_free_sgpr 84
		.amdhsa_accum_offset 28
		.amdhsa_reserve_vcc 1
		.amdhsa_reserve_flat_scratch 0
		.amdhsa_float_round_mode_32 0
		.amdhsa_float_round_mode_16_64 0
		.amdhsa_float_denorm_mode_32 3
		.amdhsa_float_denorm_mode_16_64 3
		.amdhsa_dx10_clamp 1
		.amdhsa_ieee_mode 1
		.amdhsa_fp16_overflow 0
		.amdhsa_tg_split 0
		.amdhsa_exception_fp_ieee_invalid_op 0
		.amdhsa_exception_fp_denorm_src 0
		.amdhsa_exception_fp_ieee_div_zero 0
		.amdhsa_exception_fp_ieee_overflow 0
		.amdhsa_exception_fp_ieee_underflow 0
		.amdhsa_exception_fp_ieee_inexact 0
		.amdhsa_exception_int_div_zero 0
	.end_amdhsa_kernel
	.section	.text._ZN9rocsparseL36csrgemm_fill_block_per_row_multipassILj512ELj16ELj2048ELj64Eii21rocsparse_complex_numIfEEEvT4_PKS3_S5_NS_24const_host_device_scalarIT5_EEPKT3_S5_PKS7_SB_S5_SD_S8_SB_S5_SD_SB_PS3_PS7_PS9_21rocsparse_index_base_SH_SH_SH_bbb,"axG",@progbits,_ZN9rocsparseL36csrgemm_fill_block_per_row_multipassILj512ELj16ELj2048ELj64Eii21rocsparse_complex_numIfEEEvT4_PKS3_S5_NS_24const_host_device_scalarIT5_EEPKT3_S5_PKS7_SB_S5_SD_S8_SB_S5_SD_SB_PS3_PS7_PS9_21rocsparse_index_base_SH_SH_SH_bbb,comdat
.Lfunc_end65:
	.size	_ZN9rocsparseL36csrgemm_fill_block_per_row_multipassILj512ELj16ELj2048ELj64Eii21rocsparse_complex_numIfEEEvT4_PKS3_S5_NS_24const_host_device_scalarIT5_EEPKT3_S5_PKS7_SB_S5_SD_S8_SB_S5_SD_SB_PS3_PS7_PS9_21rocsparse_index_base_SH_SH_SH_bbb, .Lfunc_end65-_ZN9rocsparseL36csrgemm_fill_block_per_row_multipassILj512ELj16ELj2048ELj64Eii21rocsparse_complex_numIfEEEvT4_PKS3_S5_NS_24const_host_device_scalarIT5_EEPKT3_S5_PKS7_SB_S5_SD_S8_SB_S5_SD_SB_PS3_PS7_PS9_21rocsparse_index_base_SH_SH_SH_bbb
                                        ; -- End function
	.section	.AMDGPU.csdata,"",@progbits
; Kernel info:
; codeLenInByte = 2412
; NumSgprs: 88
; NumVgprs: 28
; NumAgprs: 0
; TotalNumVgprs: 28
; ScratchSize: 0
; MemoryBound: 0
; FloatMode: 240
; IeeeMode: 1
; LDSByteSize: 18436 bytes/workgroup (compile time only)
; SGPRBlocks: 10
; VGPRBlocks: 3
; NumSGPRsForWavesPerEU: 88
; NumVGPRsForWavesPerEU: 28
; AccumOffset: 28
; Occupancy: 6
; WaveLimiterHint : 1
; COMPUTE_PGM_RSRC2:SCRATCH_EN: 0
; COMPUTE_PGM_RSRC2:USER_SGPR: 6
; COMPUTE_PGM_RSRC2:TRAP_HANDLER: 0
; COMPUTE_PGM_RSRC2:TGID_X_EN: 1
; COMPUTE_PGM_RSRC2:TGID_Y_EN: 0
; COMPUTE_PGM_RSRC2:TGID_Z_EN: 0
; COMPUTE_PGM_RSRC2:TIDIG_COMP_CNT: 0
; COMPUTE_PGM_RSRC3_GFX90A:ACCUM_OFFSET: 6
; COMPUTE_PGM_RSRC3_GFX90A:TG_SPLIT: 0
	.section	.text._ZN9rocsparseL26csrgemm_group_reduce_part2ILj256ELj11E21rocsparse_complex_numIdEiiEEvT3_PKT2_PS3_Pij,"axG",@progbits,_ZN9rocsparseL26csrgemm_group_reduce_part2ILj256ELj11E21rocsparse_complex_numIdEiiEEvT3_PKT2_PS3_Pij,comdat
	.globl	_ZN9rocsparseL26csrgemm_group_reduce_part2ILj256ELj11E21rocsparse_complex_numIdEiiEEvT3_PKT2_PS3_Pij ; -- Begin function _ZN9rocsparseL26csrgemm_group_reduce_part2ILj256ELj11E21rocsparse_complex_numIdEiiEEvT3_PKT2_PS3_Pij
	.p2align	8
	.type	_ZN9rocsparseL26csrgemm_group_reduce_part2ILj256ELj11E21rocsparse_complex_numIdEiiEEvT3_PKT2_PS3_Pij,@function
_ZN9rocsparseL26csrgemm_group_reduce_part2ILj256ELj11E21rocsparse_complex_numIdEiiEEvT3_PKT2_PS3_Pij: ; @_ZN9rocsparseL26csrgemm_group_reduce_part2ILj256ELj11E21rocsparse_complex_numIdEiiEEvT3_PKT2_PS3_Pij
; %bb.0:
	s_load_dword s7, s[4:5], 0x0
	s_load_dwordx2 s[0:1], s[4:5], 0x10
	v_mul_u32_u24_e32 v1, 11, v0
	v_lshl_or_b32 v2, s6, 8, v0
	v_lshlrev_b32_e32 v1, 2, v1
	v_mov_b32_e32 v6, 0
	s_waitcnt lgkmcnt(0)
	v_cmp_gt_i32_e32 vcc, s7, v2
	ds_write2_b32 v1, v6, v6 offset1:1
	ds_write2_b32 v1, v6, v6 offset0:2 offset1:3
	ds_write2_b32 v1, v6, v6 offset0:4 offset1:5
	;; [unrolled: 1-line block ×4, first 2 shown]
	ds_write_b32 v1, v6 offset:40
	s_waitcnt lgkmcnt(0)
	s_and_saveexec_b64 s[2:3], vcc
	s_cbranch_execz .LBB66_43
; %bb.1:
	s_load_dword s18, s[4:5], 0x20
	s_load_dwordx2 s[8:9], s[4:5], 0x8
	s_load_dwordx2 s[10:11], s[4:5], 0x18
	s_load_dword s20, s[4:5], 0x28
	s_mov_b64 s[4:5], 0
	s_waitcnt lgkmcnt(0)
	s_cmp_lt_u32 s18, 0x14084
	s_cselect_b64 s[12:13], -1, 0
	s_cmp_lt_u32 s18, 0x28084
	s_cselect_b64 s[14:15], -1, 0
	;; [unrolled: 2-line block ×4, first 2 shown]
	s_lshl_b32 s33, s20, 8
	v_mov_b32_e32 v7, s9
	s_movk_i32 s9, 0x100
	s_movk_i32 s42, 0x200
	;; [unrolled: 1-line block ×5, first 2 shown]
	s_xor_b64 s[12:13], s[12:13], -1
	v_mov_b32_e32 v8, 6
	s_movk_i32 s46, 0x2001
	s_xor_b64 s[14:15], s[14:15], -1
	v_mov_b32_e32 v9, 7
	s_movk_i32 s47, 0x4001
	s_xor_b64 s[16:17], s[16:17], -1
	v_mov_b32_e32 v10, 8
	s_mov_b32 s48, 0x8001
	s_xor_b64 s[18:19], s[18:19], -1
	v_mov_b32_e32 v11, 9
	v_mov_b32_e32 v12, 10
	;; [unrolled: 1-line block ×7, first 2 shown]
	s_branch .LBB66_3
.LBB66_2:                               ;   in Loop: Header=BB66_3 Depth=1
	s_or_b64 exec, exec, s[20:21]
	v_add_u32_e32 v2, s33, v2
	v_cmp_le_i32_e32 vcc, s7, v2
	s_or_b64 s[4:5], vcc, s[4:5]
	s_andn2_b64 exec, exec, s[4:5]
	s_cbranch_execz .LBB66_43
.LBB66_3:                               ; =>This Inner Loop Header: Depth=1
	v_ashrrev_i32_e32 v3, 31, v2
	v_lshlrev_b64 v[4:5], 2, v[2:3]
	v_add_co_u32_e32 v18, vcc, s8, v4
	v_addc_co_u32_e32 v19, vcc, v7, v5, vcc
	global_load_dwordx2 v[18:19], v[18:19], off
	s_waitcnt vmcnt(0)
	v_sub_u32_e32 v3, v19, v18
	v_cmp_lt_i32_e32 vcc, 16, v3
	s_and_saveexec_b64 s[20:21], vcc
	s_xor_b64 s[20:21], exec, s[20:21]
	s_cbranch_execz .LBB66_41
; %bb.4:                                ;   in Loop: Header=BB66_3 Depth=1
	v_cmp_lt_u32_e32 vcc, 32, v3
	s_and_saveexec_b64 s[22:23], vcc
	s_xor_b64 s[22:23], exec, s[22:23]
	s_cbranch_execz .LBB66_38
; %bb.5:                                ;   in Loop: Header=BB66_3 Depth=1
	v_cmp_lt_u32_e32 vcc, s9, v3
	;; [unrolled: 5-line block ×5, first 2 shown]
	s_and_saveexec_b64 s[30:31], vcc
	s_xor_b64 s[30:31], exec, s[30:31]
	s_cbranch_execz .LBB66_26
; %bb.9:                                ;   in Loop: Header=BB66_3 Depth=1
	v_cmp_gt_u32_e32 vcc, s45, v3
	s_and_b64 s[34:35], s[12:13], vcc
	s_and_saveexec_b64 s[36:37], s[34:35]
	s_xor_b64 s[34:35], exec, s[36:37]
	s_cbranch_execz .LBB66_11
; %bb.10:                               ;   in Loop: Header=BB66_3 Depth=1
	ds_read_b32 v3, v1 offset:24
	v_mov_b32_e32 v18, s11
	v_add_co_u32_e32 v4, vcc, s10, v4
	v_addc_co_u32_e32 v5, vcc, v18, v5, vcc
	s_waitcnt lgkmcnt(0)
	v_add_u32_e32 v3, 1, v3
	ds_write_b32 v1, v3 offset:24
	global_store_dword v[4:5], v8, off
                                        ; implicit-def: $vgpr3
                                        ; implicit-def: $vgpr4_vgpr5
.LBB66_11:                              ;   in Loop: Header=BB66_3 Depth=1
	s_andn2_saveexec_b64 s[34:35], s[34:35]
	s_cbranch_execz .LBB66_25
; %bb.12:                               ;   in Loop: Header=BB66_3 Depth=1
	v_cmp_gt_u32_e32 vcc, s46, v3
	s_and_b64 s[36:37], s[14:15], vcc
	s_and_saveexec_b64 s[38:39], s[36:37]
	s_xor_b64 s[36:37], exec, s[38:39]
	s_cbranch_execz .LBB66_14
; %bb.13:                               ;   in Loop: Header=BB66_3 Depth=1
	ds_read_b32 v3, v1 offset:28
	v_mov_b32_e32 v18, s11
	v_add_co_u32_e32 v4, vcc, s10, v4
	v_addc_co_u32_e32 v5, vcc, v18, v5, vcc
	s_waitcnt lgkmcnt(0)
	v_add_u32_e32 v3, 1, v3
	ds_write_b32 v1, v3 offset:28
	global_store_dword v[4:5], v9, off
                                        ; implicit-def: $vgpr3
                                        ; implicit-def: $vgpr4_vgpr5
.LBB66_14:                              ;   in Loop: Header=BB66_3 Depth=1
	s_andn2_saveexec_b64 s[36:37], s[36:37]
	s_cbranch_execz .LBB66_24
; %bb.15:                               ;   in Loop: Header=BB66_3 Depth=1
	;; [unrolled: 20-line block ×3, first 2 shown]
	v_cmp_gt_u32_e32 vcc, s48, v3
	s_and_b64 s[40:41], s[18:19], vcc
	v_mov_b32_e32 v3, s11
	v_add_co_u32_e32 v4, vcc, s10, v4
	v_addc_co_u32_e32 v5, vcc, v3, v5, vcc
	s_and_saveexec_b64 s[50:51], s[40:41]
	s_xor_b64 s[40:41], exec, s[50:51]
	s_cbranch_execz .LBB66_20
; %bb.19:                               ;   in Loop: Header=BB66_3 Depth=1
	ds_read_b32 v3, v1 offset:36
	global_store_dword v[4:5], v11, off
                                        ; implicit-def: $vgpr4_vgpr5
	s_waitcnt lgkmcnt(0)
	v_add_u32_e32 v3, 1, v3
	ds_write_b32 v1, v3 offset:36
.LBB66_20:                              ;   in Loop: Header=BB66_3 Depth=1
	s_andn2_saveexec_b64 s[40:41], s[40:41]
	s_cbranch_execz .LBB66_22
; %bb.21:                               ;   in Loop: Header=BB66_3 Depth=1
	ds_read_b32 v3, v1 offset:40
	global_store_dword v[4:5], v12, off
	s_waitcnt lgkmcnt(0)
	v_add_u32_e32 v3, 1, v3
	ds_write_b32 v1, v3 offset:40
.LBB66_22:                              ;   in Loop: Header=BB66_3 Depth=1
	s_or_b64 exec, exec, s[40:41]
.LBB66_23:                              ;   in Loop: Header=BB66_3 Depth=1
	s_or_b64 exec, exec, s[38:39]
.LBB66_24:                              ;   in Loop: Header=BB66_3 Depth=1
	s_or_b64 exec, exec, s[36:37]
.LBB66_25:                              ;   in Loop: Header=BB66_3 Depth=1
	s_or_b64 exec, exec, s[34:35]
                                        ; implicit-def: $vgpr4_vgpr5
.LBB66_26:                              ;   in Loop: Header=BB66_3 Depth=1
	s_andn2_saveexec_b64 s[30:31], s[30:31]
	s_cbranch_execz .LBB66_28
; %bb.27:                               ;   in Loop: Header=BB66_3 Depth=1
	ds_read_b32 v3, v1 offset:20
	v_mov_b32_e32 v18, s11
	v_add_co_u32_e32 v4, vcc, s10, v4
	v_addc_co_u32_e32 v5, vcc, v18, v5, vcc
	s_waitcnt lgkmcnt(0)
	v_add_u32_e32 v3, 1, v3
	ds_write_b32 v1, v3 offset:20
	global_store_dword v[4:5], v13, off
.LBB66_28:                              ;   in Loop: Header=BB66_3 Depth=1
	s_or_b64 exec, exec, s[30:31]
                                        ; implicit-def: $vgpr4_vgpr5
.LBB66_29:                              ;   in Loop: Header=BB66_3 Depth=1
	s_andn2_saveexec_b64 s[28:29], s[28:29]
	s_cbranch_execz .LBB66_31
; %bb.30:                               ;   in Loop: Header=BB66_3 Depth=1
	ds_read_b32 v3, v1 offset:16
	v_mov_b32_e32 v18, s11
	v_add_co_u32_e32 v4, vcc, s10, v4
	v_addc_co_u32_e32 v5, vcc, v18, v5, vcc
	s_waitcnt lgkmcnt(0)
	v_add_u32_e32 v3, 1, v3
	ds_write_b32 v1, v3 offset:16
	global_store_dword v[4:5], v14, off
.LBB66_31:                              ;   in Loop: Header=BB66_3 Depth=1
	s_or_b64 exec, exec, s[28:29]
                                        ; implicit-def: $vgpr4_vgpr5
.LBB66_32:                              ;   in Loop: Header=BB66_3 Depth=1
	s_andn2_saveexec_b64 s[26:27], s[26:27]
	s_cbranch_execz .LBB66_34
; %bb.33:                               ;   in Loop: Header=BB66_3 Depth=1
	ds_read_b32 v3, v1 offset:12
	v_mov_b32_e32 v18, s11
	v_add_co_u32_e32 v4, vcc, s10, v4
	v_addc_co_u32_e32 v5, vcc, v18, v5, vcc
	s_waitcnt lgkmcnt(0)
	v_add_u32_e32 v3, 1, v3
	ds_write_b32 v1, v3 offset:12
	global_store_dword v[4:5], v15, off
.LBB66_34:                              ;   in Loop: Header=BB66_3 Depth=1
	s_or_b64 exec, exec, s[26:27]
                                        ; implicit-def: $vgpr4_vgpr5
.LBB66_35:                              ;   in Loop: Header=BB66_3 Depth=1
	s_andn2_saveexec_b64 s[24:25], s[24:25]
	s_cbranch_execz .LBB66_37
; %bb.36:                               ;   in Loop: Header=BB66_3 Depth=1
	ds_read_b32 v3, v1 offset:8
	v_mov_b32_e32 v18, s11
	v_add_co_u32_e32 v4, vcc, s10, v4
	v_addc_co_u32_e32 v5, vcc, v18, v5, vcc
	s_waitcnt lgkmcnt(0)
	v_add_u32_e32 v3, 1, v3
	ds_write_b32 v1, v3 offset:8
	global_store_dword v[4:5], v16, off
.LBB66_37:                              ;   in Loop: Header=BB66_3 Depth=1
	s_or_b64 exec, exec, s[24:25]
                                        ; implicit-def: $vgpr4_vgpr5
.LBB66_38:                              ;   in Loop: Header=BB66_3 Depth=1
	s_andn2_saveexec_b64 s[22:23], s[22:23]
	s_cbranch_execz .LBB66_40
; %bb.39:                               ;   in Loop: Header=BB66_3 Depth=1
	ds_read_b32 v3, v1 offset:4
	v_mov_b32_e32 v18, s11
	v_add_co_u32_e32 v4, vcc, s10, v4
	v_addc_co_u32_e32 v5, vcc, v18, v5, vcc
	s_waitcnt lgkmcnt(0)
	v_add_u32_e32 v3, 1, v3
	ds_write_b32 v1, v3 offset:4
	global_store_dword v[4:5], v17, off
.LBB66_40:                              ;   in Loop: Header=BB66_3 Depth=1
	s_or_b64 exec, exec, s[22:23]
                                        ; implicit-def: $vgpr4_vgpr5
.LBB66_41:                              ;   in Loop: Header=BB66_3 Depth=1
	s_andn2_saveexec_b64 s[20:21], s[20:21]
	s_cbranch_execz .LBB66_2
; %bb.42:                               ;   in Loop: Header=BB66_3 Depth=1
	ds_read_b32 v3, v1
	v_mov_b32_e32 v18, s11
	v_add_co_u32_e32 v4, vcc, s10, v4
	v_addc_co_u32_e32 v5, vcc, v18, v5, vcc
	s_waitcnt lgkmcnt(0)
	v_add_u32_e32 v3, 1, v3
	ds_write_b32 v1, v3
	global_store_dword v[4:5], v6, off
	s_branch .LBB66_2
.LBB66_43:
	s_or_b64 exec, exec, s[2:3]
	s_movk_i32 s2, 0x80
	v_cmp_gt_u32_e32 vcc, s2, v0
	s_waitcnt lgkmcnt(0)
	s_barrier
	s_barrier
	;; [unrolled: 1-line block ×3, first 2 shown]
	s_and_saveexec_b64 s[2:3], vcc
	s_cbranch_execz .LBB66_45
; %bb.44:
	v_add_u32_e32 v2, 0x1600, v1
	v_add_u32_e32 v4, 0x1608, v1
	;; [unrolled: 1-line block ×3, first 2 shown]
	ds_read2_b32 v[2:3], v2 offset1:1
	ds_read2_b32 v[4:5], v4 offset1:1
	ds_read2_b32 v[6:7], v6 offset1:1
	ds_read2_b32 v[8:9], v1 offset1:1
	ds_read2_b32 v[10:11], v1 offset0:2 offset1:3
	ds_read2_b32 v[12:13], v1 offset0:4 offset1:5
	;; [unrolled: 1-line block ×4, first 2 shown]
	s_waitcnt lgkmcnt(4)
	v_add_u32_e32 v3, v9, v3
	v_add_u32_e32 v2, v8, v2
	ds_write2_b32 v1, v2, v3 offset1:1
	s_waitcnt lgkmcnt(4)
	v_add_u32_e32 v2, v11, v5
	v_add_u32_e32 v3, v10, v4
	ds_write2_b32 v1, v3, v2 offset0:2 offset1:3
	v_add_u32_e32 v2, 0x1618, v1
	ds_read2_b32 v[2:3], v2 offset1:1
	s_waitcnt lgkmcnt(5)
	v_add_u32_e32 v4, v13, v7
	v_add_u32_e32 v5, v12, v6
	ds_write2_b32 v1, v5, v4 offset0:4 offset1:5
	v_add_u32_e32 v4, 0x1620, v1
	ds_read2_b32 v[4:5], v4 offset1:1
	s_waitcnt lgkmcnt(2)
	v_add_u32_e32 v7, v14, v2
	v_add_u32_e32 v2, 40, v1
	;; [unrolled: 1-line block ×3, first 2 shown]
	ds_read2st64_b32 v[2:3], v2 offset1:22
	s_waitcnt lgkmcnt(1)
	v_add_u32_e32 v5, v17, v5
	v_add_u32_e32 v4, v16, v4
	ds_write2_b32 v1, v7, v6 offset0:6 offset1:7
	ds_write2_b32 v1, v4, v5 offset0:8 offset1:9
	s_waitcnt lgkmcnt(2)
	v_add_u32_e32 v2, v2, v3
	ds_write_b32 v1, v2 offset:40
.LBB66_45:
	s_or_b64 exec, exec, s[2:3]
	v_cmp_gt_u32_e32 vcc, 64, v0
	s_waitcnt lgkmcnt(0)
	s_barrier
	s_and_saveexec_b64 s[2:3], vcc
	s_cbranch_execz .LBB66_47
; %bb.46:
	v_add_u32_e32 v2, 0xb00, v1
	v_add_u32_e32 v4, 0xb08, v1
	;; [unrolled: 1-line block ×3, first 2 shown]
	ds_read2_b32 v[2:3], v2 offset1:1
	ds_read2_b32 v[4:5], v4 offset1:1
	;; [unrolled: 1-line block ×4, first 2 shown]
	ds_read2_b32 v[10:11], v1 offset0:2 offset1:3
	ds_read2_b32 v[12:13], v1 offset0:4 offset1:5
	;; [unrolled: 1-line block ×4, first 2 shown]
	s_waitcnt lgkmcnt(4)
	v_add_u32_e32 v3, v9, v3
	v_add_u32_e32 v2, v8, v2
	ds_write2_b32 v1, v2, v3 offset1:1
	s_waitcnt lgkmcnt(4)
	v_add_u32_e32 v2, v11, v5
	v_add_u32_e32 v3, v10, v4
	ds_write2_b32 v1, v3, v2 offset0:2 offset1:3
	v_add_u32_e32 v2, 0xb18, v1
	ds_read2_b32 v[2:3], v2 offset1:1
	s_waitcnt lgkmcnt(5)
	v_add_u32_e32 v4, v13, v7
	v_add_u32_e32 v5, v12, v6
	ds_write2_b32 v1, v5, v4 offset0:4 offset1:5
	v_add_u32_e32 v4, 0xb20, v1
	ds_read2_b32 v[4:5], v4 offset1:1
	s_waitcnt lgkmcnt(2)
	v_add_u32_e32 v7, v14, v2
	v_add_u32_e32 v2, 40, v1
	;; [unrolled: 1-line block ×3, first 2 shown]
	ds_read2st64_b32 v[2:3], v2 offset1:11
	s_waitcnt lgkmcnt(1)
	v_add_u32_e32 v5, v17, v5
	v_add_u32_e32 v4, v16, v4
	ds_write2_b32 v1, v7, v6 offset0:6 offset1:7
	ds_write2_b32 v1, v4, v5 offset0:8 offset1:9
	s_waitcnt lgkmcnt(2)
	v_add_u32_e32 v2, v2, v3
	ds_write_b32 v1, v2 offset:40
.LBB66_47:
	s_or_b64 exec, exec, s[2:3]
	v_cmp_gt_u32_e32 vcc, 32, v0
	s_waitcnt lgkmcnt(0)
	s_barrier
	s_and_saveexec_b64 s[2:3], vcc
	s_cbranch_execz .LBB66_49
; %bb.48:
	v_add_u32_e32 v2, 0x580, v1
	ds_read2_b32 v[2:3], v2 offset1:1
	ds_read2_b32 v[4:5], v1 offset1:1
	ds_read2_b32 v[6:7], v1 offset0:2 offset1:3
	ds_read2_b32 v[8:9], v1 offset0:4 offset1:5
	;; [unrolled: 1-line block ×3, first 2 shown]
	ds_read_b32 v16, v1 offset:1448
	s_waitcnt lgkmcnt(4)
	v_add_u32_e32 v3, v5, v3
	v_add_u32_e32 v2, v4, v2
	ds_write2_b32 v1, v2, v3 offset1:1
	v_add_u32_e32 v2, 0x588, v1
	ds_read2_b32 v[2:3], v2 offset1:1
	v_add_u32_e32 v4, 0x590, v1
	v_add_u32_e32 v12, 0x598, v1
	;; [unrolled: 1-line block ×3, first 2 shown]
	ds_read2_b32 v[4:5], v4 offset1:1
	ds_read2_b32 v[12:13], v12 offset1:1
	;; [unrolled: 1-line block ×3, first 2 shown]
	s_waitcnt lgkmcnt(3)
	v_add_u32_e32 v3, v7, v3
	v_add_u32_e32 v2, v6, v2
	ds_write2_b32 v1, v2, v3 offset0:2 offset1:3
	s_waitcnt lgkmcnt(3)
	v_add_u32_e32 v2, v9, v5
	v_add_u32_e32 v3, v8, v4
	ds_write2_b32 v1, v3, v2 offset0:4 offset1:5
	ds_read2_b32 v[2:3], v1 offset0:8 offset1:9
	ds_read_b32 v6, v1 offset:40
	s_waitcnt lgkmcnt(5)
	v_add_u32_e32 v4, v11, v13
	v_add_u32_e32 v5, v10, v12
	ds_write2_b32 v1, v5, v4 offset0:6 offset1:7
	s_waitcnt lgkmcnt(2)
	v_add_u32_e32 v3, v3, v15
	v_add_u32_e32 v2, v2, v14
	ds_write2_b32 v1, v2, v3 offset0:8 offset1:9
	s_waitcnt lgkmcnt(2)
	v_add_u32_e32 v2, v6, v16
	ds_write_b32 v1, v2 offset:40
.LBB66_49:
	s_or_b64 exec, exec, s[2:3]
	v_cmp_gt_u32_e32 vcc, 16, v0
	s_waitcnt lgkmcnt(0)
	s_barrier
	s_and_saveexec_b64 s[2:3], vcc
	s_cbranch_execz .LBB66_51
; %bb.50:
	ds_read2_b32 v[2:3], v1 offset0:176 offset1:177
	ds_read2_b32 v[4:5], v1 offset0:178 offset1:179
	ds_read2_b32 v[6:7], v1 offset0:180 offset1:181
	ds_read2_b32 v[8:9], v1 offset1:1
	ds_read2_b32 v[10:11], v1 offset0:2 offset1:3
	ds_read2_b32 v[12:13], v1 offset0:4 offset1:5
	ds_read2_b32 v[14:15], v1 offset0:6 offset1:7
	ds_read2_b32 v[16:17], v1 offset0:8 offset1:9
	s_waitcnt lgkmcnt(4)
	v_add_u32_e32 v3, v9, v3
	v_add_u32_e32 v2, v8, v2
	ds_write2_b32 v1, v2, v3 offset1:1
	s_waitcnt lgkmcnt(4)
	v_add_u32_e32 v2, v11, v5
	v_add_u32_e32 v3, v10, v4
	ds_write2_b32 v1, v3, v2 offset0:2 offset1:3
	ds_read2_b32 v[2:3], v1 offset0:182 offset1:183
	s_waitcnt lgkmcnt(5)
	v_add_u32_e32 v4, v13, v7
	v_add_u32_e32 v5, v12, v6
	ds_write2_b32 v1, v5, v4 offset0:4 offset1:5
	ds_read2_b32 v[4:5], v1 offset0:184 offset1:185
	s_waitcnt lgkmcnt(2)
	v_add_u32_e32 v6, v15, v3
	v_add_u32_e32 v7, v14, v2
	ds_read2_b32 v[2:3], v1 offset0:10 offset1:186
	ds_write2_b32 v1, v7, v6 offset0:6 offset1:7
	s_waitcnt lgkmcnt(2)
	v_add_u32_e32 v5, v17, v5
	v_add_u32_e32 v4, v16, v4
	ds_write2_b32 v1, v4, v5 offset0:8 offset1:9
	s_waitcnt lgkmcnt(2)
	v_add_u32_e32 v2, v2, v3
	ds_write_b32 v1, v2 offset:40
.LBB66_51:
	s_or_b64 exec, exec, s[2:3]
	v_cmp_gt_u32_e32 vcc, 8, v0
	s_waitcnt lgkmcnt(0)
	s_barrier
	s_and_saveexec_b64 s[2:3], vcc
	s_cbranch_execz .LBB66_53
; %bb.52:
	ds_read2_b32 v[2:3], v1 offset0:88 offset1:89
	ds_read2_b32 v[4:5], v1 offset0:90 offset1:91
	ds_read2_b32 v[6:7], v1 offset0:92 offset1:93
	ds_read2_b32 v[8:9], v1 offset1:1
	ds_read2_b32 v[10:11], v1 offset0:2 offset1:3
	ds_read2_b32 v[12:13], v1 offset0:4 offset1:5
	ds_read2_b32 v[14:15], v1 offset0:6 offset1:7
	ds_read2_b32 v[16:17], v1 offset0:8 offset1:9
	s_waitcnt lgkmcnt(4)
	v_add_u32_e32 v3, v9, v3
	v_add_u32_e32 v2, v8, v2
	ds_write2_b32 v1, v2, v3 offset1:1
	s_waitcnt lgkmcnt(4)
	v_add_u32_e32 v2, v11, v5
	v_add_u32_e32 v3, v10, v4
	ds_write2_b32 v1, v3, v2 offset0:2 offset1:3
	ds_read2_b32 v[2:3], v1 offset0:94 offset1:95
	s_waitcnt lgkmcnt(5)
	v_add_u32_e32 v4, v13, v7
	v_add_u32_e32 v5, v12, v6
	ds_write2_b32 v1, v5, v4 offset0:4 offset1:5
	ds_read2_b32 v[4:5], v1 offset0:96 offset1:97
	s_waitcnt lgkmcnt(2)
	v_add_u32_e32 v6, v15, v3
	v_add_u32_e32 v7, v14, v2
	ds_read2_b32 v[2:3], v1 offset0:10 offset1:98
	ds_write2_b32 v1, v7, v6 offset0:6 offset1:7
	s_waitcnt lgkmcnt(2)
	v_add_u32_e32 v5, v17, v5
	v_add_u32_e32 v4, v16, v4
	ds_write2_b32 v1, v4, v5 offset0:8 offset1:9
	s_waitcnt lgkmcnt(2)
	v_add_u32_e32 v2, v2, v3
	ds_write_b32 v1, v2 offset:40
.LBB66_53:
	;; [unrolled: 42-line block ×4, first 2 shown]
	s_or_b64 exec, exec, s[2:3]
	v_cmp_eq_u32_e32 vcc, 0, v0
	s_waitcnt lgkmcnt(0)
	s_barrier
	s_and_saveexec_b64 s[2:3], vcc
	s_cbranch_execz .LBB66_59
; %bb.58:
	v_mov_b32_e32 v1, 0
	ds_read2_b32 v[14:15], v1 offset0:11 offset1:12
	ds_read_b128 v[2:5], v1
	ds_read_b128 v[6:9], v1 offset:16
	ds_read_b96 v[10:12], v1 offset:32
	ds_read2_b32 v[16:17], v1 offset0:13 offset1:14
	s_waitcnt lgkmcnt(3)
	v_add_u32_e32 v3, v3, v15
	v_add_u32_e32 v2, v2, v14
	ds_read2_b32 v[14:15], v1 offset0:15 offset1:16
	ds_read2_b32 v[18:19], v1 offset0:17 offset1:18
	;; [unrolled: 1-line block ×3, first 2 shown]
	s_waitcnt lgkmcnt(3)
	v_add_u32_e32 v5, v5, v17
	v_add_u32_e32 v4, v4, v16
	ds_write_b128 v1, v[2:5]
	s_waitcnt lgkmcnt(3)
	v_add_u32_e32 v2, v6, v14
	ds_read_b32 v6, v1 offset:84
	v_add_u32_e32 v3, v7, v15
	s_waitcnt lgkmcnt(3)
	v_add_u32_e32 v5, v9, v19
	v_add_u32_e32 v4, v8, v18
	ds_write_b128 v1, v[2:5] offset:16
	s_waitcnt lgkmcnt(3)
	v_add_u32_e32 v3, v11, v21
	v_add_u32_e32 v2, v10, v20
	s_waitcnt lgkmcnt(1)
	v_add_u32_e32 v4, v12, v6
	ds_write_b96 v1, v[2:4] offset:32
.LBB66_59:
	s_or_b64 exec, exec, s[2:3]
	v_cmp_gt_u32_e32 vcc, 11, v0
	s_waitcnt lgkmcnt(0)
	s_barrier
	s_and_saveexec_b64 s[2:3], vcc
	s_cbranch_execz .LBB66_61
; %bb.60:
	v_mad_u64_u32 v[2:3], s[2:3], s6, 11, v[0:1]
	v_lshlrev_b32_e32 v0, 2, v0
	ds_read_b32 v4, v0
	v_mov_b32_e32 v3, 0
	v_lshlrev_b64 v[2:3], 2, v[2:3]
	v_mov_b32_e32 v1, s1
	v_add_co_u32_e32 v0, vcc, s0, v2
	v_addc_co_u32_e32 v1, vcc, v1, v3, vcc
	s_waitcnt lgkmcnt(0)
	global_store_dword v[0:1], v4, off
.LBB66_61:
	s_endpgm
	.section	.rodata,"a",@progbits
	.p2align	6, 0x0
	.amdhsa_kernel _ZN9rocsparseL26csrgemm_group_reduce_part2ILj256ELj11E21rocsparse_complex_numIdEiiEEvT3_PKT2_PS3_Pij
		.amdhsa_group_segment_fixed_size 11264
		.amdhsa_private_segment_fixed_size 0
		.amdhsa_kernarg_size 296
		.amdhsa_user_sgpr_count 6
		.amdhsa_user_sgpr_private_segment_buffer 1
		.amdhsa_user_sgpr_dispatch_ptr 0
		.amdhsa_user_sgpr_queue_ptr 0
		.amdhsa_user_sgpr_kernarg_segment_ptr 1
		.amdhsa_user_sgpr_dispatch_id 0
		.amdhsa_user_sgpr_flat_scratch_init 0
		.amdhsa_user_sgpr_kernarg_preload_length 0
		.amdhsa_user_sgpr_kernarg_preload_offset 0
		.amdhsa_user_sgpr_private_segment_size 0
		.amdhsa_uses_dynamic_stack 0
		.amdhsa_system_sgpr_private_segment_wavefront_offset 0
		.amdhsa_system_sgpr_workgroup_id_x 1
		.amdhsa_system_sgpr_workgroup_id_y 0
		.amdhsa_system_sgpr_workgroup_id_z 0
		.amdhsa_system_sgpr_workgroup_info 0
		.amdhsa_system_vgpr_workitem_id 0
		.amdhsa_next_free_vgpr 22
		.amdhsa_next_free_sgpr 52
		.amdhsa_accum_offset 24
		.amdhsa_reserve_vcc 1
		.amdhsa_reserve_flat_scratch 0
		.amdhsa_float_round_mode_32 0
		.amdhsa_float_round_mode_16_64 0
		.amdhsa_float_denorm_mode_32 3
		.amdhsa_float_denorm_mode_16_64 3
		.amdhsa_dx10_clamp 1
		.amdhsa_ieee_mode 1
		.amdhsa_fp16_overflow 0
		.amdhsa_tg_split 0
		.amdhsa_exception_fp_ieee_invalid_op 0
		.amdhsa_exception_fp_denorm_src 0
		.amdhsa_exception_fp_ieee_div_zero 0
		.amdhsa_exception_fp_ieee_overflow 0
		.amdhsa_exception_fp_ieee_underflow 0
		.amdhsa_exception_fp_ieee_inexact 0
		.amdhsa_exception_int_div_zero 0
	.end_amdhsa_kernel
	.section	.text._ZN9rocsparseL26csrgemm_group_reduce_part2ILj256ELj11E21rocsparse_complex_numIdEiiEEvT3_PKT2_PS3_Pij,"axG",@progbits,_ZN9rocsparseL26csrgemm_group_reduce_part2ILj256ELj11E21rocsparse_complex_numIdEiiEEvT3_PKT2_PS3_Pij,comdat
.Lfunc_end66:
	.size	_ZN9rocsparseL26csrgemm_group_reduce_part2ILj256ELj11E21rocsparse_complex_numIdEiiEEvT3_PKT2_PS3_Pij, .Lfunc_end66-_ZN9rocsparseL26csrgemm_group_reduce_part2ILj256ELj11E21rocsparse_complex_numIdEiiEEvT3_PKT2_PS3_Pij
                                        ; -- End function
	.section	.AMDGPU.csdata,"",@progbits
; Kernel info:
; codeLenInByte = 3144
; NumSgprs: 56
; NumVgprs: 22
; NumAgprs: 0
; TotalNumVgprs: 22
; ScratchSize: 0
; MemoryBound: 0
; FloatMode: 240
; IeeeMode: 1
; LDSByteSize: 11264 bytes/workgroup (compile time only)
; SGPRBlocks: 6
; VGPRBlocks: 2
; NumSGPRsForWavesPerEU: 56
; NumVGPRsForWavesPerEU: 22
; AccumOffset: 24
; Occupancy: 5
; WaveLimiterHint : 0
; COMPUTE_PGM_RSRC2:SCRATCH_EN: 0
; COMPUTE_PGM_RSRC2:USER_SGPR: 6
; COMPUTE_PGM_RSRC2:TRAP_HANDLER: 0
; COMPUTE_PGM_RSRC2:TGID_X_EN: 1
; COMPUTE_PGM_RSRC2:TGID_Y_EN: 0
; COMPUTE_PGM_RSRC2:TGID_Z_EN: 0
; COMPUTE_PGM_RSRC2:TIDIG_COMP_CNT: 0
; COMPUTE_PGM_RSRC3_GFX90A:ACCUM_OFFSET: 5
; COMPUTE_PGM_RSRC3_GFX90A:TG_SPLIT: 0
	.section	.text._ZN9rocsparseL23csrgemm_fill_wf_per_rowILj256ELj8ELj16ELj137Eii21rocsparse_complex_numIdEEEvT4_S3_PKS3_S5_NS_24const_host_device_scalarIT5_EEPKT3_S5_PKS7_SB_S5_SD_S8_SB_S5_SD_SB_PS3_PS7_21rocsparse_index_base_SG_SG_SG_bbb,"axG",@progbits,_ZN9rocsparseL23csrgemm_fill_wf_per_rowILj256ELj8ELj16ELj137Eii21rocsparse_complex_numIdEEEvT4_S3_PKS3_S5_NS_24const_host_device_scalarIT5_EEPKT3_S5_PKS7_SB_S5_SD_S8_SB_S5_SD_SB_PS3_PS7_21rocsparse_index_base_SG_SG_SG_bbb,comdat
	.globl	_ZN9rocsparseL23csrgemm_fill_wf_per_rowILj256ELj8ELj16ELj137Eii21rocsparse_complex_numIdEEEvT4_S3_PKS3_S5_NS_24const_host_device_scalarIT5_EEPKT3_S5_PKS7_SB_S5_SD_S8_SB_S5_SD_SB_PS3_PS7_21rocsparse_index_base_SG_SG_SG_bbb ; -- Begin function _ZN9rocsparseL23csrgemm_fill_wf_per_rowILj256ELj8ELj16ELj137Eii21rocsparse_complex_numIdEEEvT4_S3_PKS3_S5_NS_24const_host_device_scalarIT5_EEPKT3_S5_PKS7_SB_S5_SD_S8_SB_S5_SD_SB_PS3_PS7_21rocsparse_index_base_SG_SG_SG_bbb
	.p2align	8
	.type	_ZN9rocsparseL23csrgemm_fill_wf_per_rowILj256ELj8ELj16ELj137Eii21rocsparse_complex_numIdEEEvT4_S3_PKS3_S5_NS_24const_host_device_scalarIT5_EEPKT3_S5_PKS7_SB_S5_SD_S8_SB_S5_SD_SB_PS3_PS7_21rocsparse_index_base_SG_SG_SG_bbb,@function
_ZN9rocsparseL23csrgemm_fill_wf_per_rowILj256ELj8ELj16ELj137Eii21rocsparse_complex_numIdEEEvT4_S3_PKS3_S5_NS_24const_host_device_scalarIT5_EEPKT3_S5_PKS7_SB_S5_SD_S8_SB_S5_SD_SB_PS3_PS7_21rocsparse_index_base_SG_SG_SG_bbb: ; @_ZN9rocsparseL23csrgemm_fill_wf_per_rowILj256ELj8ELj16ELj137Eii21rocsparse_complex_numIdEEEvT4_S3_PKS3_S5_NS_24const_host_device_scalarIT5_EEPKT3_S5_PKS7_SB_S5_SD_S8_SB_S5_SD_SB_PS3_PS7_21rocsparse_index_base_SG_SG_SG_bbb
; %bb.0:
	s_add_u32 flat_scratch_lo, s6, s9
	s_addc_u32 flat_scratch_hi, s7, 0
	s_load_dwordx4 s[12:15], s[4:5], 0x18
	s_load_dwordx4 s[48:51], s[4:5], 0x58
	s_add_u32 s0, s0, s9
	s_load_dword s9, s[4:5], 0xa8
	s_load_dwordx4 s[28:31], s[4:5], 0x98
	s_addc_u32 s1, s1, 0
	s_waitcnt lgkmcnt(0)
	v_mov_b32_e32 v1, s13
	buffer_store_dword v1, off, s[0:3], 0 offset:4
	s_bitcmp1_b32 s9, 0
	s_cselect_b64 s[52:53], -1, 0
	s_bitcmp1_b32 s9, 16
	v_mov_b32_e32 v1, s12
	s_cselect_b64 s[6:7], -1, 0
	buffer_store_dword v1, off, s[0:3], 0
	v_mov_b32_e32 v1, s49
	buffer_store_dword v1, off, s[0:3], 0 offset:12
	v_mov_b32_e32 v1, s48
	s_xor_b64 s[10:11], s[6:7], -1
	buffer_store_dword v1, off, s[0:3], 0 offset:8
	v_pk_mov_b32 v[4:5], 0, 0
	v_cndmask_b32_e64 v1, 0, 1, s[10:11]
	s_bitcmp0_b32 s9, 0
	v_cmp_ne_u32_e64 s[10:11], 1, v1
	v_pk_mov_b32 v[8:9], v[4:5], v[4:5] op_sel:[0,1]
	v_pk_mov_b32 v[10:11], v[4:5], v[4:5] op_sel:[0,1]
	s_cbranch_scc1 .LBB67_3
; %bb.1:
	s_mov_b64 s[16:17], src_private_base
	s_and_b64 s[18:19], s[6:7], exec
	s_cselect_b32 s16, s17, s13
	v_mov_b32_e32 v1, 0
	v_mov_b32_e32 v2, s12
	v_cndmask_b32_e64 v2, v2, v1, s[6:7]
	v_mov_b32_e32 v3, s16
	flat_load_dwordx2 v[8:9], v[2:3]
	s_and_b64 vcc, exec, s[10:11]
	v_pk_mov_b32 v[10:11], s[14:15], s[14:15] op_sel:[0,1]
	s_cbranch_vccnz .LBB67_3
; %bb.2:
	v_pk_mov_b32 v[2:3], s[12:13], s[12:13] op_sel:[0,1]
	flat_load_dwordx2 v[10:11], v[2:3] offset:8
.LBB67_3:
	s_load_dwordx4 s[36:39], s[4:5], 0x88
	s_load_dwordx8 s[12:19], s[4:5], 0x68
	s_load_dwordx4 s[40:43], s[4:5], 0x48
	s_load_dwordx4 s[44:47], s[4:5], 0x8
	s_load_dwordx8 s[20:27], s[4:5], 0x28
	s_bitcmp1_b32 s9, 8
	s_cselect_b64 s[34:35], -1, 0
	s_bfe_u32 s9, s9, 0x10008
	s_mov_b64 s[54:55], 0
	s_cmp_eq_u32 s9, 0
	v_pk_mov_b32 v[6:7], v[4:5], v[4:5] op_sel:[0,1]
	s_cbranch_scc1 .LBB67_6
; %bb.4:
	s_mov_b64 s[56:57], src_private_base
	s_and_b64 s[58:59], s[6:7], exec
	s_cselect_b32 s9, s57, s49
	v_mov_b32_e32 v1, 8
	v_mov_b32_e32 v2, s48
	v_cndmask_b32_e64 v2, v2, v1, s[6:7]
	v_mov_b32_e32 v3, s9
	flat_load_dwordx2 v[6:7], v[2:3]
	s_and_b64 vcc, exec, s[10:11]
	v_pk_mov_b32 v[4:5], s[50:51], s[50:51] op_sel:[0,1]
	s_cbranch_vccnz .LBB67_6
; %bb.5:
	v_pk_mov_b32 v[2:3], s[48:49], s[48:49] op_sel:[0,1]
	flat_load_dwordx2 v[4:5], v[2:3] offset:8
.LBB67_6:
	s_load_dwordx2 s[4:5], s[4:5], 0x0
	v_and_b32_e32 v27, 7, v0
	v_lshrrev_b32_e32 v12, 3, v0
	v_lshlrev_b32_e32 v0, 4, v27
	v_lshl_or_b32 v23, v12, 8, v0
	v_lshlrev_b32_e32 v0, 6, v12
	v_lshlrev_b32_e32 v1, 2, v27
	s_movk_i32 s6, 0x2000
	v_or_b32_e32 v22, -8, v27
	v_or3_b32 v24, v0, v1, s6
	v_mov_b32_e32 v0, 0
	s_waitcnt lgkmcnt(0)
	v_mov_b32_e32 v13, s5
	v_mov_b32_e32 v1, v0
	;; [unrolled: 1-line block ×7, first 2 shown]
.LBB67_7:                               ; =>This Inner Loop Header: Depth=1
	v_add_co_u32_e32 v16, vcc, 8, v16
	s_xor_b64 s[6:7], vcc, -1
	s_and_b64 s[6:7], exec, s[6:7]
	ds_write_b32 v14, v13
	ds_write_b128 v15, v[0:3]
	v_add_u32_e32 v15, 0x80, v15
	s_or_b64 s[54:55], s[6:7], s[54:55]
	v_add_u32_e32 v14, 32, v14
	s_andn2_b64 exec, exec, s[54:55]
	s_cbranch_execnz .LBB67_7
; %bb.8:
	s_or_b64 exec, exec, s[54:55]
	s_lshl_b32 s6, s8, 5
	s_and_b32 s6, s6, 0x1fffffe0
	v_or_b32_e32 v0, s6, v12
	v_cmp_gt_i32_e32 vcc, s4, v0
	s_waitcnt lgkmcnt(0)
	s_and_saveexec_b64 s[6:7], vcc
	s_cbranch_execz .LBB67_52
; %bb.9:
	s_cmp_eq_u64 s[46:47], 0
	s_cbranch_scc1 .LBB67_11
; %bb.10:
	s_load_dword s4, s[44:45], 0x0
	v_mov_b32_e32 v2, s47
	s_waitcnt lgkmcnt(0)
	v_add_u32_e32 v0, s4, v0
	v_ashrrev_i32_e32 v1, 31, v0
	v_lshlrev_b64 v[0:1], 2, v[0:1]
	v_add_co_u32_e32 v0, vcc, s46, v0
	v_addc_co_u32_e32 v1, vcc, v2, v1, vcc
	global_load_dword v0, v[0:1], off
.LBB67_11:
	v_mov_b32_e32 v1, 0x2000
	v_lshl_or_b32 v25, v12, 6, v1
	s_waitcnt vmcnt(0)
	v_ashrrev_i32_e32 v1, 31, v0
	v_lshlrev_b32_e32 v26, 8, v12
	s_andn2_b64 vcc, exec, s[52:53]
	v_lshlrev_b64 v[0:1], 2, v[0:1]
	s_cbranch_vccnz .LBB67_31
; %bb.12:
	v_mov_b32_e32 v3, s21
	v_add_co_u32_e32 v2, vcc, s20, v0
	v_addc_co_u32_e32 v3, vcc, v3, v1, vcc
	global_load_dwordx2 v[2:3], v[2:3], off
	v_subrev_u32_e32 v12, s28, v27
	s_waitcnt vmcnt(0)
	v_subrev_u32_e32 v28, s28, v3
	v_add_u32_e32 v2, v2, v12
	v_cmp_lt_i32_e32 vcc, v2, v28
	s_and_saveexec_b64 s[6:7], vcc
	s_cbranch_execz .LBB67_30
; %bb.13:
	s_mov_b64 s[8:9], 0
	v_mov_b32_e32 v29, s23
	v_mov_b32_e32 v30, s27
	s_branch .LBB67_15
.LBB67_14:                              ;   in Loop: Header=BB67_15 Depth=1
	s_or_b64 exec, exec, s[10:11]
	v_add_u32_e32 v2, 8, v2
	v_cmp_ge_i32_e32 vcc, v2, v28
	s_or_b64 s[8:9], vcc, s[8:9]
	s_andn2_b64 exec, exec, s[8:9]
	s_cbranch_execz .LBB67_30
.LBB67_15:                              ; =>This Loop Header: Depth=1
                                        ;     Child Loop BB67_18 Depth 2
                                        ;       Child Loop BB67_20 Depth 3
	v_ashrrev_i32_e32 v3, 31, v2
	v_lshlrev_b64 v[12:13], 2, v[2:3]
	v_add_co_u32_e32 v12, vcc, s22, v12
	v_addc_co_u32_e32 v13, vcc, v29, v13, vcc
	global_load_dword v12, v[12:13], off
	s_waitcnt vmcnt(0)
	v_subrev_u32_e32 v12, s28, v12
	v_ashrrev_i32_e32 v13, 31, v12
	v_lshlrev_b64 v[12:13], 2, v[12:13]
	v_add_co_u32_e32 v12, vcc, s26, v12
	v_addc_co_u32_e32 v13, vcc, v30, v13, vcc
	global_load_dwordx2 v[12:13], v[12:13], off
	s_waitcnt vmcnt(0)
	v_cmp_lt_i32_e32 vcc, v12, v13
	s_and_saveexec_b64 s[10:11], vcc
	s_cbranch_execz .LBB67_14
; %bb.16:                               ;   in Loop: Header=BB67_15 Depth=1
	v_lshlrev_b64 v[14:15], 4, v[2:3]
	v_mov_b32_e32 v3, s25
	v_add_co_u32_e32 v14, vcc, s24, v14
	v_addc_co_u32_e32 v15, vcc, v3, v15, vcc
	global_load_dwordx4 v[18:21], v[14:15], off
	v_subrev_u32_e32 v3, s29, v13
	v_subrev_u32_e32 v12, s29, v12
	s_mov_b64 s[20:21], 0
	s_waitcnt vmcnt(0)
	v_mul_f64 v[14:15], v[20:21], -v[10:11]
	v_mul_f64 v[16:17], v[8:9], v[20:21]
	v_fmac_f64_e32 v[14:15], v[8:9], v[18:19]
	v_fmac_f64_e32 v[16:17], v[10:11], v[18:19]
	s_branch .LBB67_18
.LBB67_17:                              ;   in Loop: Header=BB67_18 Depth=2
	s_or_b64 exec, exec, s[44:45]
	v_add_u32_e32 v12, 1, v12
	v_cmp_ge_i32_e32 vcc, v12, v3
	s_or_b64 s[20:21], vcc, s[20:21]
	s_andn2_b64 exec, exec, s[20:21]
	s_cbranch_execz .LBB67_14
.LBB67_18:                              ;   Parent Loop BB67_15 Depth=1
                                        ; =>  This Loop Header: Depth=2
                                        ;       Child Loop BB67_20 Depth 3
	v_ashrrev_i32_e32 v13, 31, v12
	v_lshlrev_b64 v[18:19], 2, v[12:13]
	v_mov_b32_e32 v20, s41
	v_add_co_u32_e32 v18, vcc, s40, v18
	v_addc_co_u32_e32 v19, vcc, v20, v19, vcc
	global_load_dword v20, v[18:19], off
	v_lshlrev_b64 v[18:19], 4, v[12:13]
	v_mov_b32_e32 v13, s43
	v_add_co_u32_e32 v18, vcc, s42, v18
	v_addc_co_u32_e32 v19, vcc, v13, v19, vcc
	global_load_dwordx4 v[32:35], v[18:19], off
	s_mov_b64 s[44:45], 0
	s_waitcnt vmcnt(1)
	v_subrev_u32_e32 v13, s29, v20
	v_lshl_add_u32 v31, v13, 3, v13
	v_and_b32_e32 v31, 15, v31
	s_waitcnt vmcnt(0)
	v_mul_f64 v[18:19], v[34:35], -v[16:17]
	v_mul_f64 v[20:21], v[14:15], v[34:35]
	v_fmac_f64_e32 v[18:19], v[14:15], v[32:33]
	v_fmac_f64_e32 v[20:21], v[16:17], v[32:33]
	s_branch .LBB67_20
.LBB67_19:                              ;   in Loop: Header=BB67_20 Depth=3
	s_or_b64 exec, exec, s[46:47]
	s_xor_b64 s[46:47], s[48:49], -1
	s_and_b64 s[46:47], exec, s[46:47]
	s_or_b64 s[44:45], s[46:47], s[44:45]
	s_andn2_b64 exec, exec, s[44:45]
	s_cbranch_execz .LBB67_17
.LBB67_20:                              ;   Parent Loop BB67_15 Depth=1
                                        ;     Parent Loop BB67_18 Depth=2
                                        ; =>    This Inner Loop Header: Depth=3
	v_lshl_add_u32 v32, v31, 2, v25
	ds_read_b32 v33, v32
                                        ; implicit-def: $sgpr48_sgpr49
	s_waitcnt lgkmcnt(0)
	v_cmp_ne_u32_e32 vcc, v33, v13
	s_and_saveexec_b64 s[46:47], vcc
	s_xor_b64 s[46:47], exec, s[46:47]
	s_cbranch_execz .LBB67_28
; %bb.21:                               ;   in Loop: Header=BB67_20 Depth=3
	v_cmp_ne_u32_e32 vcc, s5, v33
                                        ; implicit-def: $sgpr48_sgpr49
	s_and_saveexec_b64 s[50:51], vcc
	s_xor_b64 s[50:51], exec, s[50:51]
; %bb.22:                               ;   in Loop: Header=BB67_20 Depth=3
	v_add_u32_e32 v31, 1, v31
	v_and_b32_e32 v31, 15, v31
	s_mov_b64 s[48:49], -1
                                        ; implicit-def: $vgpr32
; %bb.23:                               ;   in Loop: Header=BB67_20 Depth=3
	s_andn2_saveexec_b64 s[50:51], s[50:51]
	s_cbranch_execz .LBB67_27
; %bb.24:                               ;   in Loop: Header=BB67_20 Depth=3
	v_mov_b32_e32 v33, s5
	ds_cmpst_rtn_b32 v32, v32, v33, v13
	s_mov_b64 s[52:53], -1
	s_waitcnt lgkmcnt(0)
	v_cmp_eq_u32_e32 vcc, s5, v32
	s_and_saveexec_b64 s[54:55], vcc
	s_cbranch_execz .LBB67_26
; %bb.25:                               ;   in Loop: Header=BB67_20 Depth=3
	v_lshl_add_u32 v32, v31, 4, v26
	ds_add_f64 v32, v[18:19]
	ds_add_f64 v32, v[20:21] offset:8
	s_xor_b64 s[52:53], exec, -1
.LBB67_26:                              ;   in Loop: Header=BB67_20 Depth=3
	s_or_b64 exec, exec, s[54:55]
	s_andn2_b64 s[48:49], s[48:49], exec
	s_and_b64 s[52:53], s[52:53], exec
	s_or_b64 s[48:49], s[48:49], s[52:53]
.LBB67_27:                              ;   in Loop: Header=BB67_20 Depth=3
	s_or_b64 exec, exec, s[50:51]
	s_and_b64 s[48:49], s[48:49], exec
.LBB67_28:                              ;   in Loop: Header=BB67_20 Depth=3
	s_andn2_saveexec_b64 s[46:47], s[46:47]
	s_cbranch_execz .LBB67_19
; %bb.29:                               ;   in Loop: Header=BB67_20 Depth=3
	v_lshl_add_u32 v32, v31, 4, v26
	ds_add_f64 v32, v[18:19]
	ds_add_f64 v32, v[20:21] offset:8
	s_andn2_b64 s[48:49], s[48:49], exec
	s_branch .LBB67_19
.LBB67_30:
	s_or_b64 exec, exec, s[6:7]
.LBB67_31:
	s_andn2_b64 vcc, exec, s[34:35]
	s_cbranch_vccnz .LBB67_48
; %bb.32:
	v_mov_b32_e32 v3, s13
	v_add_co_u32_e32 v2, vcc, s12, v0
	v_addc_co_u32_e32 v3, vcc, v3, v1, vcc
	global_load_dwordx2 v[2:3], v[2:3], off
	v_subrev_u32_e32 v8, s31, v27
	s_waitcnt vmcnt(0)
	v_subrev_u32_e32 v12, s31, v3
	v_add_u32_e32 v2, v2, v8
	v_cmp_lt_i32_e32 vcc, v2, v12
	s_and_saveexec_b64 s[6:7], vcc
	s_cbranch_execz .LBB67_47
; %bb.33:
	s_mov_b64 s[8:9], 0
	v_mov_b32_e32 v13, s15
	v_mov_b32_e32 v14, s17
	s_branch .LBB67_35
.LBB67_34:                              ;   in Loop: Header=BB67_35 Depth=1
	s_or_b64 exec, exec, s[10:11]
	v_add_u32_e32 v2, 8, v2
	v_cmp_ge_i32_e32 vcc, v2, v12
	s_or_b64 s[8:9], vcc, s[8:9]
	s_andn2_b64 exec, exec, s[8:9]
	s_cbranch_execz .LBB67_47
.LBB67_35:                              ; =>This Loop Header: Depth=1
                                        ;     Child Loop BB67_37 Depth 2
	v_ashrrev_i32_e32 v3, 31, v2
	v_lshlrev_b64 v[8:9], 2, v[2:3]
	v_add_co_u32_e32 v8, vcc, s14, v8
	v_addc_co_u32_e32 v9, vcc, v13, v9, vcc
	global_load_dword v10, v[8:9], off
	v_lshlrev_b64 v[8:9], 4, v[2:3]
	v_add_co_u32_e32 v8, vcc, s16, v8
	v_addc_co_u32_e32 v9, vcc, v14, v9, vcc
	global_load_dwordx4 v[16:19], v[8:9], off
	s_mov_b64 s[10:11], 0
	s_waitcnt vmcnt(1)
	v_subrev_u32_e32 v3, s31, v10
	v_lshl_add_u32 v15, v3, 3, v3
	v_and_b32_e32 v15, 15, v15
	s_waitcnt vmcnt(0)
	v_mul_f64 v[8:9], v[18:19], -v[4:5]
	v_mul_f64 v[10:11], v[6:7], v[18:19]
	v_fmac_f64_e32 v[8:9], v[6:7], v[16:17]
	v_fmac_f64_e32 v[10:11], v[4:5], v[16:17]
	s_branch .LBB67_37
.LBB67_36:                              ;   in Loop: Header=BB67_37 Depth=2
	s_or_b64 exec, exec, s[12:13]
	s_xor_b64 s[12:13], s[20:21], -1
	s_and_b64 s[12:13], exec, s[12:13]
	s_or_b64 s[10:11], s[12:13], s[10:11]
	s_andn2_b64 exec, exec, s[10:11]
	s_cbranch_execz .LBB67_34
.LBB67_37:                              ;   Parent Loop BB67_35 Depth=1
                                        ; =>  This Inner Loop Header: Depth=2
	v_lshl_add_u32 v16, v15, 2, v25
	ds_read_b32 v17, v16
                                        ; implicit-def: $sgpr20_sgpr21
	s_waitcnt lgkmcnt(0)
	v_cmp_ne_u32_e32 vcc, v17, v3
	s_and_saveexec_b64 s[12:13], vcc
	s_xor_b64 s[12:13], exec, s[12:13]
	s_cbranch_execz .LBB67_45
; %bb.38:                               ;   in Loop: Header=BB67_37 Depth=2
	v_cmp_ne_u32_e32 vcc, s5, v17
                                        ; implicit-def: $sgpr20_sgpr21
	s_and_saveexec_b64 s[22:23], vcc
	s_xor_b64 s[22:23], exec, s[22:23]
; %bb.39:                               ;   in Loop: Header=BB67_37 Depth=2
	v_add_u32_e32 v15, 1, v15
	v_and_b32_e32 v15, 15, v15
	s_mov_b64 s[20:21], -1
                                        ; implicit-def: $vgpr16
; %bb.40:                               ;   in Loop: Header=BB67_37 Depth=2
	s_andn2_saveexec_b64 s[22:23], s[22:23]
	s_cbranch_execz .LBB67_44
; %bb.41:                               ;   in Loop: Header=BB67_37 Depth=2
	v_mov_b32_e32 v17, s5
	ds_cmpst_rtn_b32 v16, v16, v17, v3
	s_mov_b64 s[24:25], -1
	s_waitcnt lgkmcnt(0)
	v_cmp_eq_u32_e32 vcc, s5, v16
	s_and_saveexec_b64 s[26:27], vcc
	s_cbranch_execz .LBB67_43
; %bb.42:                               ;   in Loop: Header=BB67_37 Depth=2
	v_lshl_add_u32 v16, v15, 4, v26
	ds_add_f64 v16, v[8:9]
	ds_add_f64 v16, v[10:11] offset:8
	s_xor_b64 s[24:25], exec, -1
.LBB67_43:                              ;   in Loop: Header=BB67_37 Depth=2
	s_or_b64 exec, exec, s[26:27]
	s_andn2_b64 s[20:21], s[20:21], exec
	s_and_b64 s[24:25], s[24:25], exec
	s_or_b64 s[20:21], s[20:21], s[24:25]
.LBB67_44:                              ;   in Loop: Header=BB67_37 Depth=2
	s_or_b64 exec, exec, s[22:23]
	s_and_b64 s[20:21], s[20:21], exec
.LBB67_45:                              ;   in Loop: Header=BB67_37 Depth=2
	s_andn2_saveexec_b64 s[12:13], s[12:13]
	s_cbranch_execz .LBB67_36
; %bb.46:                               ;   in Loop: Header=BB67_37 Depth=2
	v_lshl_add_u32 v16, v15, 4, v26
	ds_add_f64 v16, v[8:9]
	ds_add_f64 v16, v[10:11] offset:8
	s_andn2_b64 s[20:21], s[20:21], exec
	s_branch .LBB67_36
.LBB67_47:
	s_or_b64 exec, exec, s[6:7]
.LBB67_48:
	v_mov_b32_e32 v2, s19
	v_add_co_u32_e32 v0, vcc, s18, v0
	v_addc_co_u32_e32 v1, vcc, v2, v1, vcc
	s_waitcnt lgkmcnt(0)
	global_load_dword v0, v[0:1], off
	s_mov_b64 s[6:7], 0
	s_waitcnt vmcnt(0)
	v_subrev_u32_e32 v0, s30, v0
	s_branch .LBB67_50
.LBB67_49:                              ;   in Loop: Header=BB67_50 Depth=1
	s_or_b64 exec, exec, s[8:9]
	v_add_co_u32_e32 v22, vcc, 8, v22
	s_xor_b64 s[8:9], vcc, -1
	s_and_b64 s[8:9], exec, s[8:9]
	v_add_u32_e32 v23, 0x80, v23
	s_or_b64 s[6:7], s[8:9], s[6:7]
	v_add_u32_e32 v24, 32, v24
	s_andn2_b64 exec, exec, s[6:7]
	s_cbranch_execz .LBB67_52
.LBB67_50:                              ; =>This Inner Loop Header: Depth=1
	ds_read_b32 v1, v24
	s_waitcnt lgkmcnt(0)
	v_cmp_gt_i32_e32 vcc, s5, v1
	s_and_saveexec_b64 s[8:9], vcc
	s_cbranch_execz .LBB67_49
; %bb.51:                               ;   in Loop: Header=BB67_50 Depth=1
	ds_read_b128 v[2:5], v25
	ds_read_b128 v[6:9], v25 offset:16
	ds_read_b128 v[10:13], v25 offset:32
	;; [unrolled: 1-line block ×3, first 2 shown]
	s_waitcnt lgkmcnt(3)
	v_cmp_gt_i32_e32 vcc, v1, v2
	v_cndmask_b32_e64 v2, 0, 1, vcc
	v_cmp_gt_i32_e32 vcc, v1, v3
	v_addc_co_u32_e32 v2, vcc, v0, v2, vcc
	v_cmp_gt_i32_e32 vcc, v1, v4
	v_cndmask_b32_e64 v3, 0, 1, vcc
	v_cmp_gt_i32_e32 vcc, v1, v5
	v_addc_co_u32_e32 v2, vcc, v2, v3, vcc
	s_waitcnt lgkmcnt(2)
	v_cmp_gt_i32_e32 vcc, v1, v6
	v_cndmask_b32_e64 v3, 0, 1, vcc
	v_cmp_gt_i32_e32 vcc, v1, v7
	v_addc_co_u32_e32 v2, vcc, v2, v3, vcc
	v_cmp_gt_i32_e32 vcc, v1, v8
	v_cndmask_b32_e64 v3, 0, 1, vcc
	v_cmp_gt_i32_e32 vcc, v1, v9
	v_addc_co_u32_e32 v2, vcc, v2, v3, vcc
	;; [unrolled: 9-line block ×4, first 2 shown]
	v_ashrrev_i32_e32 v3, 31, v2
	v_lshlrev_b64 v[4:5], 2, v[2:3]
	v_mov_b32_e32 v6, s37
	v_add_co_u32_e32 v4, vcc, s36, v4
	v_add_u32_e32 v1, s30, v1
	v_addc_co_u32_e32 v5, vcc, v6, v5, vcc
	global_store_dword v[4:5], v1, off
	v_lshlrev_b64 v[6:7], 4, v[2:3]
	ds_read2_b64 v[2:5], v23 offset1:1
	v_mov_b32_e32 v1, s39
	v_add_co_u32_e32 v6, vcc, s38, v6
	v_addc_co_u32_e32 v7, vcc, v1, v7, vcc
	s_waitcnt lgkmcnt(0)
	global_store_dwordx4 v[6:7], v[2:5], off
	s_branch .LBB67_49
.LBB67_52:
	s_endpgm
	.section	.rodata,"a",@progbits
	.p2align	6, 0x0
	.amdhsa_kernel _ZN9rocsparseL23csrgemm_fill_wf_per_rowILj256ELj8ELj16ELj137Eii21rocsparse_complex_numIdEEEvT4_S3_PKS3_S5_NS_24const_host_device_scalarIT5_EEPKT3_S5_PKS7_SB_S5_SD_S8_SB_S5_SD_SB_PS3_PS7_21rocsparse_index_base_SG_SG_SG_bbb
		.amdhsa_group_segment_fixed_size 10240
		.amdhsa_private_segment_fixed_size 24
		.amdhsa_kernarg_size 172
		.amdhsa_user_sgpr_count 8
		.amdhsa_user_sgpr_private_segment_buffer 1
		.amdhsa_user_sgpr_dispatch_ptr 0
		.amdhsa_user_sgpr_queue_ptr 0
		.amdhsa_user_sgpr_kernarg_segment_ptr 1
		.amdhsa_user_sgpr_dispatch_id 0
		.amdhsa_user_sgpr_flat_scratch_init 1
		.amdhsa_user_sgpr_kernarg_preload_length 0
		.amdhsa_user_sgpr_kernarg_preload_offset 0
		.amdhsa_user_sgpr_private_segment_size 0
		.amdhsa_uses_dynamic_stack 0
		.amdhsa_system_sgpr_private_segment_wavefront_offset 1
		.amdhsa_system_sgpr_workgroup_id_x 1
		.amdhsa_system_sgpr_workgroup_id_y 0
		.amdhsa_system_sgpr_workgroup_id_z 0
		.amdhsa_system_sgpr_workgroup_info 0
		.amdhsa_system_vgpr_workitem_id 0
		.amdhsa_next_free_vgpr 36
		.amdhsa_next_free_sgpr 60
		.amdhsa_accum_offset 36
		.amdhsa_reserve_vcc 1
		.amdhsa_reserve_flat_scratch 1
		.amdhsa_float_round_mode_32 0
		.amdhsa_float_round_mode_16_64 0
		.amdhsa_float_denorm_mode_32 3
		.amdhsa_float_denorm_mode_16_64 3
		.amdhsa_dx10_clamp 1
		.amdhsa_ieee_mode 1
		.amdhsa_fp16_overflow 0
		.amdhsa_tg_split 0
		.amdhsa_exception_fp_ieee_invalid_op 0
		.amdhsa_exception_fp_denorm_src 0
		.amdhsa_exception_fp_ieee_div_zero 0
		.amdhsa_exception_fp_ieee_overflow 0
		.amdhsa_exception_fp_ieee_underflow 0
		.amdhsa_exception_fp_ieee_inexact 0
		.amdhsa_exception_int_div_zero 0
	.end_amdhsa_kernel
	.section	.text._ZN9rocsparseL23csrgemm_fill_wf_per_rowILj256ELj8ELj16ELj137Eii21rocsparse_complex_numIdEEEvT4_S3_PKS3_S5_NS_24const_host_device_scalarIT5_EEPKT3_S5_PKS7_SB_S5_SD_S8_SB_S5_SD_SB_PS3_PS7_21rocsparse_index_base_SG_SG_SG_bbb,"axG",@progbits,_ZN9rocsparseL23csrgemm_fill_wf_per_rowILj256ELj8ELj16ELj137Eii21rocsparse_complex_numIdEEEvT4_S3_PKS3_S5_NS_24const_host_device_scalarIT5_EEPKT3_S5_PKS7_SB_S5_SD_S8_SB_S5_SD_SB_PS3_PS7_21rocsparse_index_base_SG_SG_SG_bbb,comdat
.Lfunc_end67:
	.size	_ZN9rocsparseL23csrgemm_fill_wf_per_rowILj256ELj8ELj16ELj137Eii21rocsparse_complex_numIdEEEvT4_S3_PKS3_S5_NS_24const_host_device_scalarIT5_EEPKT3_S5_PKS7_SB_S5_SD_S8_SB_S5_SD_SB_PS3_PS7_21rocsparse_index_base_SG_SG_SG_bbb, .Lfunc_end67-_ZN9rocsparseL23csrgemm_fill_wf_per_rowILj256ELj8ELj16ELj137Eii21rocsparse_complex_numIdEEEvT4_S3_PKS3_S5_NS_24const_host_device_scalarIT5_EEPKT3_S5_PKS7_SB_S5_SD_S8_SB_S5_SD_SB_PS3_PS7_21rocsparse_index_base_SG_SG_SG_bbb
                                        ; -- End function
	.section	.AMDGPU.csdata,"",@progbits
; Kernel info:
; codeLenInByte = 2084
; NumSgprs: 66
; NumVgprs: 36
; NumAgprs: 0
; TotalNumVgprs: 36
; ScratchSize: 24
; MemoryBound: 0
; FloatMode: 240
; IeeeMode: 1
; LDSByteSize: 10240 bytes/workgroup (compile time only)
; SGPRBlocks: 8
; VGPRBlocks: 4
; NumSGPRsForWavesPerEU: 66
; NumVGPRsForWavesPerEU: 36
; AccumOffset: 36
; Occupancy: 6
; WaveLimiterHint : 1
; COMPUTE_PGM_RSRC2:SCRATCH_EN: 1
; COMPUTE_PGM_RSRC2:USER_SGPR: 8
; COMPUTE_PGM_RSRC2:TRAP_HANDLER: 0
; COMPUTE_PGM_RSRC2:TGID_X_EN: 1
; COMPUTE_PGM_RSRC2:TGID_Y_EN: 0
; COMPUTE_PGM_RSRC2:TGID_Z_EN: 0
; COMPUTE_PGM_RSRC2:TIDIG_COMP_CNT: 0
; COMPUTE_PGM_RSRC3_GFX90A:ACCUM_OFFSET: 8
; COMPUTE_PGM_RSRC3_GFX90A:TG_SPLIT: 0
	.section	.text._ZN9rocsparseL23csrgemm_fill_wf_per_rowILj256ELj16ELj32ELj137Eii21rocsparse_complex_numIdEEEvT4_S3_PKS3_S5_NS_24const_host_device_scalarIT5_EEPKT3_S5_PKS7_SB_S5_SD_S8_SB_S5_SD_SB_PS3_PS7_21rocsparse_index_base_SG_SG_SG_bbb,"axG",@progbits,_ZN9rocsparseL23csrgemm_fill_wf_per_rowILj256ELj16ELj32ELj137Eii21rocsparse_complex_numIdEEEvT4_S3_PKS3_S5_NS_24const_host_device_scalarIT5_EEPKT3_S5_PKS7_SB_S5_SD_S8_SB_S5_SD_SB_PS3_PS7_21rocsparse_index_base_SG_SG_SG_bbb,comdat
	.globl	_ZN9rocsparseL23csrgemm_fill_wf_per_rowILj256ELj16ELj32ELj137Eii21rocsparse_complex_numIdEEEvT4_S3_PKS3_S5_NS_24const_host_device_scalarIT5_EEPKT3_S5_PKS7_SB_S5_SD_S8_SB_S5_SD_SB_PS3_PS7_21rocsparse_index_base_SG_SG_SG_bbb ; -- Begin function _ZN9rocsparseL23csrgemm_fill_wf_per_rowILj256ELj16ELj32ELj137Eii21rocsparse_complex_numIdEEEvT4_S3_PKS3_S5_NS_24const_host_device_scalarIT5_EEPKT3_S5_PKS7_SB_S5_SD_S8_SB_S5_SD_SB_PS3_PS7_21rocsparse_index_base_SG_SG_SG_bbb
	.p2align	8
	.type	_ZN9rocsparseL23csrgemm_fill_wf_per_rowILj256ELj16ELj32ELj137Eii21rocsparse_complex_numIdEEEvT4_S3_PKS3_S5_NS_24const_host_device_scalarIT5_EEPKT3_S5_PKS7_SB_S5_SD_S8_SB_S5_SD_SB_PS3_PS7_21rocsparse_index_base_SG_SG_SG_bbb,@function
_ZN9rocsparseL23csrgemm_fill_wf_per_rowILj256ELj16ELj32ELj137Eii21rocsparse_complex_numIdEEEvT4_S3_PKS3_S5_NS_24const_host_device_scalarIT5_EEPKT3_S5_PKS7_SB_S5_SD_S8_SB_S5_SD_SB_PS3_PS7_21rocsparse_index_base_SG_SG_SG_bbb: ; @_ZN9rocsparseL23csrgemm_fill_wf_per_rowILj256ELj16ELj32ELj137Eii21rocsparse_complex_numIdEEEvT4_S3_PKS3_S5_NS_24const_host_device_scalarIT5_EEPKT3_S5_PKS7_SB_S5_SD_S8_SB_S5_SD_SB_PS3_PS7_21rocsparse_index_base_SG_SG_SG_bbb
; %bb.0:
	s_add_u32 flat_scratch_lo, s6, s9
	s_addc_u32 flat_scratch_hi, s7, 0
	s_load_dwordx4 s[12:15], s[4:5], 0x18
	s_load_dwordx4 s[48:51], s[4:5], 0x58
	s_add_u32 s0, s0, s9
	s_load_dword s9, s[4:5], 0xa8
	s_load_dwordx4 s[28:31], s[4:5], 0x98
	s_addc_u32 s1, s1, 0
	s_waitcnt lgkmcnt(0)
	v_mov_b32_e32 v1, s13
	buffer_store_dword v1, off, s[0:3], 0 offset:4
	s_bitcmp1_b32 s9, 0
	s_cselect_b64 s[52:53], -1, 0
	s_bitcmp1_b32 s9, 16
	v_mov_b32_e32 v1, s12
	s_cselect_b64 s[6:7], -1, 0
	buffer_store_dword v1, off, s[0:3], 0
	v_mov_b32_e32 v1, s49
	buffer_store_dword v1, off, s[0:3], 0 offset:12
	v_mov_b32_e32 v1, s48
	s_xor_b64 s[10:11], s[6:7], -1
	buffer_store_dword v1, off, s[0:3], 0 offset:8
	v_pk_mov_b32 v[4:5], 0, 0
	v_cndmask_b32_e64 v1, 0, 1, s[10:11]
	s_bitcmp0_b32 s9, 0
	v_cmp_ne_u32_e64 s[10:11], 1, v1
	v_pk_mov_b32 v[8:9], v[4:5], v[4:5] op_sel:[0,1]
	v_pk_mov_b32 v[10:11], v[4:5], v[4:5] op_sel:[0,1]
	s_cbranch_scc1 .LBB68_3
; %bb.1:
	s_mov_b64 s[16:17], src_private_base
	s_and_b64 s[18:19], s[6:7], exec
	s_cselect_b32 s16, s17, s13
	v_mov_b32_e32 v1, 0
	v_mov_b32_e32 v2, s12
	v_cndmask_b32_e64 v2, v2, v1, s[6:7]
	v_mov_b32_e32 v3, s16
	flat_load_dwordx2 v[8:9], v[2:3]
	s_and_b64 vcc, exec, s[10:11]
	v_pk_mov_b32 v[10:11], s[14:15], s[14:15] op_sel:[0,1]
	s_cbranch_vccnz .LBB68_3
; %bb.2:
	v_pk_mov_b32 v[2:3], s[12:13], s[12:13] op_sel:[0,1]
	flat_load_dwordx2 v[10:11], v[2:3] offset:8
.LBB68_3:
	s_load_dwordx4 s[36:39], s[4:5], 0x88
	s_load_dwordx8 s[12:19], s[4:5], 0x68
	s_load_dwordx4 s[40:43], s[4:5], 0x48
	s_load_dwordx4 s[44:47], s[4:5], 0x8
	s_load_dwordx8 s[20:27], s[4:5], 0x28
	s_bitcmp1_b32 s9, 8
	s_cselect_b64 s[34:35], -1, 0
	s_bfe_u32 s9, s9, 0x10008
	s_mov_b64 s[54:55], 0
	s_cmp_eq_u32 s9, 0
	v_pk_mov_b32 v[6:7], v[4:5], v[4:5] op_sel:[0,1]
	s_cbranch_scc1 .LBB68_6
; %bb.4:
	s_mov_b64 s[56:57], src_private_base
	s_and_b64 s[58:59], s[6:7], exec
	s_cselect_b32 s9, s57, s49
	v_mov_b32_e32 v1, 8
	v_mov_b32_e32 v2, s48
	v_cndmask_b32_e64 v2, v2, v1, s[6:7]
	v_mov_b32_e32 v3, s9
	flat_load_dwordx2 v[6:7], v[2:3]
	s_and_b64 vcc, exec, s[10:11]
	v_pk_mov_b32 v[4:5], s[50:51], s[50:51] op_sel:[0,1]
	s_cbranch_vccnz .LBB68_6
; %bb.5:
	v_pk_mov_b32 v[2:3], s[48:49], s[48:49] op_sel:[0,1]
	flat_load_dwordx2 v[4:5], v[2:3] offset:8
.LBB68_6:
	s_load_dwordx2 s[4:5], s[4:5], 0x0
	v_and_b32_e32 v27, 15, v0
	v_lshrrev_b32_e32 v12, 4, v0
	v_lshlrev_b32_e32 v0, 4, v27
	v_lshl_or_b32 v23, v12, 9, v0
	v_lshlrev_b32_e32 v0, 7, v12
	v_lshlrev_b32_e32 v1, 2, v27
	s_movk_i32 s6, 0x2000
	v_or_b32_e32 v22, -16, v27
	v_or3_b32 v24, v0, v1, s6
	v_mov_b32_e32 v0, 0
	s_waitcnt lgkmcnt(0)
	v_mov_b32_e32 v13, s5
	v_mov_b32_e32 v1, v0
	;; [unrolled: 1-line block ×7, first 2 shown]
.LBB68_7:                               ; =>This Inner Loop Header: Depth=1
	v_add_co_u32_e32 v16, vcc, 16, v16
	s_xor_b64 s[6:7], vcc, -1
	s_and_b64 s[6:7], exec, s[6:7]
	ds_write_b32 v14, v13
	ds_write_b128 v15, v[0:3]
	v_add_u32_e32 v15, 0x100, v15
	s_or_b64 s[54:55], s[6:7], s[54:55]
	v_add_u32_e32 v14, 64, v14
	s_andn2_b64 exec, exec, s[54:55]
	s_cbranch_execnz .LBB68_7
; %bb.8:
	s_or_b64 exec, exec, s[54:55]
	s_lshl_b32 s6, s8, 4
	s_and_b32 s6, s6, 0xffffff0
	v_or_b32_e32 v0, s6, v12
	v_cmp_gt_i32_e32 vcc, s4, v0
	s_waitcnt lgkmcnt(0)
	s_and_saveexec_b64 s[6:7], vcc
	s_cbranch_execz .LBB68_52
; %bb.9:
	s_cmp_eq_u64 s[46:47], 0
	s_cbranch_scc1 .LBB68_11
; %bb.10:
	s_load_dword s4, s[44:45], 0x0
	v_mov_b32_e32 v2, s47
	s_waitcnt lgkmcnt(0)
	v_add_u32_e32 v0, s4, v0
	v_ashrrev_i32_e32 v1, 31, v0
	v_lshlrev_b64 v[0:1], 2, v[0:1]
	v_add_co_u32_e32 v0, vcc, s46, v0
	v_addc_co_u32_e32 v1, vcc, v2, v1, vcc
	global_load_dword v0, v[0:1], off
.LBB68_11:
	v_mov_b32_e32 v1, 0x2000
	v_lshl_or_b32 v25, v12, 7, v1
	s_waitcnt vmcnt(0)
	v_ashrrev_i32_e32 v1, 31, v0
	v_lshlrev_b32_e32 v26, 9, v12
	s_andn2_b64 vcc, exec, s[52:53]
	v_lshlrev_b64 v[0:1], 2, v[0:1]
	s_cbranch_vccnz .LBB68_31
; %bb.12:
	v_mov_b32_e32 v3, s21
	v_add_co_u32_e32 v2, vcc, s20, v0
	v_addc_co_u32_e32 v3, vcc, v3, v1, vcc
	global_load_dwordx2 v[2:3], v[2:3], off
	v_subrev_u32_e32 v12, s28, v27
	s_waitcnt vmcnt(0)
	v_subrev_u32_e32 v28, s28, v3
	v_add_u32_e32 v2, v2, v12
	v_cmp_lt_i32_e32 vcc, v2, v28
	s_and_saveexec_b64 s[6:7], vcc
	s_cbranch_execz .LBB68_30
; %bb.13:
	s_mov_b64 s[8:9], 0
	v_mov_b32_e32 v29, s23
	v_mov_b32_e32 v30, s27
	s_branch .LBB68_15
.LBB68_14:                              ;   in Loop: Header=BB68_15 Depth=1
	s_or_b64 exec, exec, s[10:11]
	v_add_u32_e32 v2, 16, v2
	v_cmp_ge_i32_e32 vcc, v2, v28
	s_or_b64 s[8:9], vcc, s[8:9]
	s_andn2_b64 exec, exec, s[8:9]
	s_cbranch_execz .LBB68_30
.LBB68_15:                              ; =>This Loop Header: Depth=1
                                        ;     Child Loop BB68_18 Depth 2
                                        ;       Child Loop BB68_20 Depth 3
	v_ashrrev_i32_e32 v3, 31, v2
	v_lshlrev_b64 v[12:13], 2, v[2:3]
	v_add_co_u32_e32 v12, vcc, s22, v12
	v_addc_co_u32_e32 v13, vcc, v29, v13, vcc
	global_load_dword v12, v[12:13], off
	s_waitcnt vmcnt(0)
	v_subrev_u32_e32 v12, s28, v12
	v_ashrrev_i32_e32 v13, 31, v12
	v_lshlrev_b64 v[12:13], 2, v[12:13]
	v_add_co_u32_e32 v12, vcc, s26, v12
	v_addc_co_u32_e32 v13, vcc, v30, v13, vcc
	global_load_dwordx2 v[12:13], v[12:13], off
	s_waitcnt vmcnt(0)
	v_cmp_lt_i32_e32 vcc, v12, v13
	s_and_saveexec_b64 s[10:11], vcc
	s_cbranch_execz .LBB68_14
; %bb.16:                               ;   in Loop: Header=BB68_15 Depth=1
	v_lshlrev_b64 v[14:15], 4, v[2:3]
	v_mov_b32_e32 v3, s25
	v_add_co_u32_e32 v14, vcc, s24, v14
	v_addc_co_u32_e32 v15, vcc, v3, v15, vcc
	global_load_dwordx4 v[18:21], v[14:15], off
	v_subrev_u32_e32 v3, s29, v13
	v_subrev_u32_e32 v12, s29, v12
	s_mov_b64 s[20:21], 0
	s_waitcnt vmcnt(0)
	v_mul_f64 v[14:15], v[20:21], -v[10:11]
	v_mul_f64 v[16:17], v[8:9], v[20:21]
	v_fmac_f64_e32 v[14:15], v[8:9], v[18:19]
	v_fmac_f64_e32 v[16:17], v[10:11], v[18:19]
	s_branch .LBB68_18
.LBB68_17:                              ;   in Loop: Header=BB68_18 Depth=2
	s_or_b64 exec, exec, s[44:45]
	v_add_u32_e32 v12, 1, v12
	v_cmp_ge_i32_e32 vcc, v12, v3
	s_or_b64 s[20:21], vcc, s[20:21]
	s_andn2_b64 exec, exec, s[20:21]
	s_cbranch_execz .LBB68_14
.LBB68_18:                              ;   Parent Loop BB68_15 Depth=1
                                        ; =>  This Loop Header: Depth=2
                                        ;       Child Loop BB68_20 Depth 3
	v_ashrrev_i32_e32 v13, 31, v12
	v_lshlrev_b64 v[18:19], 2, v[12:13]
	v_mov_b32_e32 v20, s41
	v_add_co_u32_e32 v18, vcc, s40, v18
	v_addc_co_u32_e32 v19, vcc, v20, v19, vcc
	global_load_dword v20, v[18:19], off
	v_lshlrev_b64 v[18:19], 4, v[12:13]
	v_mov_b32_e32 v13, s43
	v_add_co_u32_e32 v18, vcc, s42, v18
	v_addc_co_u32_e32 v19, vcc, v13, v19, vcc
	global_load_dwordx4 v[32:35], v[18:19], off
	s_mov_b64 s[44:45], 0
	s_waitcnt vmcnt(1)
	v_subrev_u32_e32 v13, s29, v20
	v_lshl_add_u32 v31, v13, 3, v13
	v_and_b32_e32 v31, 31, v31
	s_waitcnt vmcnt(0)
	v_mul_f64 v[18:19], v[34:35], -v[16:17]
	v_mul_f64 v[20:21], v[14:15], v[34:35]
	v_fmac_f64_e32 v[18:19], v[14:15], v[32:33]
	v_fmac_f64_e32 v[20:21], v[16:17], v[32:33]
	s_branch .LBB68_20
.LBB68_19:                              ;   in Loop: Header=BB68_20 Depth=3
	s_or_b64 exec, exec, s[46:47]
	s_xor_b64 s[46:47], s[48:49], -1
	s_and_b64 s[46:47], exec, s[46:47]
	s_or_b64 s[44:45], s[46:47], s[44:45]
	s_andn2_b64 exec, exec, s[44:45]
	s_cbranch_execz .LBB68_17
.LBB68_20:                              ;   Parent Loop BB68_15 Depth=1
                                        ;     Parent Loop BB68_18 Depth=2
                                        ; =>    This Inner Loop Header: Depth=3
	v_lshl_add_u32 v32, v31, 2, v25
	ds_read_b32 v33, v32
                                        ; implicit-def: $sgpr48_sgpr49
	s_waitcnt lgkmcnt(0)
	v_cmp_ne_u32_e32 vcc, v33, v13
	s_and_saveexec_b64 s[46:47], vcc
	s_xor_b64 s[46:47], exec, s[46:47]
	s_cbranch_execz .LBB68_28
; %bb.21:                               ;   in Loop: Header=BB68_20 Depth=3
	v_cmp_ne_u32_e32 vcc, s5, v33
                                        ; implicit-def: $sgpr48_sgpr49
	s_and_saveexec_b64 s[50:51], vcc
	s_xor_b64 s[50:51], exec, s[50:51]
; %bb.22:                               ;   in Loop: Header=BB68_20 Depth=3
	v_add_u32_e32 v31, 1, v31
	v_and_b32_e32 v31, 31, v31
	s_mov_b64 s[48:49], -1
                                        ; implicit-def: $vgpr32
; %bb.23:                               ;   in Loop: Header=BB68_20 Depth=3
	s_andn2_saveexec_b64 s[50:51], s[50:51]
	s_cbranch_execz .LBB68_27
; %bb.24:                               ;   in Loop: Header=BB68_20 Depth=3
	v_mov_b32_e32 v33, s5
	ds_cmpst_rtn_b32 v32, v32, v33, v13
	s_mov_b64 s[52:53], -1
	s_waitcnt lgkmcnt(0)
	v_cmp_eq_u32_e32 vcc, s5, v32
	s_and_saveexec_b64 s[54:55], vcc
	s_cbranch_execz .LBB68_26
; %bb.25:                               ;   in Loop: Header=BB68_20 Depth=3
	v_lshl_add_u32 v32, v31, 4, v26
	ds_add_f64 v32, v[18:19]
	ds_add_f64 v32, v[20:21] offset:8
	s_xor_b64 s[52:53], exec, -1
.LBB68_26:                              ;   in Loop: Header=BB68_20 Depth=3
	s_or_b64 exec, exec, s[54:55]
	s_andn2_b64 s[48:49], s[48:49], exec
	s_and_b64 s[52:53], s[52:53], exec
	s_or_b64 s[48:49], s[48:49], s[52:53]
.LBB68_27:                              ;   in Loop: Header=BB68_20 Depth=3
	s_or_b64 exec, exec, s[50:51]
	s_and_b64 s[48:49], s[48:49], exec
.LBB68_28:                              ;   in Loop: Header=BB68_20 Depth=3
	s_andn2_saveexec_b64 s[46:47], s[46:47]
	s_cbranch_execz .LBB68_19
; %bb.29:                               ;   in Loop: Header=BB68_20 Depth=3
	v_lshl_add_u32 v32, v31, 4, v26
	ds_add_f64 v32, v[18:19]
	ds_add_f64 v32, v[20:21] offset:8
	s_andn2_b64 s[48:49], s[48:49], exec
	s_branch .LBB68_19
.LBB68_30:
	s_or_b64 exec, exec, s[6:7]
.LBB68_31:
	s_andn2_b64 vcc, exec, s[34:35]
	s_cbranch_vccnz .LBB68_48
; %bb.32:
	v_mov_b32_e32 v3, s13
	v_add_co_u32_e32 v2, vcc, s12, v0
	v_addc_co_u32_e32 v3, vcc, v3, v1, vcc
	global_load_dwordx2 v[2:3], v[2:3], off
	v_subrev_u32_e32 v8, s31, v27
	s_waitcnt vmcnt(0)
	v_subrev_u32_e32 v12, s31, v3
	v_add_u32_e32 v2, v2, v8
	v_cmp_lt_i32_e32 vcc, v2, v12
	s_and_saveexec_b64 s[6:7], vcc
	s_cbranch_execz .LBB68_47
; %bb.33:
	s_mov_b64 s[8:9], 0
	v_mov_b32_e32 v13, s15
	v_mov_b32_e32 v14, s17
	s_branch .LBB68_35
.LBB68_34:                              ;   in Loop: Header=BB68_35 Depth=1
	s_or_b64 exec, exec, s[10:11]
	v_add_u32_e32 v2, 16, v2
	v_cmp_ge_i32_e32 vcc, v2, v12
	s_or_b64 s[8:9], vcc, s[8:9]
	s_andn2_b64 exec, exec, s[8:9]
	s_cbranch_execz .LBB68_47
.LBB68_35:                              ; =>This Loop Header: Depth=1
                                        ;     Child Loop BB68_37 Depth 2
	v_ashrrev_i32_e32 v3, 31, v2
	v_lshlrev_b64 v[8:9], 2, v[2:3]
	v_add_co_u32_e32 v8, vcc, s14, v8
	v_addc_co_u32_e32 v9, vcc, v13, v9, vcc
	global_load_dword v10, v[8:9], off
	v_lshlrev_b64 v[8:9], 4, v[2:3]
	v_add_co_u32_e32 v8, vcc, s16, v8
	v_addc_co_u32_e32 v9, vcc, v14, v9, vcc
	global_load_dwordx4 v[16:19], v[8:9], off
	s_mov_b64 s[10:11], 0
	s_waitcnt vmcnt(1)
	v_subrev_u32_e32 v3, s31, v10
	v_lshl_add_u32 v15, v3, 3, v3
	v_and_b32_e32 v15, 31, v15
	s_waitcnt vmcnt(0)
	v_mul_f64 v[8:9], v[18:19], -v[4:5]
	v_mul_f64 v[10:11], v[6:7], v[18:19]
	v_fmac_f64_e32 v[8:9], v[6:7], v[16:17]
	v_fmac_f64_e32 v[10:11], v[4:5], v[16:17]
	s_branch .LBB68_37
.LBB68_36:                              ;   in Loop: Header=BB68_37 Depth=2
	s_or_b64 exec, exec, s[12:13]
	s_xor_b64 s[12:13], s[20:21], -1
	s_and_b64 s[12:13], exec, s[12:13]
	s_or_b64 s[10:11], s[12:13], s[10:11]
	s_andn2_b64 exec, exec, s[10:11]
	s_cbranch_execz .LBB68_34
.LBB68_37:                              ;   Parent Loop BB68_35 Depth=1
                                        ; =>  This Inner Loop Header: Depth=2
	v_lshl_add_u32 v16, v15, 2, v25
	ds_read_b32 v17, v16
                                        ; implicit-def: $sgpr20_sgpr21
	s_waitcnt lgkmcnt(0)
	v_cmp_ne_u32_e32 vcc, v17, v3
	s_and_saveexec_b64 s[12:13], vcc
	s_xor_b64 s[12:13], exec, s[12:13]
	s_cbranch_execz .LBB68_45
; %bb.38:                               ;   in Loop: Header=BB68_37 Depth=2
	v_cmp_ne_u32_e32 vcc, s5, v17
                                        ; implicit-def: $sgpr20_sgpr21
	s_and_saveexec_b64 s[22:23], vcc
	s_xor_b64 s[22:23], exec, s[22:23]
; %bb.39:                               ;   in Loop: Header=BB68_37 Depth=2
	v_add_u32_e32 v15, 1, v15
	v_and_b32_e32 v15, 31, v15
	s_mov_b64 s[20:21], -1
                                        ; implicit-def: $vgpr16
; %bb.40:                               ;   in Loop: Header=BB68_37 Depth=2
	s_andn2_saveexec_b64 s[22:23], s[22:23]
	s_cbranch_execz .LBB68_44
; %bb.41:                               ;   in Loop: Header=BB68_37 Depth=2
	v_mov_b32_e32 v17, s5
	ds_cmpst_rtn_b32 v16, v16, v17, v3
	s_mov_b64 s[24:25], -1
	s_waitcnt lgkmcnt(0)
	v_cmp_eq_u32_e32 vcc, s5, v16
	s_and_saveexec_b64 s[26:27], vcc
	s_cbranch_execz .LBB68_43
; %bb.42:                               ;   in Loop: Header=BB68_37 Depth=2
	v_lshl_add_u32 v16, v15, 4, v26
	ds_add_f64 v16, v[8:9]
	ds_add_f64 v16, v[10:11] offset:8
	s_xor_b64 s[24:25], exec, -1
.LBB68_43:                              ;   in Loop: Header=BB68_37 Depth=2
	s_or_b64 exec, exec, s[26:27]
	s_andn2_b64 s[20:21], s[20:21], exec
	s_and_b64 s[24:25], s[24:25], exec
	s_or_b64 s[20:21], s[20:21], s[24:25]
.LBB68_44:                              ;   in Loop: Header=BB68_37 Depth=2
	s_or_b64 exec, exec, s[22:23]
	s_and_b64 s[20:21], s[20:21], exec
.LBB68_45:                              ;   in Loop: Header=BB68_37 Depth=2
	s_andn2_saveexec_b64 s[12:13], s[12:13]
	s_cbranch_execz .LBB68_36
; %bb.46:                               ;   in Loop: Header=BB68_37 Depth=2
	v_lshl_add_u32 v16, v15, 4, v26
	ds_add_f64 v16, v[8:9]
	ds_add_f64 v16, v[10:11] offset:8
	s_andn2_b64 s[20:21], s[20:21], exec
	s_branch .LBB68_36
.LBB68_47:
	s_or_b64 exec, exec, s[6:7]
.LBB68_48:
	v_mov_b32_e32 v2, s19
	v_add_co_u32_e32 v0, vcc, s18, v0
	v_addc_co_u32_e32 v1, vcc, v2, v1, vcc
	s_waitcnt lgkmcnt(0)
	global_load_dword v0, v[0:1], off
	s_mov_b64 s[6:7], 0
	s_waitcnt vmcnt(0)
	v_subrev_u32_e32 v0, s30, v0
	s_branch .LBB68_50
.LBB68_49:                              ;   in Loop: Header=BB68_50 Depth=1
	s_or_b64 exec, exec, s[8:9]
	v_add_co_u32_e32 v22, vcc, 16, v22
	s_xor_b64 s[8:9], vcc, -1
	s_and_b64 s[8:9], exec, s[8:9]
	v_add_u32_e32 v23, 0x100, v23
	s_or_b64 s[6:7], s[8:9], s[6:7]
	v_add_u32_e32 v24, 64, v24
	s_andn2_b64 exec, exec, s[6:7]
	s_cbranch_execz .LBB68_52
.LBB68_50:                              ; =>This Inner Loop Header: Depth=1
	ds_read_b32 v1, v24
	s_waitcnt lgkmcnt(0)
	v_cmp_gt_i32_e32 vcc, s5, v1
	s_and_saveexec_b64 s[8:9], vcc
	s_cbranch_execz .LBB68_49
; %bb.51:                               ;   in Loop: Header=BB68_50 Depth=1
	ds_read_b128 v[2:5], v25
	ds_read_b128 v[6:9], v25 offset:16
	ds_read_b128 v[10:13], v25 offset:32
	;; [unrolled: 1-line block ×3, first 2 shown]
	s_waitcnt lgkmcnt(3)
	v_cmp_gt_i32_e32 vcc, v1, v2
	v_cndmask_b32_e64 v2, 0, 1, vcc
	v_cmp_gt_i32_e32 vcc, v1, v3
	v_addc_co_u32_e32 v2, vcc, v0, v2, vcc
	v_cmp_gt_i32_e32 vcc, v1, v4
	v_cndmask_b32_e64 v3, 0, 1, vcc
	v_cmp_gt_i32_e32 vcc, v1, v5
	v_addc_co_u32_e32 v2, vcc, v2, v3, vcc
	s_waitcnt lgkmcnt(2)
	v_cmp_gt_i32_e32 vcc, v1, v6
	v_cndmask_b32_e64 v3, 0, 1, vcc
	v_cmp_gt_i32_e32 vcc, v1, v7
	v_addc_co_u32_e32 v2, vcc, v2, v3, vcc
	v_cmp_gt_i32_e32 vcc, v1, v8
	v_cndmask_b32_e64 v3, 0, 1, vcc
	v_cmp_gt_i32_e32 vcc, v1, v9
	v_addc_co_u32_e32 v2, vcc, v2, v3, vcc
	;; [unrolled: 9-line block ×3, first 2 shown]
	s_waitcnt lgkmcnt(0)
	v_cmp_gt_i32_e32 vcc, v1, v14
	v_cndmask_b32_e64 v3, 0, 1, vcc
	v_cmp_gt_i32_e32 vcc, v1, v15
	v_addc_co_u32_e32 v6, vcc, v2, v3, vcc
	ds_read_b128 v[2:5], v25 offset:64
	v_cmp_gt_i32_e32 vcc, v1, v16
	v_cndmask_b32_e64 v7, 0, 1, vcc
	v_cmp_gt_i32_e32 vcc, v1, v17
	v_addc_co_u32_e32 v10, vcc, v6, v7, vcc
	ds_read_b128 v[6:9], v25 offset:80
	s_waitcnt lgkmcnt(1)
	v_cmp_gt_i32_e32 vcc, v1, v2
	v_cndmask_b32_e64 v2, 0, 1, vcc
	v_cmp_gt_i32_e32 vcc, v1, v3
	v_addc_co_u32_e32 v2, vcc, v10, v2, vcc
	v_cmp_gt_i32_e32 vcc, v1, v4
	v_cndmask_b32_e64 v3, 0, 1, vcc
	v_cmp_gt_i32_e32 vcc, v1, v5
	v_addc_co_u32_e32 v2, vcc, v2, v3, vcc
	s_waitcnt lgkmcnt(0)
	v_cmp_gt_i32_e32 vcc, v1, v6
	v_cndmask_b32_e64 v3, 0, 1, vcc
	v_cmp_gt_i32_e32 vcc, v1, v7
	v_addc_co_u32_e32 v6, vcc, v2, v3, vcc
	ds_read_b128 v[2:5], v25 offset:96
	v_cmp_gt_i32_e32 vcc, v1, v8
	v_cndmask_b32_e64 v7, 0, 1, vcc
	v_cmp_gt_i32_e32 vcc, v1, v9
	v_addc_co_u32_e32 v10, vcc, v6, v7, vcc
	ds_read_b128 v[6:9], v25 offset:112
	s_waitcnt lgkmcnt(1)
	v_cmp_gt_i32_e32 vcc, v1, v2
	v_cndmask_b32_e64 v2, 0, 1, vcc
	v_cmp_gt_i32_e32 vcc, v1, v3
	v_addc_co_u32_e32 v2, vcc, v10, v2, vcc
	v_cmp_gt_i32_e32 vcc, v1, v4
	v_cndmask_b32_e64 v3, 0, 1, vcc
	v_cmp_gt_i32_e32 vcc, v1, v5
	v_addc_co_u32_e32 v2, vcc, v2, v3, vcc
	s_waitcnt lgkmcnt(0)
	v_cmp_gt_i32_e32 vcc, v1, v6
	v_cndmask_b32_e64 v3, 0, 1, vcc
	v_cmp_gt_i32_e32 vcc, v1, v7
	v_addc_co_u32_e32 v2, vcc, v2, v3, vcc
	v_cmp_gt_i32_e32 vcc, v1, v8
	v_cndmask_b32_e64 v3, 0, 1, vcc
	v_cmp_gt_i32_e32 vcc, v1, v9
	v_addc_co_u32_e32 v2, vcc, v2, v3, vcc
	v_ashrrev_i32_e32 v3, 31, v2
	v_lshlrev_b64 v[4:5], 2, v[2:3]
	v_mov_b32_e32 v6, s37
	v_add_co_u32_e32 v4, vcc, s36, v4
	v_add_u32_e32 v1, s30, v1
	v_addc_co_u32_e32 v5, vcc, v6, v5, vcc
	global_store_dword v[4:5], v1, off
	v_lshlrev_b64 v[6:7], 4, v[2:3]
	ds_read2_b64 v[2:5], v23 offset1:1
	v_mov_b32_e32 v1, s39
	v_add_co_u32_e32 v6, vcc, s38, v6
	v_addc_co_u32_e32 v7, vcc, v1, v7, vcc
	s_waitcnt lgkmcnt(0)
	global_store_dwordx4 v[6:7], v[2:5], off
	s_branch .LBB68_49
.LBB68_52:
	s_endpgm
	.section	.rodata,"a",@progbits
	.p2align	6, 0x0
	.amdhsa_kernel _ZN9rocsparseL23csrgemm_fill_wf_per_rowILj256ELj16ELj32ELj137Eii21rocsparse_complex_numIdEEEvT4_S3_PKS3_S5_NS_24const_host_device_scalarIT5_EEPKT3_S5_PKS7_SB_S5_SD_S8_SB_S5_SD_SB_PS3_PS7_21rocsparse_index_base_SG_SG_SG_bbb
		.amdhsa_group_segment_fixed_size 10240
		.amdhsa_private_segment_fixed_size 24
		.amdhsa_kernarg_size 172
		.amdhsa_user_sgpr_count 8
		.amdhsa_user_sgpr_private_segment_buffer 1
		.amdhsa_user_sgpr_dispatch_ptr 0
		.amdhsa_user_sgpr_queue_ptr 0
		.amdhsa_user_sgpr_kernarg_segment_ptr 1
		.amdhsa_user_sgpr_dispatch_id 0
		.amdhsa_user_sgpr_flat_scratch_init 1
		.amdhsa_user_sgpr_kernarg_preload_length 0
		.amdhsa_user_sgpr_kernarg_preload_offset 0
		.amdhsa_user_sgpr_private_segment_size 0
		.amdhsa_uses_dynamic_stack 0
		.amdhsa_system_sgpr_private_segment_wavefront_offset 1
		.amdhsa_system_sgpr_workgroup_id_x 1
		.amdhsa_system_sgpr_workgroup_id_y 0
		.amdhsa_system_sgpr_workgroup_id_z 0
		.amdhsa_system_sgpr_workgroup_info 0
		.amdhsa_system_vgpr_workitem_id 0
		.amdhsa_next_free_vgpr 36
		.amdhsa_next_free_sgpr 60
		.amdhsa_accum_offset 36
		.amdhsa_reserve_vcc 1
		.amdhsa_reserve_flat_scratch 1
		.amdhsa_float_round_mode_32 0
		.amdhsa_float_round_mode_16_64 0
		.amdhsa_float_denorm_mode_32 3
		.amdhsa_float_denorm_mode_16_64 3
		.amdhsa_dx10_clamp 1
		.amdhsa_ieee_mode 1
		.amdhsa_fp16_overflow 0
		.amdhsa_tg_split 0
		.amdhsa_exception_fp_ieee_invalid_op 0
		.amdhsa_exception_fp_denorm_src 0
		.amdhsa_exception_fp_ieee_div_zero 0
		.amdhsa_exception_fp_ieee_overflow 0
		.amdhsa_exception_fp_ieee_underflow 0
		.amdhsa_exception_fp_ieee_inexact 0
		.amdhsa_exception_int_div_zero 0
	.end_amdhsa_kernel
	.section	.text._ZN9rocsparseL23csrgemm_fill_wf_per_rowILj256ELj16ELj32ELj137Eii21rocsparse_complex_numIdEEEvT4_S3_PKS3_S5_NS_24const_host_device_scalarIT5_EEPKT3_S5_PKS7_SB_S5_SD_S8_SB_S5_SD_SB_PS3_PS7_21rocsparse_index_base_SG_SG_SG_bbb,"axG",@progbits,_ZN9rocsparseL23csrgemm_fill_wf_per_rowILj256ELj16ELj32ELj137Eii21rocsparse_complex_numIdEEEvT4_S3_PKS3_S5_NS_24const_host_device_scalarIT5_EEPKT3_S5_PKS7_SB_S5_SD_S8_SB_S5_SD_SB_PS3_PS7_21rocsparse_index_base_SG_SG_SG_bbb,comdat
.Lfunc_end68:
	.size	_ZN9rocsparseL23csrgemm_fill_wf_per_rowILj256ELj16ELj32ELj137Eii21rocsparse_complex_numIdEEEvT4_S3_PKS3_S5_NS_24const_host_device_scalarIT5_EEPKT3_S5_PKS7_SB_S5_SD_S8_SB_S5_SD_SB_PS3_PS7_21rocsparse_index_base_SG_SG_SG_bbb, .Lfunc_end68-_ZN9rocsparseL23csrgemm_fill_wf_per_rowILj256ELj16ELj32ELj137Eii21rocsparse_complex_numIdEEEvT4_S3_PKS3_S5_NS_24const_host_device_scalarIT5_EEPKT3_S5_PKS7_SB_S5_SD_S8_SB_S5_SD_SB_PS3_PS7_21rocsparse_index_base_SG_SG_SG_bbb
                                        ; -- End function
	.section	.AMDGPU.csdata,"",@progbits
; Kernel info:
; codeLenInByte = 2292
; NumSgprs: 66
; NumVgprs: 36
; NumAgprs: 0
; TotalNumVgprs: 36
; ScratchSize: 24
; MemoryBound: 0
; FloatMode: 240
; IeeeMode: 1
; LDSByteSize: 10240 bytes/workgroup (compile time only)
; SGPRBlocks: 8
; VGPRBlocks: 4
; NumSGPRsForWavesPerEU: 66
; NumVGPRsForWavesPerEU: 36
; AccumOffset: 36
; Occupancy: 6
; WaveLimiterHint : 1
; COMPUTE_PGM_RSRC2:SCRATCH_EN: 1
; COMPUTE_PGM_RSRC2:USER_SGPR: 8
; COMPUTE_PGM_RSRC2:TRAP_HANDLER: 0
; COMPUTE_PGM_RSRC2:TGID_X_EN: 1
; COMPUTE_PGM_RSRC2:TGID_Y_EN: 0
; COMPUTE_PGM_RSRC2:TGID_Z_EN: 0
; COMPUTE_PGM_RSRC2:TIDIG_COMP_CNT: 0
; COMPUTE_PGM_RSRC3_GFX90A:ACCUM_OFFSET: 8
; COMPUTE_PGM_RSRC3_GFX90A:TG_SPLIT: 0
	.section	.text._ZN9rocsparseL26csrgemm_fill_block_per_rowILj128ELj16ELj256ELj137ELj32Eii21rocsparse_complex_numIdEEEvT5_PKS3_S5_NS_24const_host_device_scalarIT6_EEPKT4_S5_PKS7_SB_S5_SD_S8_SB_S5_SD_SB_PS3_PS7_21rocsparse_index_base_SG_SG_SG_bbb,"axG",@progbits,_ZN9rocsparseL26csrgemm_fill_block_per_rowILj128ELj16ELj256ELj137ELj32Eii21rocsparse_complex_numIdEEEvT5_PKS3_S5_NS_24const_host_device_scalarIT6_EEPKT4_S5_PKS7_SB_S5_SD_S8_SB_S5_SD_SB_PS3_PS7_21rocsparse_index_base_SG_SG_SG_bbb,comdat
	.globl	_ZN9rocsparseL26csrgemm_fill_block_per_rowILj128ELj16ELj256ELj137ELj32Eii21rocsparse_complex_numIdEEEvT5_PKS3_S5_NS_24const_host_device_scalarIT6_EEPKT4_S5_PKS7_SB_S5_SD_S8_SB_S5_SD_SB_PS3_PS7_21rocsparse_index_base_SG_SG_SG_bbb ; -- Begin function _ZN9rocsparseL26csrgemm_fill_block_per_rowILj128ELj16ELj256ELj137ELj32Eii21rocsparse_complex_numIdEEEvT5_PKS3_S5_NS_24const_host_device_scalarIT6_EEPKT4_S5_PKS7_SB_S5_SD_S8_SB_S5_SD_SB_PS3_PS7_21rocsparse_index_base_SG_SG_SG_bbb
	.p2align	8
	.type	_ZN9rocsparseL26csrgemm_fill_block_per_rowILj128ELj16ELj256ELj137ELj32Eii21rocsparse_complex_numIdEEEvT5_PKS3_S5_NS_24const_host_device_scalarIT6_EEPKT4_S5_PKS7_SB_S5_SD_S8_SB_S5_SD_SB_PS3_PS7_21rocsparse_index_base_SG_SG_SG_bbb,@function
_ZN9rocsparseL26csrgemm_fill_block_per_rowILj128ELj16ELj256ELj137ELj32Eii21rocsparse_complex_numIdEEEvT5_PKS3_S5_NS_24const_host_device_scalarIT6_EEPKT4_S5_PKS7_SB_S5_SD_S8_SB_S5_SD_SB_PS3_PS7_21rocsparse_index_base_SG_SG_SG_bbb: ; @_ZN9rocsparseL26csrgemm_fill_block_per_rowILj128ELj16ELj256ELj137ELj32Eii21rocsparse_complex_numIdEEEvT5_PKS3_S5_NS_24const_host_device_scalarIT6_EEPKT4_S5_PKS7_SB_S5_SD_S8_SB_S5_SD_SB_PS3_PS7_21rocsparse_index_base_SG_SG_SG_bbb
; %bb.0:
	s_add_u32 flat_scratch_lo, s6, s9
	s_addc_u32 flat_scratch_hi, s7, 0
	s_add_u32 s0, s0, s9
	s_load_dword s9, s[4:5], 0xa8
	s_load_dwordx4 s[16:19], s[4:5], 0x18
	s_load_dwordx4 s[12:15], s[4:5], 0x58
	s_addc_u32 s1, s1, 0
	v_pk_mov_b32 v[2:3], 0, 0
	s_waitcnt lgkmcnt(0)
	s_bitcmp1_b32 s9, 0
	v_mov_b32_e32 v1, s17
	s_cselect_b64 s[50:51], -1, 0
	s_bitcmp1_b32 s9, 16
	buffer_store_dword v1, off, s[0:3], 0 offset:20
	v_mov_b32_e32 v1, s16
	s_cselect_b64 s[6:7], -1, 0
	buffer_store_dword v1, off, s[0:3], 0 offset:16
	v_mov_b32_e32 v1, s13
	buffer_store_dword v1, off, s[0:3], 0 offset:28
	v_mov_b32_e32 v1, s12
	s_xor_b64 s[10:11], s[6:7], -1
	buffer_store_dword v1, off, s[0:3], 0 offset:24
	v_cndmask_b32_e64 v1, 0, 1, s[10:11]
	s_bitcmp0_b32 s9, 0
	v_cmp_ne_u32_e64 s[10:11], 1, v1
	v_pk_mov_b32 v[6:7], v[2:3], v[2:3] op_sel:[0,1]
	v_pk_mov_b32 v[8:9], v[2:3], v[2:3] op_sel:[0,1]
	s_cbranch_scc1 .LBB69_3
; %bb.1:
	s_mov_b64 s[20:21], src_private_base
	s_and_b64 s[22:23], s[6:7], exec
	s_cselect_b32 s20, s21, s17
	v_mov_b32_e32 v1, 16
	v_mov_b32_e32 v4, s16
	v_cndmask_b32_e64 v4, v4, v1, s[6:7]
	v_mov_b32_e32 v5, s20
	flat_load_dwordx2 v[6:7], v[4:5]
	s_and_b64 vcc, exec, s[10:11]
	v_pk_mov_b32 v[8:9], s[18:19], s[18:19] op_sel:[0,1]
	s_cbranch_vccnz .LBB69_3
; %bb.2:
	v_pk_mov_b32 v[4:5], s[16:17], s[16:17] op_sel:[0,1]
	flat_load_dwordx2 v[8:9], v[4:5] offset:8
.LBB69_3:
	s_load_dwordx4 s[28:31], s[4:5], 0x98
	s_bitcmp1_b32 s9, 8
	s_cselect_b64 s[48:49], -1, 0
	s_bfe_u32 s9, s9, 0x10008
	s_cmp_eq_u32 s9, 0
	v_pk_mov_b32 v[4:5], v[2:3], v[2:3] op_sel:[0,1]
	s_cbranch_scc1 .LBB69_6
; %bb.4:
	s_mov_b64 s[16:17], src_private_base
	s_and_b64 s[18:19], s[6:7], exec
	s_cselect_b32 s9, s17, s13
	v_mov_b32_e32 v1, 24
	v_mov_b32_e32 v2, s12
	v_cndmask_b32_e64 v2, v2, v1, s[6:7]
	v_mov_b32_e32 v3, s9
	flat_load_dwordx2 v[4:5], v[2:3]
	s_and_b64 vcc, exec, s[10:11]
	v_pk_mov_b32 v[2:3], s[14:15], s[14:15] op_sel:[0,1]
	s_cbranch_vccnz .LBB69_6
; %bb.5:
	v_pk_mov_b32 v[2:3], s[12:13], s[12:13] op_sel:[0,1]
	flat_load_dwordx2 v[2:3], v[2:3] offset:8
.LBB69_6:
	s_load_dwordx4 s[36:39], s[4:5], 0x88
	s_load_dwordx8 s[12:19], s[4:5], 0x68
	s_load_dwordx4 s[40:43], s[4:5], 0x48
	s_load_dwordx8 s[20:27], s[4:5], 0x28
	s_load_dwordx4 s[44:47], s[4:5], 0x8
	s_load_dword s33, s[4:5], 0x0
	s_movk_i32 s4, 0x100
	v_cmp_gt_u32_e64 s[4:5], s4, v0
	v_lshl_add_u32 v23, v0, 4, 0
	v_lshl_add_u32 v1, v0, 2, 0
	s_and_saveexec_b64 s[6:7], s[4:5]
	s_cbranch_execz .LBB69_9
; %bb.7:
	s_mov_b32 s34, 0
	s_mov_b32 s35, s34
	;; [unrolled: 1-line block ×4, first 2 shown]
	v_add_u32_e32 v14, 0x400, v23
	v_or_b32_e32 v15, 0xffffff80, v0
	v_lshl_add_u32 v16, v0, 2, 0
	s_mov_b64 s[10:11], 0
	s_waitcnt lgkmcnt(0)
	v_mov_b32_e32 v17, s33
	v_pk_mov_b32 v[10:11], s[34:35], s[34:35] op_sel:[0,1]
	v_pk_mov_b32 v[12:13], s[52:53], s[52:53] op_sel:[0,1]
.LBB69_8:                               ; =>This Inner Loop Header: Depth=1
	v_add_co_u32_e32 v15, vcc, 0x80, v15
	s_xor_b64 s[34:35], vcc, -1
	s_and_b64 s[34:35], exec, s[34:35]
	ds_write_b32 v16, v17
	ds_write2_b64 v14, v[10:11], v[12:13] offset1:1
	v_add_u32_e32 v14, 0x800, v14
	s_or_b64 s[10:11], s[34:35], s[10:11]
	v_add_u32_e32 v16, 0x200, v16
	s_andn2_b64 exec, exec, s[10:11]
	s_cbranch_execnz .LBB69_8
.LBB69_9:
	s_or_b64 exec, exec, s[6:7]
	s_waitcnt lgkmcnt(0)
	s_barrier
	s_load_dword s6, s[44:45], 0x0
	s_mov_b32 s7, 0
	s_waitcnt lgkmcnt(0)
	s_add_i32 s6, s6, s8
	s_lshl_b64 s[6:7], s[6:7], 2
	s_add_u32 s6, s46, s6
	s_addc_u32 s7, s47, s7
	s_load_dword s34, s[6:7], 0x0
	s_and_b64 vcc, exec, s[50:51]
	s_cbranch_vccz .LBB69_29
; %bb.10:
	s_waitcnt lgkmcnt(0)
	s_ashr_i32 s35, s34, 31
	s_lshl_b64 s[6:7], s[34:35], 2
	s_add_u32 s6, s20, s6
	s_addc_u32 s7, s21, s7
	s_load_dwordx2 s[6:7], s[6:7], 0x0
	v_lshrrev_b32_e32 v10, 4, v0
	v_subrev_u32_e32 v10, s28, v10
	s_waitcnt lgkmcnt(0)
	s_sub_i32 s35, s7, s28
	v_add_u32_e32 v10, s6, v10
	v_cmp_gt_i32_e32 vcc, s35, v10
	s_and_saveexec_b64 s[6:7], vcc
	s_cbranch_execz .LBB69_28
; %bb.11:
	v_and_b32_e32 v11, 15, v0
	v_subrev_u32_e32 v24, s29, v11
	s_mov_b64 s[8:9], 0
	v_mov_b32_e32 v25, s23
	v_mov_b32_e32 v26, s27
	s_movk_i32 s23, 0x89
	s_branch .LBB69_13
.LBB69_12:                              ;   in Loop: Header=BB69_13 Depth=1
	s_or_b64 exec, exec, s[10:11]
	v_add_u32_e32 v10, 8, v10
	v_cmp_le_i32_e32 vcc, s35, v10
	s_or_b64 s[8:9], vcc, s[8:9]
	s_andn2_b64 exec, exec, s[8:9]
	s_cbranch_execz .LBB69_28
.LBB69_13:                              ; =>This Loop Header: Depth=1
                                        ;     Child Loop BB69_16 Depth 2
                                        ;       Child Loop BB69_18 Depth 3
	v_ashrrev_i32_e32 v11, 31, v10
	v_lshlrev_b64 v[12:13], 2, v[10:11]
	v_add_co_u32_e32 v12, vcc, s22, v12
	v_addc_co_u32_e32 v13, vcc, v25, v13, vcc
	global_load_dword v12, v[12:13], off
	s_waitcnt vmcnt(0)
	v_subrev_u32_e32 v12, s28, v12
	v_ashrrev_i32_e32 v13, 31, v12
	v_lshlrev_b64 v[12:13], 2, v[12:13]
	v_add_co_u32_e32 v12, vcc, s26, v12
	v_addc_co_u32_e32 v13, vcc, v26, v13, vcc
	global_load_dwordx2 v[12:13], v[12:13], off
	s_waitcnt vmcnt(0)
	v_subrev_u32_e32 v27, s29, v13
	v_add_u32_e32 v12, v12, v24
	v_cmp_lt_i32_e32 vcc, v12, v27
	s_and_saveexec_b64 s[10:11], vcc
	s_cbranch_execz .LBB69_12
; %bb.14:                               ;   in Loop: Header=BB69_13 Depth=1
	v_lshlrev_b64 v[14:15], 4, v[10:11]
	v_mov_b32_e32 v11, s25
	v_add_co_u32_e32 v14, vcc, s24, v14
	v_addc_co_u32_e32 v15, vcc, v11, v15, vcc
	global_load_dwordx4 v[18:21], v[14:15], off
	s_mov_b64 s[20:21], 0
	s_waitcnt vmcnt(0)
	v_mul_f64 v[14:15], v[20:21], -v[8:9]
	v_mul_f64 v[16:17], v[6:7], v[20:21]
	v_fmac_f64_e32 v[14:15], v[6:7], v[18:19]
	v_fmac_f64_e32 v[16:17], v[8:9], v[18:19]
	s_branch .LBB69_16
.LBB69_15:                              ;   in Loop: Header=BB69_16 Depth=2
	s_or_b64 exec, exec, s[44:45]
	v_add_u32_e32 v12, 16, v12
	v_cmp_ge_i32_e32 vcc, v12, v27
	s_or_b64 s[20:21], vcc, s[20:21]
	s_andn2_b64 exec, exec, s[20:21]
	s_cbranch_execz .LBB69_12
.LBB69_16:                              ;   Parent Loop BB69_13 Depth=1
                                        ; =>  This Loop Header: Depth=2
                                        ;       Child Loop BB69_18 Depth 3
	v_ashrrev_i32_e32 v13, 31, v12
	v_lshlrev_b64 v[18:19], 2, v[12:13]
	v_mov_b32_e32 v11, s41
	v_add_co_u32_e32 v18, vcc, s40, v18
	v_addc_co_u32_e32 v19, vcc, v11, v19, vcc
	global_load_dword v11, v[18:19], off
	v_lshlrev_b64 v[18:19], 4, v[12:13]
	v_mov_b32_e32 v13, s43
	v_add_co_u32_e32 v18, vcc, s42, v18
	v_addc_co_u32_e32 v19, vcc, v13, v19, vcc
	global_load_dwordx4 v[28:31], v[18:19], off
	s_mov_b64 s[44:45], 0
	s_waitcnt vmcnt(1)
	v_subrev_u32_e32 v11, s29, v11
	v_mul_lo_u32 v13, v11, s23
	v_and_b32_e32 v13, 0xff, v13
	s_waitcnt vmcnt(0)
	v_mul_f64 v[18:19], v[30:31], -v[16:17]
	v_mul_f64 v[20:21], v[14:15], v[30:31]
	v_fmac_f64_e32 v[18:19], v[14:15], v[28:29]
	v_fmac_f64_e32 v[20:21], v[16:17], v[28:29]
	s_branch .LBB69_18
.LBB69_17:                              ;   in Loop: Header=BB69_18 Depth=3
	s_or_b64 exec, exec, s[46:47]
	s_xor_b64 s[46:47], s[50:51], -1
	s_and_b64 s[46:47], exec, s[46:47]
	s_or_b64 s[44:45], s[46:47], s[44:45]
	s_andn2_b64 exec, exec, s[44:45]
	s_cbranch_execz .LBB69_15
.LBB69_18:                              ;   Parent Loop BB69_13 Depth=1
                                        ;     Parent Loop BB69_16 Depth=2
                                        ; =>    This Inner Loop Header: Depth=3
	v_lshl_add_u32 v22, v13, 2, 0
	ds_read_b32 v28, v22
                                        ; implicit-def: $sgpr50_sgpr51
	s_waitcnt lgkmcnt(0)
	v_cmp_ne_u32_e32 vcc, v28, v11
	s_and_saveexec_b64 s[46:47], vcc
	s_xor_b64 s[46:47], exec, s[46:47]
	s_cbranch_execz .LBB69_26
; %bb.19:                               ;   in Loop: Header=BB69_18 Depth=3
	v_cmp_ne_u32_e32 vcc, s33, v28
                                        ; implicit-def: $sgpr50_sgpr51
	s_and_saveexec_b64 s[52:53], vcc
	s_xor_b64 s[52:53], exec, s[52:53]
; %bb.20:                               ;   in Loop: Header=BB69_18 Depth=3
	v_add_u32_e32 v13, 1, v13
	v_and_b32_e32 v13, 0xff, v13
	s_mov_b64 s[50:51], -1
                                        ; implicit-def: $vgpr22
; %bb.21:                               ;   in Loop: Header=BB69_18 Depth=3
	s_andn2_saveexec_b64 s[52:53], s[52:53]
	s_cbranch_execz .LBB69_25
; %bb.22:                               ;   in Loop: Header=BB69_18 Depth=3
	v_mov_b32_e32 v28, s33
	ds_cmpst_rtn_b32 v28, v22, v28, v11
	s_mov_b64 s[56:57], -1
	s_waitcnt lgkmcnt(0)
	v_cmp_eq_u32_e32 vcc, s33, v28
	s_and_saveexec_b64 s[54:55], vcc
	s_cbranch_execz .LBB69_24
; %bb.23:                               ;   in Loop: Header=BB69_18 Depth=3
	v_mad_u64_u32 v[28:29], s[56:57], v13, 12, v[22:23]
	ds_add_f64 v28, v[18:19] offset:1024
	ds_add_f64 v28, v[20:21] offset:1032
	s_xor_b64 s[56:57], exec, -1
.LBB69_24:                              ;   in Loop: Header=BB69_18 Depth=3
	s_or_b64 exec, exec, s[54:55]
	s_andn2_b64 s[50:51], s[50:51], exec
	s_and_b64 s[54:55], s[56:57], exec
	s_or_b64 s[50:51], s[50:51], s[54:55]
.LBB69_25:                              ;   in Loop: Header=BB69_18 Depth=3
	s_or_b64 exec, exec, s[52:53]
	s_and_b64 s[50:51], s[50:51], exec
                                        ; implicit-def: $vgpr22
.LBB69_26:                              ;   in Loop: Header=BB69_18 Depth=3
	s_andn2_saveexec_b64 s[46:47], s[46:47]
	s_cbranch_execz .LBB69_17
; %bb.27:                               ;   in Loop: Header=BB69_18 Depth=3
	v_mad_u64_u32 v[28:29], s[52:53], v13, 12, v[22:23]
	ds_add_f64 v28, v[18:19] offset:1024
	ds_add_f64 v28, v[20:21] offset:1032
	s_andn2_b64 s[50:51], s[50:51], exec
	s_branch .LBB69_17
.LBB69_28:
	s_or_b64 exec, exec, s[6:7]
.LBB69_29:
	s_andn2_b64 vcc, exec, s[48:49]
	s_cbranch_vccnz .LBB69_46
; %bb.30:
	s_waitcnt lgkmcnt(0)
	s_ashr_i32 s35, s34, 31
	s_lshl_b64 s[6:7], s[34:35], 2
	s_add_u32 s6, s12, s6
	s_addc_u32 s7, s13, s7
	s_load_dwordx2 s[6:7], s[6:7], 0x0
	s_waitcnt vmcnt(0)
	v_subrev_u32_e32 v6, s31, v0
	s_waitcnt lgkmcnt(0)
	s_sub_i32 s28, s7, s31
	v_add_u32_e32 v6, s6, v6
	v_cmp_gt_i32_e32 vcc, s28, v6
	s_and_saveexec_b64 s[6:7], vcc
	s_cbranch_execz .LBB69_45
; %bb.31:
	s_mov_b64 s[8:9], 0
	v_mov_b32_e32 v13, s15
	v_mov_b32_e32 v14, s17
	s_movk_i32 s15, 0x89
	s_branch .LBB69_33
.LBB69_32:                              ;   in Loop: Header=BB69_33 Depth=1
	s_or_b64 exec, exec, s[10:11]
	v_add_u32_e32 v6, 0x80, v6
	v_cmp_le_i32_e32 vcc, s28, v6
	s_or_b64 s[8:9], vcc, s[8:9]
	s_andn2_b64 exec, exec, s[8:9]
	s_cbranch_execz .LBB69_45
.LBB69_33:                              ; =>This Loop Header: Depth=1
                                        ;     Child Loop BB69_35 Depth 2
	v_ashrrev_i32_e32 v7, 31, v6
	v_lshlrev_b64 v[8:9], 2, v[6:7]
	v_add_co_u32_e32 v8, vcc, s14, v8
	v_addc_co_u32_e32 v9, vcc, v13, v9, vcc
	global_load_dword v10, v[8:9], off
	v_lshlrev_b64 v[8:9], 4, v[6:7]
	v_add_co_u32_e32 v8, vcc, s16, v8
	v_addc_co_u32_e32 v9, vcc, v14, v9, vcc
	global_load_dwordx4 v[16:19], v[8:9], off
	s_mov_b64 s[10:11], 0
	s_waitcnt vmcnt(1)
	v_subrev_u32_e32 v7, s31, v10
	v_mul_lo_u32 v12, v7, s15
	v_and_b32_e32 v15, 0xff, v12
	s_waitcnt vmcnt(0)
	v_mul_f64 v[8:9], v[18:19], -v[2:3]
	v_mul_f64 v[10:11], v[4:5], v[18:19]
	v_fmac_f64_e32 v[8:9], v[4:5], v[16:17]
	v_fmac_f64_e32 v[10:11], v[2:3], v[16:17]
	s_branch .LBB69_35
.LBB69_34:                              ;   in Loop: Header=BB69_35 Depth=2
	s_or_b64 exec, exec, s[12:13]
	s_xor_b64 s[12:13], s[20:21], -1
	s_and_b64 s[12:13], exec, s[12:13]
	s_or_b64 s[10:11], s[12:13], s[10:11]
	s_andn2_b64 exec, exec, s[10:11]
	s_cbranch_execz .LBB69_32
.LBB69_35:                              ;   Parent Loop BB69_33 Depth=1
                                        ; =>  This Inner Loop Header: Depth=2
	v_lshl_add_u32 v12, v15, 2, 0
	ds_read_b32 v16, v12
                                        ; implicit-def: $sgpr20_sgpr21
	s_waitcnt lgkmcnt(0)
	v_cmp_ne_u32_e32 vcc, v16, v7
	s_and_saveexec_b64 s[12:13], vcc
	s_xor_b64 s[12:13], exec, s[12:13]
	s_cbranch_execz .LBB69_43
; %bb.36:                               ;   in Loop: Header=BB69_35 Depth=2
	v_cmp_ne_u32_e32 vcc, s33, v16
                                        ; implicit-def: $sgpr20_sgpr21
	s_and_saveexec_b64 s[22:23], vcc
	s_xor_b64 s[22:23], exec, s[22:23]
; %bb.37:                               ;   in Loop: Header=BB69_35 Depth=2
	v_add_u32_e32 v12, 1, v15
	v_and_b32_e32 v15, 0xff, v12
	s_mov_b64 s[20:21], -1
                                        ; implicit-def: $vgpr12
; %bb.38:                               ;   in Loop: Header=BB69_35 Depth=2
	s_andn2_saveexec_b64 s[22:23], s[22:23]
	s_cbranch_execz .LBB69_42
; %bb.39:                               ;   in Loop: Header=BB69_35 Depth=2
	v_mov_b32_e32 v16, s33
	ds_cmpst_rtn_b32 v16, v12, v16, v7
	s_mov_b64 s[26:27], -1
	s_waitcnt lgkmcnt(0)
	v_cmp_eq_u32_e32 vcc, s33, v16
	s_and_saveexec_b64 s[24:25], vcc
	s_cbranch_execz .LBB69_41
; %bb.40:                               ;   in Loop: Header=BB69_35 Depth=2
	v_mad_u64_u32 v[16:17], s[26:27], v15, 12, v[12:13]
	ds_add_f64 v16, v[8:9] offset:1024
	ds_add_f64 v16, v[10:11] offset:1032
	s_xor_b64 s[26:27], exec, -1
.LBB69_41:                              ;   in Loop: Header=BB69_35 Depth=2
	s_or_b64 exec, exec, s[24:25]
	s_andn2_b64 s[20:21], s[20:21], exec
	s_and_b64 s[24:25], s[26:27], exec
	s_or_b64 s[20:21], s[20:21], s[24:25]
.LBB69_42:                              ;   in Loop: Header=BB69_35 Depth=2
	s_or_b64 exec, exec, s[22:23]
	s_and_b64 s[20:21], s[20:21], exec
                                        ; implicit-def: $vgpr12
.LBB69_43:                              ;   in Loop: Header=BB69_35 Depth=2
	s_andn2_saveexec_b64 s[12:13], s[12:13]
	s_cbranch_execz .LBB69_34
; %bb.44:                               ;   in Loop: Header=BB69_35 Depth=2
	v_mad_u64_u32 v[16:17], s[22:23], v15, 12, v[12:13]
	ds_add_f64 v16, v[8:9] offset:1024
	ds_add_f64 v16, v[10:11] offset:1032
	s_andn2_b64 s[20:21], s[20:21], exec
	s_branch .LBB69_34
.LBB69_45:
	s_or_b64 exec, exec, s[6:7]
.LBB69_46:
	s_waitcnt lgkmcnt(0)
	s_barrier
	s_and_saveexec_b64 s[12:13], s[4:5]
	s_cbranch_execz .LBB69_59
; %bb.47:
	s_waitcnt vmcnt(0)
	v_mbcnt_lo_u32_b32 v2, -1, 0
	v_mbcnt_hi_u32_b32 v2, -1, v2
	v_lshrrev_b32_e32 v5, 3, v0
	v_sub_u32_e32 v2, 63, v2
	v_and_b32_e32 v5, 12, v5
	s_movk_i32 s4, 0x7f
	s_movk_i32 s10, 0x5f
	v_mov_b32_e32 v4, 0
	v_lshrrev_b64 v[2:3], v2, -1
	v_add_u32_e32 v5, 0, v5
	v_cmp_eq_u32_e64 s[4:5], s4, v0
	v_cmp_lt_u32_e64 s[6:7], 31, v0
	v_cmp_lt_u32_e64 s[8:9], 63, v0
	;; [unrolled: 1-line block ×3, first 2 shown]
	v_add_u32_e32 v6, 0x400, v23
	v_or_b32_e32 v7, 0xffffff80, v0
	s_mov_b64 s[14:15], 0
	v_mov_b32_e32 v8, 0
	s_branch .LBB69_49
.LBB69_48:                              ;   in Loop: Header=BB69_49 Depth=1
	s_or_b64 exec, exec, s[16:17]
	s_waitcnt lgkmcnt(0)
	s_barrier
	ds_read_b32 v9, v4 offset:5132
	v_add_co_u32_e32 v7, vcc, 0x80, v7
	s_xor_b64 s[16:17], vcc, -1
	s_and_b64 s[16:17], exec, s[16:17]
	v_add_u32_e32 v6, 0x800, v6
	s_waitcnt lgkmcnt(0)
	v_add_u32_e32 v8, v9, v8
	s_or_b64 s[14:15], s[16:17], s[14:15]
	v_add_u32_e32 v1, 0x200, v1
	s_andn2_b64 exec, exec, s[14:15]
	s_cbranch_execz .LBB69_59
.LBB69_49:                              ; =>This Inner Loop Header: Depth=1
	ds_read2_b64 v[12:15], v6 offset1:1
	ds_read_b32 v10, v1
	s_waitcnt lgkmcnt(1)
	buffer_store_dword v15, off, s[0:3], 0 offset:12
	buffer_store_dword v14, off, s[0:3], 0 offset:8
	;; [unrolled: 1-line block ×3, first 2 shown]
	buffer_store_dword v12, off, s[0:3], 0
	s_waitcnt lgkmcnt(0)
	v_cmp_gt_i32_e32 vcc, s33, v10
	v_and_b32_e32 v11, vcc_lo, v2
	s_bcnt1_i32_b64 s16, vcc
	v_and_b32_e32 v9, vcc_hi, v3
	v_bcnt_u32_b32 v11, v11, 0
	v_bcnt_u32_b32 v9, v9, v11
	v_mov_b32_e32 v11, s16
	s_barrier
	ds_write_b32 v5, v11 offset:5120
	s_waitcnt lgkmcnt(0)
	s_barrier
	s_and_saveexec_b64 s[16:17], s[6:7]
	s_cbranch_execnz .LBB69_54
; %bb.50:                               ;   in Loop: Header=BB69_49 Depth=1
	s_or_b64 exec, exec, s[16:17]
	s_and_saveexec_b64 s[16:17], s[8:9]
	s_cbranch_execnz .LBB69_55
.LBB69_51:                              ;   in Loop: Header=BB69_49 Depth=1
	s_or_b64 exec, exec, s[16:17]
	s_and_saveexec_b64 s[16:17], s[10:11]
	s_cbranch_execnz .LBB69_56
.LBB69_52:                              ;   in Loop: Header=BB69_49 Depth=1
	s_or_b64 exec, exec, s[16:17]
	s_and_saveexec_b64 s[16:17], vcc
	s_cbranch_execnz .LBB69_57
.LBB69_53:                              ;   in Loop: Header=BB69_49 Depth=1
	s_or_b64 exec, exec, s[16:17]
	s_and_saveexec_b64 s[16:17], s[4:5]
	s_cbranch_execz .LBB69_48
	s_branch .LBB69_58
.LBB69_54:                              ;   in Loop: Header=BB69_49 Depth=1
	ds_read_b32 v11, v4 offset:5120
	s_waitcnt lgkmcnt(0)
	v_add_u32_e32 v9, v11, v9
	s_or_b64 exec, exec, s[16:17]
	s_and_saveexec_b64 s[16:17], s[8:9]
	s_cbranch_execz .LBB69_51
.LBB69_55:                              ;   in Loop: Header=BB69_49 Depth=1
	ds_read_b32 v11, v4 offset:5124
	s_waitcnt lgkmcnt(0)
	v_add_u32_e32 v9, v11, v9
	s_or_b64 exec, exec, s[16:17]
	s_and_saveexec_b64 s[16:17], s[10:11]
	s_cbranch_execz .LBB69_52
.LBB69_56:                              ;   in Loop: Header=BB69_49 Depth=1
	ds_read_b32 v11, v4 offset:5128
	s_waitcnt lgkmcnt(0)
	v_add_u32_e32 v9, v11, v9
	s_or_b64 exec, exec, s[16:17]
	s_and_saveexec_b64 s[16:17], vcc
	s_cbranch_execz .LBB69_53
.LBB69_57:                              ;   in Loop: Header=BB69_49 Depth=1
	buffer_load_dword v12, off, s[0:3], 0
	buffer_load_dword v13, off, s[0:3], 0 offset:4
	buffer_load_dword v14, off, s[0:3], 0 offset:8
	;; [unrolled: 1-line block ×3, first 2 shown]
	v_add3_u32 v11, v8, -1, v9
	v_lshl_add_u32 v16, v11, 2, 0
	v_lshl_add_u32 v11, v11, 4, 0
	ds_write_b32 v16, v10
	s_waitcnt vmcnt(0)
	ds_write2_b64 v11, v[12:13], v[14:15] offset0:128 offset1:129
	s_or_b64 exec, exec, s[16:17]
	s_and_saveexec_b64 s[16:17], s[4:5]
	s_cbranch_execz .LBB69_48
.LBB69_58:                              ;   in Loop: Header=BB69_49 Depth=1
	ds_write_b32 v4, v9 offset:5132
	s_branch .LBB69_48
.LBB69_59:
	s_or_b64 exec, exec, s[12:13]
	s_ashr_i32 s35, s34, 31
	s_lshl_b64 s[4:5], s[34:35], 2
	s_add_u32 s4, s18, s4
	s_addc_u32 s5, s19, s5
	s_load_dwordx2 s[4:5], s[4:5], 0x0
	s_waitcnt lgkmcnt(0)
	s_sub_i32 s18, s5, s4
	v_cmp_gt_i32_e32 vcc, s18, v0
	s_and_saveexec_b64 s[6:7], vcc
	s_cbranch_execz .LBB69_74
; %bb.60:
	s_sub_i32 s10, s4, s30
	s_add_i32 s4, s18, -2
	s_lshr_b32 s5, s4, 1
	s_add_i32 s6, s5, 1
	s_cmp_gt_u32 s18, 1
	s_cselect_b64 s[12:13], -1, 0
	s_and_b32 s19, s18, -2
	s_and_b32 s8, s6, 7
	s_cmp_gt_u32 s4, 13
	s_cselect_b64 s[4:5], -1, 0
	s_and_b32 s20, s6, -8
	s_cmp_lg_u32 s8, 0
	s_cselect_b64 s[6:7], -1, 0
	v_cndmask_b32_e64 v1, 0, 1, s[4:5]
	s_cmp_lg_u32 s18, s19
	v_cmp_ne_u32_e64 s[4:5], 1, v1
	v_cndmask_b32_e64 v1, 0, 1, s[6:7]
	s_mov_b32 s11, 0
	s_cselect_b64 s[14:15], -1, 0
	s_lshl_b32 s21, s8, 3
	s_mov_b64 s[16:17], 0
	v_cmp_ne_u32_e64 s[6:7], 1, v1
	v_mov_b32_e32 v1, s37
	s_waitcnt vmcnt(0)
	v_mov_b32_e32 v3, s39
	s_branch .LBB69_62
.LBB69_61:                              ;   in Loop: Header=BB69_62 Depth=1
	v_ashrrev_i32_e32 v5, 31, v4
	v_mad_u64_u32 v[8:9], s[8:9], v0, 12, v[2:3]
	s_waitcnt lgkmcnt(0)
	v_add_u32_e32 v2, s30, v6
	v_lshlrev_b64 v[6:7], 2, v[4:5]
	v_add_co_u32_e32 v6, vcc, s36, v6
	v_addc_co_u32_e32 v7, vcc, v1, v7, vcc
	global_store_dword v[6:7], v2, off
	v_lshlrev_b64 v[10:11], 4, v[4:5]
	ds_read2_b64 v[4:7], v8 offset0:128 offset1:129
	v_add_co_u32_e32 v8, vcc, s38, v10
	v_addc_co_u32_e32 v9, vcc, v3, v11, vcc
	v_add_u32_e32 v0, 0x80, v0
	v_cmp_le_i32_e32 vcc, s18, v0
	s_or_b64 s[16:17], vcc, s[16:17]
	s_waitcnt lgkmcnt(0)
	global_store_dwordx4 v[8:9], v[4:7], off
	s_andn2_b64 exec, exec, s[16:17]
	s_cbranch_execz .LBB69_74
.LBB69_62:                              ; =>This Loop Header: Depth=1
                                        ;     Child Loop BB69_65 Depth 2
                                        ;     Child Loop BB69_70 Depth 2
	;; [unrolled: 1-line block ×3, first 2 shown]
	v_lshl_add_u32 v2, v0, 2, 0
	ds_read_b32 v6, v2
	s_and_b64 vcc, exec, s[12:13]
	s_cbranch_vccz .LBB69_67
; %bb.63:                               ;   in Loop: Header=BB69_62 Depth=1
	s_and_b64 vcc, exec, s[4:5]
	s_cbranch_vccnz .LBB69_68
; %bb.64:                               ;   in Loop: Header=BB69_62 Depth=1
	s_mov_b32 s23, 0
	v_mov_b32_e32 v4, s10
	v_mov_b32_e32 v5, 0
	s_mov_b32 s24, s20
	s_mov_b32 s22, 0
.LBB69_65:                              ;   Parent Loop BB69_62 Depth=1
                                        ; =>  This Inner Loop Header: Depth=2
	v_mov_b32_e32 v7, s23
	ds_read2_b32 v[8:9], v7 offset1:1
	ds_read2_b32 v[10:11], v7 offset0:2 offset1:3
	ds_read2_b32 v[12:13], v7 offset0:4 offset1:5
	;; [unrolled: 1-line block ×7, first 2 shown]
	s_waitcnt lgkmcnt(7)
	v_cmp_gt_i32_e32 vcc, v6, v9
	s_waitcnt lgkmcnt(5)
	v_cmp_gt_i32_e64 s[8:9], v6, v12
	v_cndmask_b32_e64 v7, 0, 1, vcc
	v_cmp_gt_i32_e32 vcc, v6, v8
	v_cndmask_b32_e64 v9, 0, 1, s[8:9]
	v_cmp_gt_i32_e64 s[8:9], v6, v13
	v_cndmask_b32_e64 v8, 0, 1, vcc
	v_cmp_gt_i32_e32 vcc, v6, v11
	v_cndmask_b32_e64 v11, 0, 1, s[8:9]
	s_waitcnt lgkmcnt(3)
	v_cmp_gt_i32_e64 s[8:9], v6, v17
	v_cndmask_b32_e64 v12, 0, 1, s[8:9]
	v_cmp_gt_i32_e64 s[8:9], v6, v16
	v_cndmask_b32_e64 v13, 0, 1, s[8:9]
	s_waitcnt lgkmcnt(1)
	v_cmp_gt_i32_e64 s[8:9], v6, v20
	v_cndmask_b32_e64 v16, 0, 1, s[8:9]
	v_cmp_gt_i32_e64 s[8:9], v6, v21
	v_cndmask_b32_e64 v17, 0, 1, s[8:9]
	v_cmp_gt_i32_e64 s[8:9], v6, v10
	v_addc_co_u32_e64 v4, s[8:9], v4, v8, s[8:9]
	v_addc_co_u32_e32 v5, vcc, v5, v7, vcc
	v_cmp_gt_i32_e32 vcc, v6, v14
	v_cmp_gt_i32_e64 s[8:9], v6, v15
	v_addc_co_u32_e64 v5, s[8:9], v5, v11, s[8:9]
	v_addc_co_u32_e32 v4, vcc, v4, v9, vcc
	v_cmp_gt_i32_e32 vcc, v6, v19
	v_cmp_gt_i32_e64 s[8:9], v6, v18
	v_addc_co_u32_e64 v4, s[8:9], v4, v13, s[8:9]
	v_addc_co_u32_e32 v5, vcc, v5, v12, vcc
	s_add_i32 s22, s22, 16
	s_add_i32 s23, s23, 64
	s_add_i32 s24, s24, -8
	s_waitcnt lgkmcnt(0)
	v_cmp_gt_i32_e32 vcc, v6, v22
	v_cmp_gt_i32_e64 s[8:9], v6, v23
	s_cmp_lg_u32 s24, 0
	v_addc_co_u32_e64 v5, s[8:9], v5, v17, s[8:9]
	v_addc_co_u32_e32 v4, vcc, v4, v16, vcc
	s_cbranch_scc1 .LBB69_65
; %bb.66:                               ;   in Loop: Header=BB69_62 Depth=1
	s_and_b64 vcc, exec, s[6:7]
	s_cbranch_vccz .LBB69_69
	s_branch .LBB69_71
.LBB69_67:                              ;   in Loop: Header=BB69_62 Depth=1
	v_mov_b32_e32 v4, s10
	s_mov_b32 s22, 0
	s_cbranch_execz .LBB69_61
	s_branch .LBB69_72
.LBB69_68:                              ;   in Loop: Header=BB69_62 Depth=1
	v_pk_mov_b32 v[4:5], s[10:11], s[10:11] op_sel:[0,1]
	s_mov_b32 s22, 0
	s_and_b64 vcc, exec, s[6:7]
	s_cbranch_vccnz .LBB69_71
.LBB69_69:                              ;   in Loop: Header=BB69_62 Depth=1
	s_lshl_b32 s8, s22, 2
	s_add_i32 s8, s8, 0
	s_mov_b32 s9, s21
.LBB69_70:                              ;   Parent Loop BB69_62 Depth=1
                                        ; =>  This Inner Loop Header: Depth=2
	v_mov_b32_e32 v7, s8
	ds_read2_b32 v[8:9], v7 offset1:1
	s_add_i32 s8, s8, 8
	s_add_i32 s9, s9, -8
	s_cmp_lg_u32 s9, 0
	s_waitcnt lgkmcnt(0)
	v_cmp_gt_i32_e32 vcc, v6, v9
	v_addc_co_u32_e32 v5, vcc, 0, v5, vcc
	v_cmp_gt_i32_e32 vcc, v6, v8
	v_addc_co_u32_e32 v4, vcc, 0, v4, vcc
	s_cbranch_scc1 .LBB69_70
.LBB69_71:                              ;   in Loop: Header=BB69_62 Depth=1
	v_add_u32_e32 v4, v4, v5
	s_mov_b32 s22, s19
	s_mov_b64 s[8:9], s[14:15]
	s_and_b64 vcc, exec, s[8:9]
	s_cbranch_vccz .LBB69_61
.LBB69_72:                              ;   in Loop: Header=BB69_62 Depth=1
	s_lshl_b32 s8, s22, 2
	s_add_i32 s8, s8, 0
.LBB69_73:                              ;   Parent Loop BB69_62 Depth=1
                                        ; =>  This Inner Loop Header: Depth=2
	v_mov_b32_e32 v5, s8
	ds_read_b32 v5, v5
	s_add_i32 s22, s22, 1
	s_add_i32 s8, s8, 4
	s_cmp_ge_i32 s22, s18
	s_waitcnt lgkmcnt(0)
	v_cmp_gt_i32_e32 vcc, v6, v5
	v_addc_co_u32_e32 v4, vcc, 0, v4, vcc
	s_cbranch_scc0 .LBB69_73
	s_branch .LBB69_61
.LBB69_74:
	s_endpgm
	.section	.rodata,"a",@progbits
	.p2align	6, 0x0
	.amdhsa_kernel _ZN9rocsparseL26csrgemm_fill_block_per_rowILj128ELj16ELj256ELj137ELj32Eii21rocsparse_complex_numIdEEEvT5_PKS3_S5_NS_24const_host_device_scalarIT6_EEPKT4_S5_PKS7_SB_S5_SD_S8_SB_S5_SD_SB_PS3_PS7_21rocsparse_index_base_SG_SG_SG_bbb
		.amdhsa_group_segment_fixed_size 0
		.amdhsa_private_segment_fixed_size 40
		.amdhsa_kernarg_size 172
		.amdhsa_user_sgpr_count 8
		.amdhsa_user_sgpr_private_segment_buffer 1
		.amdhsa_user_sgpr_dispatch_ptr 0
		.amdhsa_user_sgpr_queue_ptr 0
		.amdhsa_user_sgpr_kernarg_segment_ptr 1
		.amdhsa_user_sgpr_dispatch_id 0
		.amdhsa_user_sgpr_flat_scratch_init 1
		.amdhsa_user_sgpr_kernarg_preload_length 0
		.amdhsa_user_sgpr_kernarg_preload_offset 0
		.amdhsa_user_sgpr_private_segment_size 0
		.amdhsa_uses_dynamic_stack 0
		.amdhsa_system_sgpr_private_segment_wavefront_offset 1
		.amdhsa_system_sgpr_workgroup_id_x 1
		.amdhsa_system_sgpr_workgroup_id_y 0
		.amdhsa_system_sgpr_workgroup_id_z 0
		.amdhsa_system_sgpr_workgroup_info 0
		.amdhsa_system_vgpr_workitem_id 0
		.amdhsa_next_free_vgpr 32
		.amdhsa_next_free_sgpr 58
		.amdhsa_accum_offset 32
		.amdhsa_reserve_vcc 1
		.amdhsa_reserve_flat_scratch 1
		.amdhsa_float_round_mode_32 0
		.amdhsa_float_round_mode_16_64 0
		.amdhsa_float_denorm_mode_32 3
		.amdhsa_float_denorm_mode_16_64 3
		.amdhsa_dx10_clamp 1
		.amdhsa_ieee_mode 1
		.amdhsa_fp16_overflow 0
		.amdhsa_tg_split 0
		.amdhsa_exception_fp_ieee_invalid_op 0
		.amdhsa_exception_fp_denorm_src 0
		.amdhsa_exception_fp_ieee_div_zero 0
		.amdhsa_exception_fp_ieee_overflow 0
		.amdhsa_exception_fp_ieee_underflow 0
		.amdhsa_exception_fp_ieee_inexact 0
		.amdhsa_exception_int_div_zero 0
	.end_amdhsa_kernel
	.section	.text._ZN9rocsparseL26csrgemm_fill_block_per_rowILj128ELj16ELj256ELj137ELj32Eii21rocsparse_complex_numIdEEEvT5_PKS3_S5_NS_24const_host_device_scalarIT6_EEPKT4_S5_PKS7_SB_S5_SD_S8_SB_S5_SD_SB_PS3_PS7_21rocsparse_index_base_SG_SG_SG_bbb,"axG",@progbits,_ZN9rocsparseL26csrgemm_fill_block_per_rowILj128ELj16ELj256ELj137ELj32Eii21rocsparse_complex_numIdEEEvT5_PKS3_S5_NS_24const_host_device_scalarIT6_EEPKT4_S5_PKS7_SB_S5_SD_S8_SB_S5_SD_SB_PS3_PS7_21rocsparse_index_base_SG_SG_SG_bbb,comdat
.Lfunc_end69:
	.size	_ZN9rocsparseL26csrgemm_fill_block_per_rowILj128ELj16ELj256ELj137ELj32Eii21rocsparse_complex_numIdEEEvT5_PKS3_S5_NS_24const_host_device_scalarIT6_EEPKT4_S5_PKS7_SB_S5_SD_S8_SB_S5_SD_SB_PS3_PS7_21rocsparse_index_base_SG_SG_SG_bbb, .Lfunc_end69-_ZN9rocsparseL26csrgemm_fill_block_per_rowILj128ELj16ELj256ELj137ELj32Eii21rocsparse_complex_numIdEEEvT5_PKS3_S5_NS_24const_host_device_scalarIT6_EEPKT4_S5_PKS7_SB_S5_SD_S8_SB_S5_SD_SB_PS3_PS7_21rocsparse_index_base_SG_SG_SG_bbb
                                        ; -- End function
	.section	.AMDGPU.csdata,"",@progbits
; Kernel info:
; codeLenInByte = 3092
; NumSgprs: 64
; NumVgprs: 32
; NumAgprs: 0
; TotalNumVgprs: 32
; ScratchSize: 40
; MemoryBound: 0
; FloatMode: 240
; IeeeMode: 1
; LDSByteSize: 0 bytes/workgroup (compile time only)
; SGPRBlocks: 7
; VGPRBlocks: 3
; NumSGPRsForWavesPerEU: 64
; NumVGPRsForWavesPerEU: 32
; AccumOffset: 32
; Occupancy: 8
; WaveLimiterHint : 1
; COMPUTE_PGM_RSRC2:SCRATCH_EN: 1
; COMPUTE_PGM_RSRC2:USER_SGPR: 8
; COMPUTE_PGM_RSRC2:TRAP_HANDLER: 0
; COMPUTE_PGM_RSRC2:TGID_X_EN: 1
; COMPUTE_PGM_RSRC2:TGID_Y_EN: 0
; COMPUTE_PGM_RSRC2:TGID_Z_EN: 0
; COMPUTE_PGM_RSRC2:TIDIG_COMP_CNT: 0
; COMPUTE_PGM_RSRC3_GFX90A:ACCUM_OFFSET: 7
; COMPUTE_PGM_RSRC3_GFX90A:TG_SPLIT: 0
	.section	.text._ZN9rocsparseL26csrgemm_fill_block_per_rowILj128ELj16ELj256ELj137ELj64Eii21rocsparse_complex_numIdEEEvT5_PKS3_S5_NS_24const_host_device_scalarIT6_EEPKT4_S5_PKS7_SB_S5_SD_S8_SB_S5_SD_SB_PS3_PS7_21rocsparse_index_base_SG_SG_SG_bbb,"axG",@progbits,_ZN9rocsparseL26csrgemm_fill_block_per_rowILj128ELj16ELj256ELj137ELj64Eii21rocsparse_complex_numIdEEEvT5_PKS3_S5_NS_24const_host_device_scalarIT6_EEPKT4_S5_PKS7_SB_S5_SD_S8_SB_S5_SD_SB_PS3_PS7_21rocsparse_index_base_SG_SG_SG_bbb,comdat
	.globl	_ZN9rocsparseL26csrgemm_fill_block_per_rowILj128ELj16ELj256ELj137ELj64Eii21rocsparse_complex_numIdEEEvT5_PKS3_S5_NS_24const_host_device_scalarIT6_EEPKT4_S5_PKS7_SB_S5_SD_S8_SB_S5_SD_SB_PS3_PS7_21rocsparse_index_base_SG_SG_SG_bbb ; -- Begin function _ZN9rocsparseL26csrgemm_fill_block_per_rowILj128ELj16ELj256ELj137ELj64Eii21rocsparse_complex_numIdEEEvT5_PKS3_S5_NS_24const_host_device_scalarIT6_EEPKT4_S5_PKS7_SB_S5_SD_S8_SB_S5_SD_SB_PS3_PS7_21rocsparse_index_base_SG_SG_SG_bbb
	.p2align	8
	.type	_ZN9rocsparseL26csrgemm_fill_block_per_rowILj128ELj16ELj256ELj137ELj64Eii21rocsparse_complex_numIdEEEvT5_PKS3_S5_NS_24const_host_device_scalarIT6_EEPKT4_S5_PKS7_SB_S5_SD_S8_SB_S5_SD_SB_PS3_PS7_21rocsparse_index_base_SG_SG_SG_bbb,@function
_ZN9rocsparseL26csrgemm_fill_block_per_rowILj128ELj16ELj256ELj137ELj64Eii21rocsparse_complex_numIdEEEvT5_PKS3_S5_NS_24const_host_device_scalarIT6_EEPKT4_S5_PKS7_SB_S5_SD_S8_SB_S5_SD_SB_PS3_PS7_21rocsparse_index_base_SG_SG_SG_bbb: ; @_ZN9rocsparseL26csrgemm_fill_block_per_rowILj128ELj16ELj256ELj137ELj64Eii21rocsparse_complex_numIdEEEvT5_PKS3_S5_NS_24const_host_device_scalarIT6_EEPKT4_S5_PKS7_SB_S5_SD_S8_SB_S5_SD_SB_PS3_PS7_21rocsparse_index_base_SG_SG_SG_bbb
; %bb.0:
	s_add_u32 flat_scratch_lo, s6, s9
	s_addc_u32 flat_scratch_hi, s7, 0
	s_add_u32 s0, s0, s9
	s_load_dword s9, s[4:5], 0xa8
	s_load_dwordx4 s[16:19], s[4:5], 0x18
	s_load_dwordx4 s[12:15], s[4:5], 0x58
	s_addc_u32 s1, s1, 0
	v_pk_mov_b32 v[2:3], 0, 0
	s_waitcnt lgkmcnt(0)
	s_bitcmp1_b32 s9, 0
	v_mov_b32_e32 v1, s17
	s_cselect_b64 s[48:49], -1, 0
	s_bitcmp1_b32 s9, 16
	buffer_store_dword v1, off, s[0:3], 0 offset:20
	v_mov_b32_e32 v1, s16
	s_cselect_b64 s[6:7], -1, 0
	buffer_store_dword v1, off, s[0:3], 0 offset:16
	v_mov_b32_e32 v1, s13
	buffer_store_dword v1, off, s[0:3], 0 offset:28
	v_mov_b32_e32 v1, s12
	s_xor_b64 s[10:11], s[6:7], -1
	buffer_store_dword v1, off, s[0:3], 0 offset:24
	v_cndmask_b32_e64 v1, 0, 1, s[10:11]
	s_bitcmp0_b32 s9, 0
	v_cmp_ne_u32_e64 s[10:11], 1, v1
	v_pk_mov_b32 v[6:7], v[2:3], v[2:3] op_sel:[0,1]
	v_pk_mov_b32 v[8:9], v[2:3], v[2:3] op_sel:[0,1]
	s_cbranch_scc1 .LBB70_3
; %bb.1:
	s_mov_b64 s[20:21], src_private_base
	s_and_b64 s[22:23], s[6:7], exec
	s_cselect_b32 s20, s21, s17
	v_mov_b32_e32 v1, 16
	v_mov_b32_e32 v4, s16
	v_cndmask_b32_e64 v4, v4, v1, s[6:7]
	v_mov_b32_e32 v5, s20
	flat_load_dwordx2 v[6:7], v[4:5]
	s_and_b64 vcc, exec, s[10:11]
	v_pk_mov_b32 v[8:9], s[18:19], s[18:19] op_sel:[0,1]
	s_cbranch_vccnz .LBB70_3
; %bb.2:
	v_pk_mov_b32 v[4:5], s[16:17], s[16:17] op_sel:[0,1]
	flat_load_dwordx2 v[8:9], v[4:5] offset:8
.LBB70_3:
	s_load_dwordx4 s[28:31], s[4:5], 0x98
	s_bitcmp1_b32 s9, 8
	s_cselect_b64 s[34:35], -1, 0
	s_bfe_u32 s9, s9, 0x10008
	s_cmp_eq_u32 s9, 0
	v_pk_mov_b32 v[4:5], v[2:3], v[2:3] op_sel:[0,1]
	s_cbranch_scc1 .LBB70_6
; %bb.4:
	s_mov_b64 s[16:17], src_private_base
	s_and_b64 s[18:19], s[6:7], exec
	s_cselect_b32 s9, s17, s13
	v_mov_b32_e32 v1, 24
	v_mov_b32_e32 v2, s12
	v_cndmask_b32_e64 v2, v2, v1, s[6:7]
	v_mov_b32_e32 v3, s9
	flat_load_dwordx2 v[4:5], v[2:3]
	s_and_b64 vcc, exec, s[10:11]
	v_pk_mov_b32 v[2:3], s[14:15], s[14:15] op_sel:[0,1]
	s_cbranch_vccnz .LBB70_6
; %bb.5:
	v_pk_mov_b32 v[2:3], s[12:13], s[12:13] op_sel:[0,1]
	flat_load_dwordx2 v[2:3], v[2:3] offset:8
.LBB70_6:
	s_load_dwordx4 s[36:39], s[4:5], 0x88
	s_load_dwordx8 s[12:19], s[4:5], 0x68
	s_load_dwordx4 s[40:43], s[4:5], 0x48
	s_load_dwordx8 s[20:27], s[4:5], 0x28
	s_load_dwordx4 s[44:47], s[4:5], 0x8
	s_load_dword s33, s[4:5], 0x0
	s_movk_i32 s4, 0x100
	v_cmp_gt_u32_e64 s[4:5], s4, v0
	v_lshl_add_u32 v23, v0, 4, 0
	v_lshl_add_u32 v1, v0, 2, 0
	s_and_saveexec_b64 s[6:7], s[4:5]
	s_cbranch_execz .LBB70_9
; %bb.7:
	s_mov_b32 s50, 0
	s_mov_b32 s51, s50
	;; [unrolled: 1-line block ×4, first 2 shown]
	v_add_u32_e32 v14, 0x400, v23
	v_or_b32_e32 v15, 0xffffff80, v0
	v_lshl_add_u32 v16, v0, 2, 0
	s_mov_b64 s[10:11], 0
	s_waitcnt lgkmcnt(0)
	v_mov_b32_e32 v17, s33
	v_pk_mov_b32 v[10:11], s[50:51], s[50:51] op_sel:[0,1]
	v_pk_mov_b32 v[12:13], s[52:53], s[52:53] op_sel:[0,1]
.LBB70_8:                               ; =>This Inner Loop Header: Depth=1
	v_add_co_u32_e32 v15, vcc, 0x80, v15
	s_xor_b64 s[50:51], vcc, -1
	s_and_b64 s[50:51], exec, s[50:51]
	ds_write_b32 v16, v17
	ds_write2_b64 v14, v[10:11], v[12:13] offset1:1
	v_add_u32_e32 v14, 0x800, v14
	s_or_b64 s[10:11], s[50:51], s[10:11]
	v_add_u32_e32 v16, 0x200, v16
	s_andn2_b64 exec, exec, s[10:11]
	s_cbranch_execnz .LBB70_8
.LBB70_9:
	s_or_b64 exec, exec, s[6:7]
	s_waitcnt lgkmcnt(0)
	s_barrier
	s_load_dword s6, s[44:45], 0x0
	s_mov_b32 s7, 0
	v_lshrrev_b32_e32 v24, 4, v0
	s_waitcnt lgkmcnt(0)
	s_add_i32 s6, s6, s8
	s_lshl_b64 s[6:7], s[6:7], 2
	s_add_u32 s6, s46, s6
	s_addc_u32 s7, s47, s7
	s_load_dword s8, s[6:7], 0x0
	s_and_b64 vcc, exec, s[48:49]
	s_cbranch_vccz .LBB70_29
; %bb.10:
	s_waitcnt lgkmcnt(0)
	s_ashr_i32 s9, s8, 31
	s_lshl_b64 s[6:7], s[8:9], 2
	s_add_u32 s6, s20, s6
	s_addc_u32 s7, s21, s7
	s_load_dwordx2 s[6:7], s[6:7], 0x0
	v_subrev_u32_e32 v10, s28, v24
	s_waitcnt lgkmcnt(0)
	s_sub_i32 s9, s7, s28
	v_add_u32_e32 v10, s6, v10
	v_cmp_gt_i32_e32 vcc, s9, v10
	s_and_saveexec_b64 s[6:7], vcc
	s_cbranch_execz .LBB70_28
; %bb.11:
	v_and_b32_e32 v11, 15, v0
	v_subrev_u32_e32 v25, s29, v11
	s_mov_b64 s[10:11], 0
	v_mov_b32_e32 v26, s23
	v_mov_b32_e32 v27, s27
	s_movk_i32 s23, 0x89
	s_branch .LBB70_13
.LBB70_12:                              ;   in Loop: Header=BB70_13 Depth=1
	s_or_b64 exec, exec, s[20:21]
	v_add_u32_e32 v10, 8, v10
	v_cmp_le_i32_e32 vcc, s9, v10
	s_or_b64 s[10:11], vcc, s[10:11]
	s_andn2_b64 exec, exec, s[10:11]
	s_cbranch_execz .LBB70_28
.LBB70_13:                              ; =>This Loop Header: Depth=1
                                        ;     Child Loop BB70_16 Depth 2
                                        ;       Child Loop BB70_18 Depth 3
	v_ashrrev_i32_e32 v11, 31, v10
	v_lshlrev_b64 v[12:13], 2, v[10:11]
	v_add_co_u32_e32 v12, vcc, s22, v12
	v_addc_co_u32_e32 v13, vcc, v26, v13, vcc
	global_load_dword v12, v[12:13], off
	s_waitcnt vmcnt(0)
	v_subrev_u32_e32 v12, s28, v12
	v_ashrrev_i32_e32 v13, 31, v12
	v_lshlrev_b64 v[12:13], 2, v[12:13]
	v_add_co_u32_e32 v12, vcc, s26, v12
	v_addc_co_u32_e32 v13, vcc, v27, v13, vcc
	global_load_dwordx2 v[12:13], v[12:13], off
	s_waitcnt vmcnt(0)
	v_subrev_u32_e32 v28, s29, v13
	v_add_u32_e32 v12, v12, v25
	v_cmp_lt_i32_e32 vcc, v12, v28
	s_and_saveexec_b64 s[20:21], vcc
	s_cbranch_execz .LBB70_12
; %bb.14:                               ;   in Loop: Header=BB70_13 Depth=1
	v_lshlrev_b64 v[14:15], 4, v[10:11]
	v_mov_b32_e32 v11, s25
	v_add_co_u32_e32 v14, vcc, s24, v14
	v_addc_co_u32_e32 v15, vcc, v11, v15, vcc
	global_load_dwordx4 v[18:21], v[14:15], off
	s_mov_b64 s[44:45], 0
	s_waitcnt vmcnt(0)
	v_mul_f64 v[14:15], v[20:21], -v[8:9]
	v_mul_f64 v[16:17], v[6:7], v[20:21]
	v_fmac_f64_e32 v[14:15], v[6:7], v[18:19]
	v_fmac_f64_e32 v[16:17], v[8:9], v[18:19]
	s_branch .LBB70_16
.LBB70_15:                              ;   in Loop: Header=BB70_16 Depth=2
	s_or_b64 exec, exec, s[46:47]
	v_add_u32_e32 v12, 16, v12
	v_cmp_ge_i32_e32 vcc, v12, v28
	s_or_b64 s[44:45], vcc, s[44:45]
	s_andn2_b64 exec, exec, s[44:45]
	s_cbranch_execz .LBB70_12
.LBB70_16:                              ;   Parent Loop BB70_13 Depth=1
                                        ; =>  This Loop Header: Depth=2
                                        ;       Child Loop BB70_18 Depth 3
	v_ashrrev_i32_e32 v13, 31, v12
	v_lshlrev_b64 v[18:19], 2, v[12:13]
	v_mov_b32_e32 v11, s41
	v_add_co_u32_e32 v18, vcc, s40, v18
	v_addc_co_u32_e32 v19, vcc, v11, v19, vcc
	global_load_dword v11, v[18:19], off
	v_lshlrev_b64 v[18:19], 4, v[12:13]
	v_mov_b32_e32 v13, s43
	v_add_co_u32_e32 v18, vcc, s42, v18
	v_addc_co_u32_e32 v19, vcc, v13, v19, vcc
	global_load_dwordx4 v[30:33], v[18:19], off
	s_mov_b64 s[46:47], 0
	s_waitcnt vmcnt(1)
	v_subrev_u32_e32 v11, s29, v11
	v_mul_lo_u32 v13, v11, s23
	v_and_b32_e32 v13, 0xff, v13
	s_waitcnt vmcnt(0)
	v_mul_f64 v[18:19], v[32:33], -v[16:17]
	v_mul_f64 v[20:21], v[14:15], v[32:33]
	v_fmac_f64_e32 v[18:19], v[14:15], v[30:31]
	v_fmac_f64_e32 v[20:21], v[16:17], v[30:31]
	s_branch .LBB70_18
.LBB70_17:                              ;   in Loop: Header=BB70_18 Depth=3
	s_or_b64 exec, exec, s[48:49]
	s_xor_b64 s[48:49], s[50:51], -1
	s_and_b64 s[48:49], exec, s[48:49]
	s_or_b64 s[46:47], s[48:49], s[46:47]
	s_andn2_b64 exec, exec, s[46:47]
	s_cbranch_execz .LBB70_15
.LBB70_18:                              ;   Parent Loop BB70_13 Depth=1
                                        ;     Parent Loop BB70_16 Depth=2
                                        ; =>    This Inner Loop Header: Depth=3
	v_lshl_add_u32 v22, v13, 2, 0
	ds_read_b32 v29, v22
                                        ; implicit-def: $sgpr50_sgpr51
	s_waitcnt lgkmcnt(0)
	v_cmp_ne_u32_e32 vcc, v29, v11
	s_and_saveexec_b64 s[48:49], vcc
	s_xor_b64 s[48:49], exec, s[48:49]
	s_cbranch_execz .LBB70_26
; %bb.19:                               ;   in Loop: Header=BB70_18 Depth=3
	v_cmp_ne_u32_e32 vcc, s33, v29
                                        ; implicit-def: $sgpr50_sgpr51
	s_and_saveexec_b64 s[52:53], vcc
	s_xor_b64 s[52:53], exec, s[52:53]
; %bb.20:                               ;   in Loop: Header=BB70_18 Depth=3
	v_add_u32_e32 v13, 1, v13
	v_and_b32_e32 v13, 0xff, v13
	s_mov_b64 s[50:51], -1
                                        ; implicit-def: $vgpr22
; %bb.21:                               ;   in Loop: Header=BB70_18 Depth=3
	s_andn2_saveexec_b64 s[52:53], s[52:53]
	s_cbranch_execz .LBB70_25
; %bb.22:                               ;   in Loop: Header=BB70_18 Depth=3
	v_mov_b32_e32 v29, s33
	ds_cmpst_rtn_b32 v29, v22, v29, v11
	s_mov_b64 s[56:57], -1
	s_waitcnt lgkmcnt(0)
	v_cmp_eq_u32_e32 vcc, s33, v29
	s_and_saveexec_b64 s[54:55], vcc
	s_cbranch_execz .LBB70_24
; %bb.23:                               ;   in Loop: Header=BB70_18 Depth=3
	v_mad_u64_u32 v[30:31], s[56:57], v13, 12, v[22:23]
	ds_add_f64 v30, v[18:19] offset:1024
	ds_add_f64 v30, v[20:21] offset:1032
	s_xor_b64 s[56:57], exec, -1
.LBB70_24:                              ;   in Loop: Header=BB70_18 Depth=3
	s_or_b64 exec, exec, s[54:55]
	s_andn2_b64 s[50:51], s[50:51], exec
	s_and_b64 s[54:55], s[56:57], exec
	s_or_b64 s[50:51], s[50:51], s[54:55]
.LBB70_25:                              ;   in Loop: Header=BB70_18 Depth=3
	s_or_b64 exec, exec, s[52:53]
	s_and_b64 s[50:51], s[50:51], exec
                                        ; implicit-def: $vgpr22
.LBB70_26:                              ;   in Loop: Header=BB70_18 Depth=3
	s_andn2_saveexec_b64 s[48:49], s[48:49]
	s_cbranch_execz .LBB70_17
; %bb.27:                               ;   in Loop: Header=BB70_18 Depth=3
	v_mad_u64_u32 v[30:31], s[52:53], v13, 12, v[22:23]
	ds_add_f64 v30, v[18:19] offset:1024
	ds_add_f64 v30, v[20:21] offset:1032
	s_andn2_b64 s[50:51], s[50:51], exec
	s_branch .LBB70_17
.LBB70_28:
	s_or_b64 exec, exec, s[6:7]
.LBB70_29:
	s_andn2_b64 vcc, exec, s[34:35]
	s_cbranch_vccnz .LBB70_46
; %bb.30:
	s_waitcnt lgkmcnt(0)
	s_ashr_i32 s9, s8, 31
	s_lshl_b64 s[6:7], s[8:9], 2
	s_add_u32 s6, s12, s6
	s_addc_u32 s7, s13, s7
	s_load_dwordx2 s[6:7], s[6:7], 0x0
	s_waitcnt vmcnt(0)
	v_subrev_u32_e32 v6, s31, v0
	s_waitcnt lgkmcnt(0)
	s_sub_i32 s9, s7, s31
	v_add_u32_e32 v6, s6, v6
	v_cmp_gt_i32_e32 vcc, s9, v6
	s_and_saveexec_b64 s[6:7], vcc
	s_cbranch_execz .LBB70_45
; %bb.31:
	s_mov_b64 s[10:11], 0
	v_mov_b32_e32 v13, s15
	v_mov_b32_e32 v14, s17
	s_movk_i32 s15, 0x89
	s_branch .LBB70_33
.LBB70_32:                              ;   in Loop: Header=BB70_33 Depth=1
	s_or_b64 exec, exec, s[12:13]
	v_add_u32_e32 v6, 0x80, v6
	v_cmp_le_i32_e32 vcc, s9, v6
	s_or_b64 s[10:11], vcc, s[10:11]
	s_andn2_b64 exec, exec, s[10:11]
	s_cbranch_execz .LBB70_45
.LBB70_33:                              ; =>This Loop Header: Depth=1
                                        ;     Child Loop BB70_35 Depth 2
	v_ashrrev_i32_e32 v7, 31, v6
	v_lshlrev_b64 v[8:9], 2, v[6:7]
	v_add_co_u32_e32 v8, vcc, s14, v8
	v_addc_co_u32_e32 v9, vcc, v13, v9, vcc
	global_load_dword v10, v[8:9], off
	v_lshlrev_b64 v[8:9], 4, v[6:7]
	v_add_co_u32_e32 v8, vcc, s16, v8
	v_addc_co_u32_e32 v9, vcc, v14, v9, vcc
	global_load_dwordx4 v[16:19], v[8:9], off
	s_mov_b64 s[12:13], 0
	s_waitcnt vmcnt(1)
	v_subrev_u32_e32 v7, s31, v10
	v_mul_lo_u32 v12, v7, s15
	v_and_b32_e32 v15, 0xff, v12
	s_waitcnt vmcnt(0)
	v_mul_f64 v[8:9], v[18:19], -v[2:3]
	v_mul_f64 v[10:11], v[4:5], v[18:19]
	v_fmac_f64_e32 v[8:9], v[4:5], v[16:17]
	v_fmac_f64_e32 v[10:11], v[2:3], v[16:17]
	s_branch .LBB70_35
.LBB70_34:                              ;   in Loop: Header=BB70_35 Depth=2
	s_or_b64 exec, exec, s[20:21]
	s_xor_b64 s[20:21], s[22:23], -1
	s_and_b64 s[20:21], exec, s[20:21]
	s_or_b64 s[12:13], s[20:21], s[12:13]
	s_andn2_b64 exec, exec, s[12:13]
	s_cbranch_execz .LBB70_32
.LBB70_35:                              ;   Parent Loop BB70_33 Depth=1
                                        ; =>  This Inner Loop Header: Depth=2
	v_lshl_add_u32 v12, v15, 2, 0
	ds_read_b32 v16, v12
                                        ; implicit-def: $sgpr22_sgpr23
	s_waitcnt lgkmcnt(0)
	v_cmp_ne_u32_e32 vcc, v16, v7
	s_and_saveexec_b64 s[20:21], vcc
	s_xor_b64 s[20:21], exec, s[20:21]
	s_cbranch_execz .LBB70_43
; %bb.36:                               ;   in Loop: Header=BB70_35 Depth=2
	v_cmp_ne_u32_e32 vcc, s33, v16
                                        ; implicit-def: $sgpr22_sgpr23
	s_and_saveexec_b64 s[24:25], vcc
	s_xor_b64 s[24:25], exec, s[24:25]
; %bb.37:                               ;   in Loop: Header=BB70_35 Depth=2
	v_add_u32_e32 v12, 1, v15
	v_and_b32_e32 v15, 0xff, v12
	s_mov_b64 s[22:23], -1
                                        ; implicit-def: $vgpr12
; %bb.38:                               ;   in Loop: Header=BB70_35 Depth=2
	s_andn2_saveexec_b64 s[24:25], s[24:25]
	s_cbranch_execz .LBB70_42
; %bb.39:                               ;   in Loop: Header=BB70_35 Depth=2
	v_mov_b32_e32 v16, s33
	ds_cmpst_rtn_b32 v16, v12, v16, v7
	s_mov_b64 s[28:29], -1
	s_waitcnt lgkmcnt(0)
	v_cmp_eq_u32_e32 vcc, s33, v16
	s_and_saveexec_b64 s[26:27], vcc
	s_cbranch_execz .LBB70_41
; %bb.40:                               ;   in Loop: Header=BB70_35 Depth=2
	v_mad_u64_u32 v[16:17], s[28:29], v15, 12, v[12:13]
	ds_add_f64 v16, v[8:9] offset:1024
	ds_add_f64 v16, v[10:11] offset:1032
	s_xor_b64 s[28:29], exec, -1
.LBB70_41:                              ;   in Loop: Header=BB70_35 Depth=2
	s_or_b64 exec, exec, s[26:27]
	s_andn2_b64 s[22:23], s[22:23], exec
	s_and_b64 s[26:27], s[28:29], exec
	s_or_b64 s[22:23], s[22:23], s[26:27]
.LBB70_42:                              ;   in Loop: Header=BB70_35 Depth=2
	s_or_b64 exec, exec, s[24:25]
	s_and_b64 s[22:23], s[22:23], exec
                                        ; implicit-def: $vgpr12
.LBB70_43:                              ;   in Loop: Header=BB70_35 Depth=2
	s_andn2_saveexec_b64 s[20:21], s[20:21]
	s_cbranch_execz .LBB70_34
; %bb.44:                               ;   in Loop: Header=BB70_35 Depth=2
	v_mad_u64_u32 v[16:17], s[24:25], v15, 12, v[12:13]
	ds_add_f64 v16, v[8:9] offset:1024
	ds_add_f64 v16, v[10:11] offset:1032
	s_andn2_b64 s[22:23], s[22:23], exec
	s_branch .LBB70_34
.LBB70_45:
	s_or_b64 exec, exec, s[6:7]
.LBB70_46:
	s_waitcnt lgkmcnt(0)
	s_barrier
	s_and_saveexec_b64 s[10:11], s[4:5]
	s_cbranch_execz .LBB70_55
; %bb.47:
	s_waitcnt vmcnt(0)
	v_mbcnt_lo_u32_b32 v2, -1, 0
	v_mbcnt_hi_u32_b32 v2, -1, v2
	v_sub_u32_e32 v2, 63, v2
	v_and_b32_e32 v5, 4, v24
	s_movk_i32 s6, 0x7f
	v_mov_b32_e32 v4, 0
	v_lshrrev_b64 v[2:3], v2, -1
	v_add_u32_e32 v5, 0, v5
	v_cmp_lt_u32_e64 s[4:5], 63, v0
	v_cmp_eq_u32_e64 s[6:7], s6, v0
	v_add_u32_e32 v6, 0x400, v23
	v_or_b32_e32 v7, 0xffffff80, v0
	s_mov_b64 s[12:13], 0
	v_mov_b32_e32 v8, 0
	s_branch .LBB70_49
.LBB70_48:                              ;   in Loop: Header=BB70_49 Depth=1
	s_or_b64 exec, exec, s[14:15]
	s_waitcnt lgkmcnt(0)
	s_barrier
	ds_read_b32 v9, v4 offset:5124
	v_add_co_u32_e32 v7, vcc, 0x80, v7
	s_xor_b64 s[14:15], vcc, -1
	s_and_b64 s[14:15], exec, s[14:15]
	v_add_u32_e32 v6, 0x800, v6
	s_waitcnt lgkmcnt(0)
	v_add_u32_e32 v8, v9, v8
	s_or_b64 s[12:13], s[14:15], s[12:13]
	v_add_u32_e32 v1, 0x200, v1
	s_andn2_b64 exec, exec, s[12:13]
	s_cbranch_execz .LBB70_55
.LBB70_49:                              ; =>This Inner Loop Header: Depth=1
	ds_read2_b64 v[12:15], v6 offset1:1
	ds_read_b32 v10, v1
	s_waitcnt lgkmcnt(1)
	buffer_store_dword v15, off, s[0:3], 0 offset:12
	buffer_store_dword v14, off, s[0:3], 0 offset:8
	;; [unrolled: 1-line block ×3, first 2 shown]
	buffer_store_dword v12, off, s[0:3], 0
	s_waitcnt lgkmcnt(0)
	v_cmp_gt_i32_e32 vcc, s33, v10
	v_and_b32_e32 v11, vcc_lo, v2
	s_bcnt1_i32_b64 s9, vcc
	v_and_b32_e32 v9, vcc_hi, v3
	v_bcnt_u32_b32 v11, v11, 0
	v_bcnt_u32_b32 v9, v9, v11
	v_mov_b32_e32 v11, s9
	s_barrier
	ds_write_b32 v5, v11 offset:5120
	s_waitcnt lgkmcnt(0)
	s_barrier
	s_and_saveexec_b64 s[14:15], s[4:5]
	s_cbranch_execnz .LBB70_52
; %bb.50:                               ;   in Loop: Header=BB70_49 Depth=1
	s_or_b64 exec, exec, s[14:15]
	s_and_saveexec_b64 s[14:15], vcc
	s_cbranch_execnz .LBB70_53
.LBB70_51:                              ;   in Loop: Header=BB70_49 Depth=1
	s_or_b64 exec, exec, s[14:15]
	s_and_saveexec_b64 s[14:15], s[6:7]
	s_cbranch_execz .LBB70_48
	s_branch .LBB70_54
.LBB70_52:                              ;   in Loop: Header=BB70_49 Depth=1
	ds_read_b32 v11, v4 offset:5120
	s_waitcnt lgkmcnt(0)
	v_add_u32_e32 v9, v11, v9
	s_or_b64 exec, exec, s[14:15]
	s_and_saveexec_b64 s[14:15], vcc
	s_cbranch_execz .LBB70_51
.LBB70_53:                              ;   in Loop: Header=BB70_49 Depth=1
	buffer_load_dword v12, off, s[0:3], 0
	buffer_load_dword v13, off, s[0:3], 0 offset:4
	buffer_load_dword v14, off, s[0:3], 0 offset:8
	;; [unrolled: 1-line block ×3, first 2 shown]
	v_add3_u32 v11, v8, -1, v9
	v_lshl_add_u32 v16, v11, 2, 0
	v_lshl_add_u32 v11, v11, 4, 0
	ds_write_b32 v16, v10
	s_waitcnt vmcnt(0)
	ds_write2_b64 v11, v[12:13], v[14:15] offset0:128 offset1:129
	s_or_b64 exec, exec, s[14:15]
	s_and_saveexec_b64 s[14:15], s[6:7]
	s_cbranch_execz .LBB70_48
.LBB70_54:                              ;   in Loop: Header=BB70_49 Depth=1
	ds_write_b32 v4, v9 offset:5124
	s_branch .LBB70_48
.LBB70_55:
	s_or_b64 exec, exec, s[10:11]
	s_ashr_i32 s9, s8, 31
	s_lshl_b64 s[4:5], s[8:9], 2
	s_add_u32 s4, s18, s4
	s_addc_u32 s5, s19, s5
	s_load_dwordx2 s[4:5], s[4:5], 0x0
	s_waitcnt lgkmcnt(0)
	s_sub_i32 s18, s5, s4
	v_cmp_gt_i32_e32 vcc, s18, v0
	s_and_saveexec_b64 s[6:7], vcc
	s_cbranch_execz .LBB70_70
; %bb.56:
	s_sub_i32 s10, s4, s30
	s_add_i32 s4, s18, -2
	s_lshr_b32 s5, s4, 1
	s_add_i32 s6, s5, 1
	s_cmp_gt_u32 s18, 1
	s_cselect_b64 s[12:13], -1, 0
	s_and_b32 s19, s18, -2
	s_and_b32 s8, s6, 7
	s_cmp_gt_u32 s4, 13
	s_cselect_b64 s[4:5], -1, 0
	s_and_b32 s20, s6, -8
	s_cmp_lg_u32 s8, 0
	s_cselect_b64 s[6:7], -1, 0
	v_cndmask_b32_e64 v1, 0, 1, s[4:5]
	s_cmp_lg_u32 s18, s19
	v_cmp_ne_u32_e64 s[4:5], 1, v1
	v_cndmask_b32_e64 v1, 0, 1, s[6:7]
	s_mov_b32 s11, 0
	s_cselect_b64 s[14:15], -1, 0
	s_lshl_b32 s21, s8, 3
	s_mov_b64 s[16:17], 0
	v_cmp_ne_u32_e64 s[6:7], 1, v1
	v_mov_b32_e32 v1, s37
	s_waitcnt vmcnt(0)
	v_mov_b32_e32 v3, s39
	s_branch .LBB70_58
.LBB70_57:                              ;   in Loop: Header=BB70_58 Depth=1
	v_ashrrev_i32_e32 v5, 31, v4
	v_mad_u64_u32 v[8:9], s[8:9], v0, 12, v[2:3]
	s_waitcnt lgkmcnt(0)
	v_add_u32_e32 v2, s30, v6
	v_lshlrev_b64 v[6:7], 2, v[4:5]
	v_add_co_u32_e32 v6, vcc, s36, v6
	v_addc_co_u32_e32 v7, vcc, v1, v7, vcc
	global_store_dword v[6:7], v2, off
	v_lshlrev_b64 v[10:11], 4, v[4:5]
	ds_read2_b64 v[4:7], v8 offset0:128 offset1:129
	v_add_co_u32_e32 v8, vcc, s38, v10
	v_addc_co_u32_e32 v9, vcc, v3, v11, vcc
	v_add_u32_e32 v0, 0x80, v0
	v_cmp_le_i32_e32 vcc, s18, v0
	s_or_b64 s[16:17], vcc, s[16:17]
	s_waitcnt lgkmcnt(0)
	global_store_dwordx4 v[8:9], v[4:7], off
	s_andn2_b64 exec, exec, s[16:17]
	s_cbranch_execz .LBB70_70
.LBB70_58:                              ; =>This Loop Header: Depth=1
                                        ;     Child Loop BB70_61 Depth 2
                                        ;     Child Loop BB70_66 Depth 2
	;; [unrolled: 1-line block ×3, first 2 shown]
	v_lshl_add_u32 v2, v0, 2, 0
	ds_read_b32 v6, v2
	s_and_b64 vcc, exec, s[12:13]
	s_cbranch_vccz .LBB70_63
; %bb.59:                               ;   in Loop: Header=BB70_58 Depth=1
	s_and_b64 vcc, exec, s[4:5]
	s_cbranch_vccnz .LBB70_64
; %bb.60:                               ;   in Loop: Header=BB70_58 Depth=1
	s_mov_b32 s23, 0
	v_mov_b32_e32 v4, s10
	v_mov_b32_e32 v5, 0
	s_mov_b32 s24, s20
	s_mov_b32 s22, 0
.LBB70_61:                              ;   Parent Loop BB70_58 Depth=1
                                        ; =>  This Inner Loop Header: Depth=2
	v_mov_b32_e32 v7, s23
	ds_read2_b32 v[8:9], v7 offset1:1
	ds_read2_b32 v[10:11], v7 offset0:2 offset1:3
	ds_read2_b32 v[12:13], v7 offset0:4 offset1:5
	;; [unrolled: 1-line block ×7, first 2 shown]
	s_waitcnt lgkmcnt(7)
	v_cmp_gt_i32_e32 vcc, v6, v9
	s_waitcnt lgkmcnt(5)
	v_cmp_gt_i32_e64 s[8:9], v6, v12
	v_cndmask_b32_e64 v7, 0, 1, vcc
	v_cmp_gt_i32_e32 vcc, v6, v8
	v_cndmask_b32_e64 v9, 0, 1, s[8:9]
	v_cmp_gt_i32_e64 s[8:9], v6, v13
	v_cndmask_b32_e64 v8, 0, 1, vcc
	v_cmp_gt_i32_e32 vcc, v6, v11
	v_cndmask_b32_e64 v11, 0, 1, s[8:9]
	s_waitcnt lgkmcnt(3)
	v_cmp_gt_i32_e64 s[8:9], v6, v17
	v_cndmask_b32_e64 v12, 0, 1, s[8:9]
	v_cmp_gt_i32_e64 s[8:9], v6, v16
	v_cndmask_b32_e64 v13, 0, 1, s[8:9]
	s_waitcnt lgkmcnt(1)
	v_cmp_gt_i32_e64 s[8:9], v6, v20
	v_cndmask_b32_e64 v16, 0, 1, s[8:9]
	v_cmp_gt_i32_e64 s[8:9], v6, v21
	v_cndmask_b32_e64 v17, 0, 1, s[8:9]
	v_cmp_gt_i32_e64 s[8:9], v6, v10
	v_addc_co_u32_e64 v4, s[8:9], v4, v8, s[8:9]
	v_addc_co_u32_e32 v5, vcc, v5, v7, vcc
	v_cmp_gt_i32_e32 vcc, v6, v14
	v_cmp_gt_i32_e64 s[8:9], v6, v15
	v_addc_co_u32_e64 v5, s[8:9], v5, v11, s[8:9]
	v_addc_co_u32_e32 v4, vcc, v4, v9, vcc
	v_cmp_gt_i32_e32 vcc, v6, v19
	v_cmp_gt_i32_e64 s[8:9], v6, v18
	v_addc_co_u32_e64 v4, s[8:9], v4, v13, s[8:9]
	v_addc_co_u32_e32 v5, vcc, v5, v12, vcc
	s_add_i32 s22, s22, 16
	s_add_i32 s23, s23, 64
	s_add_i32 s24, s24, -8
	s_waitcnt lgkmcnt(0)
	v_cmp_gt_i32_e32 vcc, v6, v22
	v_cmp_gt_i32_e64 s[8:9], v6, v23
	s_cmp_lg_u32 s24, 0
	v_addc_co_u32_e64 v5, s[8:9], v5, v17, s[8:9]
	v_addc_co_u32_e32 v4, vcc, v4, v16, vcc
	s_cbranch_scc1 .LBB70_61
; %bb.62:                               ;   in Loop: Header=BB70_58 Depth=1
	s_and_b64 vcc, exec, s[6:7]
	s_cbranch_vccz .LBB70_65
	s_branch .LBB70_67
.LBB70_63:                              ;   in Loop: Header=BB70_58 Depth=1
	v_mov_b32_e32 v4, s10
	s_mov_b32 s22, 0
	s_cbranch_execz .LBB70_57
	s_branch .LBB70_68
.LBB70_64:                              ;   in Loop: Header=BB70_58 Depth=1
	v_pk_mov_b32 v[4:5], s[10:11], s[10:11] op_sel:[0,1]
	s_mov_b32 s22, 0
	s_and_b64 vcc, exec, s[6:7]
	s_cbranch_vccnz .LBB70_67
.LBB70_65:                              ;   in Loop: Header=BB70_58 Depth=1
	s_lshl_b32 s8, s22, 2
	s_add_i32 s8, s8, 0
	s_mov_b32 s9, s21
.LBB70_66:                              ;   Parent Loop BB70_58 Depth=1
                                        ; =>  This Inner Loop Header: Depth=2
	v_mov_b32_e32 v7, s8
	ds_read2_b32 v[8:9], v7 offset1:1
	s_add_i32 s8, s8, 8
	s_add_i32 s9, s9, -8
	s_cmp_lg_u32 s9, 0
	s_waitcnt lgkmcnt(0)
	v_cmp_gt_i32_e32 vcc, v6, v9
	v_addc_co_u32_e32 v5, vcc, 0, v5, vcc
	v_cmp_gt_i32_e32 vcc, v6, v8
	v_addc_co_u32_e32 v4, vcc, 0, v4, vcc
	s_cbranch_scc1 .LBB70_66
.LBB70_67:                              ;   in Loop: Header=BB70_58 Depth=1
	v_add_u32_e32 v4, v4, v5
	s_mov_b32 s22, s19
	s_mov_b64 s[8:9], s[14:15]
	s_and_b64 vcc, exec, s[8:9]
	s_cbranch_vccz .LBB70_57
.LBB70_68:                              ;   in Loop: Header=BB70_58 Depth=1
	s_lshl_b32 s8, s22, 2
	s_add_i32 s8, s8, 0
.LBB70_69:                              ;   Parent Loop BB70_58 Depth=1
                                        ; =>  This Inner Loop Header: Depth=2
	v_mov_b32_e32 v5, s8
	ds_read_b32 v5, v5
	s_add_i32 s22, s22, 1
	s_add_i32 s8, s8, 4
	s_cmp_ge_i32 s22, s18
	s_waitcnt lgkmcnt(0)
	v_cmp_gt_i32_e32 vcc, v6, v5
	v_addc_co_u32_e32 v4, vcc, 0, v4, vcc
	s_cbranch_scc0 .LBB70_69
	s_branch .LBB70_57
.LBB70_70:
	s_endpgm
	.section	.rodata,"a",@progbits
	.p2align	6, 0x0
	.amdhsa_kernel _ZN9rocsparseL26csrgemm_fill_block_per_rowILj128ELj16ELj256ELj137ELj64Eii21rocsparse_complex_numIdEEEvT5_PKS3_S5_NS_24const_host_device_scalarIT6_EEPKT4_S5_PKS7_SB_S5_SD_S8_SB_S5_SD_SB_PS3_PS7_21rocsparse_index_base_SG_SG_SG_bbb
		.amdhsa_group_segment_fixed_size 0
		.amdhsa_private_segment_fixed_size 40
		.amdhsa_kernarg_size 172
		.amdhsa_user_sgpr_count 8
		.amdhsa_user_sgpr_private_segment_buffer 1
		.amdhsa_user_sgpr_dispatch_ptr 0
		.amdhsa_user_sgpr_queue_ptr 0
		.amdhsa_user_sgpr_kernarg_segment_ptr 1
		.amdhsa_user_sgpr_dispatch_id 0
		.amdhsa_user_sgpr_flat_scratch_init 1
		.amdhsa_user_sgpr_kernarg_preload_length 0
		.amdhsa_user_sgpr_kernarg_preload_offset 0
		.amdhsa_user_sgpr_private_segment_size 0
		.amdhsa_uses_dynamic_stack 0
		.amdhsa_system_sgpr_private_segment_wavefront_offset 1
		.amdhsa_system_sgpr_workgroup_id_x 1
		.amdhsa_system_sgpr_workgroup_id_y 0
		.amdhsa_system_sgpr_workgroup_id_z 0
		.amdhsa_system_sgpr_workgroup_info 0
		.amdhsa_system_vgpr_workitem_id 0
		.amdhsa_next_free_vgpr 34
		.amdhsa_next_free_sgpr 58
		.amdhsa_accum_offset 36
		.amdhsa_reserve_vcc 1
		.amdhsa_reserve_flat_scratch 1
		.amdhsa_float_round_mode_32 0
		.amdhsa_float_round_mode_16_64 0
		.amdhsa_float_denorm_mode_32 3
		.amdhsa_float_denorm_mode_16_64 3
		.amdhsa_dx10_clamp 1
		.amdhsa_ieee_mode 1
		.amdhsa_fp16_overflow 0
		.amdhsa_tg_split 0
		.amdhsa_exception_fp_ieee_invalid_op 0
		.amdhsa_exception_fp_denorm_src 0
		.amdhsa_exception_fp_ieee_div_zero 0
		.amdhsa_exception_fp_ieee_overflow 0
		.amdhsa_exception_fp_ieee_underflow 0
		.amdhsa_exception_fp_ieee_inexact 0
		.amdhsa_exception_int_div_zero 0
	.end_amdhsa_kernel
	.section	.text._ZN9rocsparseL26csrgemm_fill_block_per_rowILj128ELj16ELj256ELj137ELj64Eii21rocsparse_complex_numIdEEEvT5_PKS3_S5_NS_24const_host_device_scalarIT6_EEPKT4_S5_PKS7_SB_S5_SD_S8_SB_S5_SD_SB_PS3_PS7_21rocsparse_index_base_SG_SG_SG_bbb,"axG",@progbits,_ZN9rocsparseL26csrgemm_fill_block_per_rowILj128ELj16ELj256ELj137ELj64Eii21rocsparse_complex_numIdEEEvT5_PKS3_S5_NS_24const_host_device_scalarIT6_EEPKT4_S5_PKS7_SB_S5_SD_S8_SB_S5_SD_SB_PS3_PS7_21rocsparse_index_base_SG_SG_SG_bbb,comdat
.Lfunc_end70:
	.size	_ZN9rocsparseL26csrgemm_fill_block_per_rowILj128ELj16ELj256ELj137ELj64Eii21rocsparse_complex_numIdEEEvT5_PKS3_S5_NS_24const_host_device_scalarIT6_EEPKT4_S5_PKS7_SB_S5_SD_S8_SB_S5_SD_SB_PS3_PS7_21rocsparse_index_base_SG_SG_SG_bbb, .Lfunc_end70-_ZN9rocsparseL26csrgemm_fill_block_per_rowILj128ELj16ELj256ELj137ELj64Eii21rocsparse_complex_numIdEEEvT5_PKS3_S5_NS_24const_host_device_scalarIT6_EEPKT4_S5_PKS7_SB_S5_SD_S8_SB_S5_SD_SB_PS3_PS7_21rocsparse_index_base_SG_SG_SG_bbb
                                        ; -- End function
	.section	.AMDGPU.csdata,"",@progbits
; Kernel info:
; codeLenInByte = 2988
; NumSgprs: 64
; NumVgprs: 34
; NumAgprs: 0
; TotalNumVgprs: 34
; ScratchSize: 40
; MemoryBound: 0
; FloatMode: 240
; IeeeMode: 1
; LDSByteSize: 0 bytes/workgroup (compile time only)
; SGPRBlocks: 7
; VGPRBlocks: 4
; NumSGPRsForWavesPerEU: 64
; NumVGPRsForWavesPerEU: 34
; AccumOffset: 36
; Occupancy: 8
; WaveLimiterHint : 1
; COMPUTE_PGM_RSRC2:SCRATCH_EN: 1
; COMPUTE_PGM_RSRC2:USER_SGPR: 8
; COMPUTE_PGM_RSRC2:TRAP_HANDLER: 0
; COMPUTE_PGM_RSRC2:TGID_X_EN: 1
; COMPUTE_PGM_RSRC2:TGID_Y_EN: 0
; COMPUTE_PGM_RSRC2:TGID_Z_EN: 0
; COMPUTE_PGM_RSRC2:TIDIG_COMP_CNT: 0
; COMPUTE_PGM_RSRC3_GFX90A:ACCUM_OFFSET: 8
; COMPUTE_PGM_RSRC3_GFX90A:TG_SPLIT: 0
	.section	.text._ZN9rocsparseL26csrgemm_fill_block_per_rowILj256ELj32ELj512ELj137ELj32Eii21rocsparse_complex_numIdEEEvT5_PKS3_S5_NS_24const_host_device_scalarIT6_EEPKT4_S5_PKS7_SB_S5_SD_S8_SB_S5_SD_SB_PS3_PS7_21rocsparse_index_base_SG_SG_SG_bbb,"axG",@progbits,_ZN9rocsparseL26csrgemm_fill_block_per_rowILj256ELj32ELj512ELj137ELj32Eii21rocsparse_complex_numIdEEEvT5_PKS3_S5_NS_24const_host_device_scalarIT6_EEPKT4_S5_PKS7_SB_S5_SD_S8_SB_S5_SD_SB_PS3_PS7_21rocsparse_index_base_SG_SG_SG_bbb,comdat
	.globl	_ZN9rocsparseL26csrgemm_fill_block_per_rowILj256ELj32ELj512ELj137ELj32Eii21rocsparse_complex_numIdEEEvT5_PKS3_S5_NS_24const_host_device_scalarIT6_EEPKT4_S5_PKS7_SB_S5_SD_S8_SB_S5_SD_SB_PS3_PS7_21rocsparse_index_base_SG_SG_SG_bbb ; -- Begin function _ZN9rocsparseL26csrgemm_fill_block_per_rowILj256ELj32ELj512ELj137ELj32Eii21rocsparse_complex_numIdEEEvT5_PKS3_S5_NS_24const_host_device_scalarIT6_EEPKT4_S5_PKS7_SB_S5_SD_S8_SB_S5_SD_SB_PS3_PS7_21rocsparse_index_base_SG_SG_SG_bbb
	.p2align	8
	.type	_ZN9rocsparseL26csrgemm_fill_block_per_rowILj256ELj32ELj512ELj137ELj32Eii21rocsparse_complex_numIdEEEvT5_PKS3_S5_NS_24const_host_device_scalarIT6_EEPKT4_S5_PKS7_SB_S5_SD_S8_SB_S5_SD_SB_PS3_PS7_21rocsparse_index_base_SG_SG_SG_bbb,@function
_ZN9rocsparseL26csrgemm_fill_block_per_rowILj256ELj32ELj512ELj137ELj32Eii21rocsparse_complex_numIdEEEvT5_PKS3_S5_NS_24const_host_device_scalarIT6_EEPKT4_S5_PKS7_SB_S5_SD_S8_SB_S5_SD_SB_PS3_PS7_21rocsparse_index_base_SG_SG_SG_bbb: ; @_ZN9rocsparseL26csrgemm_fill_block_per_rowILj256ELj32ELj512ELj137ELj32Eii21rocsparse_complex_numIdEEEvT5_PKS3_S5_NS_24const_host_device_scalarIT6_EEPKT4_S5_PKS7_SB_S5_SD_S8_SB_S5_SD_SB_PS3_PS7_21rocsparse_index_base_SG_SG_SG_bbb
; %bb.0:
	s_add_u32 flat_scratch_lo, s6, s9
	s_addc_u32 flat_scratch_hi, s7, 0
	s_add_u32 s0, s0, s9
	s_load_dword s9, s[4:5], 0xa8
	s_load_dwordx4 s[16:19], s[4:5], 0x18
	s_load_dwordx4 s[12:15], s[4:5], 0x58
	s_addc_u32 s1, s1, 0
	v_pk_mov_b32 v[2:3], 0, 0
	s_waitcnt lgkmcnt(0)
	s_bitcmp1_b32 s9, 0
	v_mov_b32_e32 v1, s17
	s_cselect_b64 s[50:51], -1, 0
	s_bitcmp1_b32 s9, 16
	buffer_store_dword v1, off, s[0:3], 0 offset:20
	v_mov_b32_e32 v1, s16
	s_cselect_b64 s[6:7], -1, 0
	buffer_store_dword v1, off, s[0:3], 0 offset:16
	v_mov_b32_e32 v1, s13
	buffer_store_dword v1, off, s[0:3], 0 offset:28
	v_mov_b32_e32 v1, s12
	s_xor_b64 s[10:11], s[6:7], -1
	buffer_store_dword v1, off, s[0:3], 0 offset:24
	v_cndmask_b32_e64 v1, 0, 1, s[10:11]
	s_bitcmp0_b32 s9, 0
	v_cmp_ne_u32_e64 s[10:11], 1, v1
	v_pk_mov_b32 v[6:7], v[2:3], v[2:3] op_sel:[0,1]
	v_pk_mov_b32 v[8:9], v[2:3], v[2:3] op_sel:[0,1]
	s_cbranch_scc1 .LBB71_3
; %bb.1:
	s_mov_b64 s[20:21], src_private_base
	s_and_b64 s[22:23], s[6:7], exec
	s_cselect_b32 s20, s21, s17
	v_mov_b32_e32 v1, 16
	v_mov_b32_e32 v4, s16
	v_cndmask_b32_e64 v4, v4, v1, s[6:7]
	v_mov_b32_e32 v5, s20
	flat_load_dwordx2 v[6:7], v[4:5]
	s_and_b64 vcc, exec, s[10:11]
	v_pk_mov_b32 v[8:9], s[18:19], s[18:19] op_sel:[0,1]
	s_cbranch_vccnz .LBB71_3
; %bb.2:
	v_pk_mov_b32 v[4:5], s[16:17], s[16:17] op_sel:[0,1]
	flat_load_dwordx2 v[8:9], v[4:5] offset:8
.LBB71_3:
	s_load_dwordx4 s[36:39], s[4:5], 0x98
	s_bitcmp1_b32 s9, 8
	s_cselect_b64 s[48:49], -1, 0
	s_bfe_u32 s9, s9, 0x10008
	s_cmp_eq_u32 s9, 0
	v_pk_mov_b32 v[4:5], v[2:3], v[2:3] op_sel:[0,1]
	s_cbranch_scc1 .LBB71_6
; %bb.4:
	s_mov_b64 s[16:17], src_private_base
	s_and_b64 s[18:19], s[6:7], exec
	s_cselect_b32 s9, s17, s13
	v_mov_b32_e32 v1, 24
	v_mov_b32_e32 v2, s12
	v_cndmask_b32_e64 v2, v2, v1, s[6:7]
	v_mov_b32_e32 v3, s9
	flat_load_dwordx2 v[4:5], v[2:3]
	s_and_b64 vcc, exec, s[10:11]
	v_pk_mov_b32 v[2:3], s[14:15], s[14:15] op_sel:[0,1]
	s_cbranch_vccnz .LBB71_6
; %bb.5:
	v_pk_mov_b32 v[2:3], s[12:13], s[12:13] op_sel:[0,1]
	flat_load_dwordx2 v[2:3], v[2:3] offset:8
.LBB71_6:
	s_load_dwordx4 s[40:43], s[4:5], 0x88
	s_load_dwordx8 s[16:23], s[4:5], 0x68
	s_load_dwordx4 s[12:15], s[4:5], 0x48
	s_load_dwordx8 s[24:31], s[4:5], 0x28
	s_load_dwordx4 s[44:47], s[4:5], 0x8
	s_load_dword s33, s[4:5], 0x0
	s_movk_i32 s4, 0x200
	v_cmp_gt_u32_e64 s[4:5], s4, v0
	v_lshl_add_u32 v23, v0, 4, 0
	v_lshl_add_u32 v1, v0, 2, 0
	s_and_saveexec_b64 s[6:7], s[4:5]
	s_cbranch_execz .LBB71_9
; %bb.7:
	s_mov_b32 s34, 0
	s_mov_b32 s35, s34
	;; [unrolled: 1-line block ×4, first 2 shown]
	v_add_u32_e32 v14, 0x800, v23
	v_or_b32_e32 v15, 0xffffff00, v0
	v_lshl_add_u32 v16, v0, 2, 0
	s_mov_b64 s[10:11], 0
	s_waitcnt lgkmcnt(0)
	v_mov_b32_e32 v17, s33
	v_pk_mov_b32 v[10:11], s[34:35], s[34:35] op_sel:[0,1]
	v_pk_mov_b32 v[12:13], s[52:53], s[52:53] op_sel:[0,1]
.LBB71_8:                               ; =>This Inner Loop Header: Depth=1
	v_add_co_u32_e32 v15, vcc, 0x100, v15
	s_xor_b64 s[34:35], vcc, -1
	s_and_b64 s[34:35], exec, s[34:35]
	ds_write_b32 v16, v17
	ds_write2_b64 v14, v[10:11], v[12:13] offset1:1
	v_add_u32_e32 v14, 0x1000, v14
	s_or_b64 s[10:11], s[34:35], s[10:11]
	v_add_u32_e32 v16, 0x400, v16
	s_andn2_b64 exec, exec, s[10:11]
	s_cbranch_execnz .LBB71_8
.LBB71_9:
	s_or_b64 exec, exec, s[6:7]
	s_waitcnt lgkmcnt(0)
	s_barrier
	s_load_dword s6, s[44:45], 0x0
	s_mov_b32 s7, 0
	v_lshrrev_b32_e32 v24, 5, v0
	s_waitcnt lgkmcnt(0)
	s_add_i32 s6, s6, s8
	s_lshl_b64 s[6:7], s[6:7], 2
	s_add_u32 s6, s46, s6
	s_addc_u32 s7, s47, s7
	s_load_dword s34, s[6:7], 0x0
	s_and_b64 vcc, exec, s[50:51]
	s_cbranch_vccz .LBB71_29
; %bb.10:
	s_waitcnt lgkmcnt(0)
	s_ashr_i32 s35, s34, 31
	s_lshl_b64 s[6:7], s[34:35], 2
	s_add_u32 s6, s24, s6
	s_addc_u32 s7, s25, s7
	s_load_dwordx2 s[6:7], s[6:7], 0x0
	v_subrev_u32_e32 v10, s36, v24
	s_waitcnt lgkmcnt(0)
	s_sub_i32 s35, s7, s36
	v_add_u32_e32 v10, s6, v10
	v_cmp_gt_i32_e32 vcc, s35, v10
	s_and_saveexec_b64 s[6:7], vcc
	s_cbranch_execz .LBB71_28
; %bb.11:
	v_and_b32_e32 v11, 31, v0
	v_subrev_u32_e32 v25, s37, v11
	s_mov_b64 s[8:9], 0
	v_mov_b32_e32 v26, s27
	v_mov_b32_e32 v27, s31
	s_movk_i32 s27, 0x89
	s_branch .LBB71_13
.LBB71_12:                              ;   in Loop: Header=BB71_13 Depth=1
	s_or_b64 exec, exec, s[10:11]
	v_add_u32_e32 v10, 8, v10
	v_cmp_le_i32_e32 vcc, s35, v10
	s_or_b64 s[8:9], vcc, s[8:9]
	s_andn2_b64 exec, exec, s[8:9]
	s_cbranch_execz .LBB71_28
.LBB71_13:                              ; =>This Loop Header: Depth=1
                                        ;     Child Loop BB71_16 Depth 2
                                        ;       Child Loop BB71_18 Depth 3
	v_ashrrev_i32_e32 v11, 31, v10
	v_lshlrev_b64 v[12:13], 2, v[10:11]
	v_add_co_u32_e32 v12, vcc, s26, v12
	v_addc_co_u32_e32 v13, vcc, v26, v13, vcc
	global_load_dword v12, v[12:13], off
	s_waitcnt vmcnt(0)
	v_subrev_u32_e32 v12, s36, v12
	v_ashrrev_i32_e32 v13, 31, v12
	v_lshlrev_b64 v[12:13], 2, v[12:13]
	v_add_co_u32_e32 v12, vcc, s30, v12
	v_addc_co_u32_e32 v13, vcc, v27, v13, vcc
	global_load_dwordx2 v[12:13], v[12:13], off
	s_waitcnt vmcnt(0)
	v_subrev_u32_e32 v28, s37, v13
	v_add_u32_e32 v12, v12, v25
	v_cmp_lt_i32_e32 vcc, v12, v28
	s_and_saveexec_b64 s[10:11], vcc
	s_cbranch_execz .LBB71_12
; %bb.14:                               ;   in Loop: Header=BB71_13 Depth=1
	v_lshlrev_b64 v[14:15], 4, v[10:11]
	v_mov_b32_e32 v11, s29
	v_add_co_u32_e32 v14, vcc, s28, v14
	v_addc_co_u32_e32 v15, vcc, v11, v15, vcc
	global_load_dwordx4 v[18:21], v[14:15], off
	s_mov_b64 s[24:25], 0
	s_waitcnt vmcnt(0)
	v_mul_f64 v[14:15], v[20:21], -v[8:9]
	v_mul_f64 v[16:17], v[6:7], v[20:21]
	v_fmac_f64_e32 v[14:15], v[6:7], v[18:19]
	v_fmac_f64_e32 v[16:17], v[8:9], v[18:19]
	s_branch .LBB71_16
.LBB71_15:                              ;   in Loop: Header=BB71_16 Depth=2
	s_or_b64 exec, exec, s[44:45]
	v_add_u32_e32 v12, 32, v12
	v_cmp_ge_i32_e32 vcc, v12, v28
	s_or_b64 s[24:25], vcc, s[24:25]
	s_andn2_b64 exec, exec, s[24:25]
	s_cbranch_execz .LBB71_12
.LBB71_16:                              ;   Parent Loop BB71_13 Depth=1
                                        ; =>  This Loop Header: Depth=2
                                        ;       Child Loop BB71_18 Depth 3
	v_ashrrev_i32_e32 v13, 31, v12
	v_lshlrev_b64 v[18:19], 2, v[12:13]
	v_mov_b32_e32 v11, s13
	v_add_co_u32_e32 v18, vcc, s12, v18
	v_addc_co_u32_e32 v19, vcc, v11, v19, vcc
	global_load_dword v11, v[18:19], off
	v_lshlrev_b64 v[18:19], 4, v[12:13]
	v_mov_b32_e32 v13, s15
	v_add_co_u32_e32 v18, vcc, s14, v18
	v_addc_co_u32_e32 v19, vcc, v13, v19, vcc
	global_load_dwordx4 v[30:33], v[18:19], off
	s_mov_b64 s[44:45], 0
	s_waitcnt vmcnt(1)
	v_subrev_u32_e32 v11, s37, v11
	v_mul_lo_u32 v13, v11, s27
	v_and_b32_e32 v13, 0x1ff, v13
	s_waitcnt vmcnt(0)
	v_mul_f64 v[18:19], v[32:33], -v[16:17]
	v_mul_f64 v[20:21], v[14:15], v[32:33]
	v_fmac_f64_e32 v[18:19], v[14:15], v[30:31]
	v_fmac_f64_e32 v[20:21], v[16:17], v[30:31]
	s_branch .LBB71_18
.LBB71_17:                              ;   in Loop: Header=BB71_18 Depth=3
	s_or_b64 exec, exec, s[46:47]
	s_xor_b64 s[46:47], s[50:51], -1
	s_and_b64 s[46:47], exec, s[46:47]
	s_or_b64 s[44:45], s[46:47], s[44:45]
	s_andn2_b64 exec, exec, s[44:45]
	s_cbranch_execz .LBB71_15
.LBB71_18:                              ;   Parent Loop BB71_13 Depth=1
                                        ;     Parent Loop BB71_16 Depth=2
                                        ; =>    This Inner Loop Header: Depth=3
	v_lshl_add_u32 v22, v13, 2, 0
	ds_read_b32 v29, v22
                                        ; implicit-def: $sgpr50_sgpr51
	s_waitcnt lgkmcnt(0)
	v_cmp_ne_u32_e32 vcc, v29, v11
	s_and_saveexec_b64 s[46:47], vcc
	s_xor_b64 s[46:47], exec, s[46:47]
	s_cbranch_execz .LBB71_26
; %bb.19:                               ;   in Loop: Header=BB71_18 Depth=3
	v_cmp_ne_u32_e32 vcc, s33, v29
                                        ; implicit-def: $sgpr50_sgpr51
	s_and_saveexec_b64 s[52:53], vcc
	s_xor_b64 s[52:53], exec, s[52:53]
; %bb.20:                               ;   in Loop: Header=BB71_18 Depth=3
	v_add_u32_e32 v13, 1, v13
	v_and_b32_e32 v13, 0x1ff, v13
	s_mov_b64 s[50:51], -1
                                        ; implicit-def: $vgpr22
; %bb.21:                               ;   in Loop: Header=BB71_18 Depth=3
	s_andn2_saveexec_b64 s[52:53], s[52:53]
	s_cbranch_execz .LBB71_25
; %bb.22:                               ;   in Loop: Header=BB71_18 Depth=3
	v_mov_b32_e32 v29, s33
	ds_cmpst_rtn_b32 v29, v22, v29, v11
	s_mov_b64 s[56:57], -1
	s_waitcnt lgkmcnt(0)
	v_cmp_eq_u32_e32 vcc, s33, v29
	s_and_saveexec_b64 s[54:55], vcc
	s_cbranch_execz .LBB71_24
; %bb.23:                               ;   in Loop: Header=BB71_18 Depth=3
	v_mad_u64_u32 v[30:31], s[56:57], v13, 12, v[22:23]
	ds_add_f64 v30, v[18:19] offset:2048
	ds_add_f64 v30, v[20:21] offset:2056
	s_xor_b64 s[56:57], exec, -1
.LBB71_24:                              ;   in Loop: Header=BB71_18 Depth=3
	s_or_b64 exec, exec, s[54:55]
	s_andn2_b64 s[50:51], s[50:51], exec
	s_and_b64 s[54:55], s[56:57], exec
	s_or_b64 s[50:51], s[50:51], s[54:55]
.LBB71_25:                              ;   in Loop: Header=BB71_18 Depth=3
	s_or_b64 exec, exec, s[52:53]
	s_and_b64 s[50:51], s[50:51], exec
                                        ; implicit-def: $vgpr22
.LBB71_26:                              ;   in Loop: Header=BB71_18 Depth=3
	s_andn2_saveexec_b64 s[46:47], s[46:47]
	s_cbranch_execz .LBB71_17
; %bb.27:                               ;   in Loop: Header=BB71_18 Depth=3
	v_mad_u64_u32 v[30:31], s[52:53], v13, 12, v[22:23]
	ds_add_f64 v30, v[18:19] offset:2048
	ds_add_f64 v30, v[20:21] offset:2056
	s_andn2_b64 s[50:51], s[50:51], exec
	s_branch .LBB71_17
.LBB71_28:
	s_or_b64 exec, exec, s[6:7]
.LBB71_29:
	s_andn2_b64 vcc, exec, s[48:49]
	s_cbranch_vccnz .LBB71_46
; %bb.30:
	s_waitcnt lgkmcnt(0)
	s_ashr_i32 s35, s34, 31
	s_lshl_b64 s[6:7], s[34:35], 2
	s_add_u32 s6, s16, s6
	s_addc_u32 s7, s17, s7
	s_load_dwordx2 s[6:7], s[6:7], 0x0
	s_waitcnt vmcnt(0)
	v_subrev_u32_e32 v6, s39, v0
	s_waitcnt lgkmcnt(0)
	s_sub_i32 s28, s7, s39
	v_add_u32_e32 v6, s6, v6
	v_cmp_gt_i32_e32 vcc, s28, v6
	s_and_saveexec_b64 s[6:7], vcc
	s_cbranch_execz .LBB71_45
; %bb.31:
	s_mov_b64 s[8:9], 0
	v_mov_b32_e32 v13, s19
	v_mov_b32_e32 v14, s21
	s_movk_i32 s19, 0x89
	s_branch .LBB71_33
.LBB71_32:                              ;   in Loop: Header=BB71_33 Depth=1
	s_or_b64 exec, exec, s[10:11]
	v_add_u32_e32 v6, 0x100, v6
	v_cmp_le_i32_e32 vcc, s28, v6
	s_or_b64 s[8:9], vcc, s[8:9]
	s_andn2_b64 exec, exec, s[8:9]
	s_cbranch_execz .LBB71_45
.LBB71_33:                              ; =>This Loop Header: Depth=1
                                        ;     Child Loop BB71_35 Depth 2
	v_ashrrev_i32_e32 v7, 31, v6
	v_lshlrev_b64 v[8:9], 2, v[6:7]
	v_add_co_u32_e32 v8, vcc, s18, v8
	v_addc_co_u32_e32 v9, vcc, v13, v9, vcc
	global_load_dword v10, v[8:9], off
	v_lshlrev_b64 v[8:9], 4, v[6:7]
	v_add_co_u32_e32 v8, vcc, s20, v8
	v_addc_co_u32_e32 v9, vcc, v14, v9, vcc
	global_load_dwordx4 v[16:19], v[8:9], off
	s_mov_b64 s[10:11], 0
	s_waitcnt vmcnt(1)
	v_subrev_u32_e32 v7, s39, v10
	v_mul_lo_u32 v12, v7, s19
	v_and_b32_e32 v15, 0x1ff, v12
	s_waitcnt vmcnt(0)
	v_mul_f64 v[8:9], v[18:19], -v[2:3]
	v_mul_f64 v[10:11], v[4:5], v[18:19]
	v_fmac_f64_e32 v[8:9], v[4:5], v[16:17]
	v_fmac_f64_e32 v[10:11], v[2:3], v[16:17]
	s_branch .LBB71_35
.LBB71_34:                              ;   in Loop: Header=BB71_35 Depth=2
	s_or_b64 exec, exec, s[12:13]
	s_xor_b64 s[12:13], s[14:15], -1
	s_and_b64 s[12:13], exec, s[12:13]
	s_or_b64 s[10:11], s[12:13], s[10:11]
	s_andn2_b64 exec, exec, s[10:11]
	s_cbranch_execz .LBB71_32
.LBB71_35:                              ;   Parent Loop BB71_33 Depth=1
                                        ; =>  This Inner Loop Header: Depth=2
	v_lshl_add_u32 v12, v15, 2, 0
	ds_read_b32 v16, v12
                                        ; implicit-def: $sgpr14_sgpr15
	s_waitcnt lgkmcnt(0)
	v_cmp_ne_u32_e32 vcc, v16, v7
	s_and_saveexec_b64 s[12:13], vcc
	s_xor_b64 s[12:13], exec, s[12:13]
	s_cbranch_execz .LBB71_43
; %bb.36:                               ;   in Loop: Header=BB71_35 Depth=2
	v_cmp_ne_u32_e32 vcc, s33, v16
                                        ; implicit-def: $sgpr14_sgpr15
	s_and_saveexec_b64 s[16:17], vcc
	s_xor_b64 s[16:17], exec, s[16:17]
; %bb.37:                               ;   in Loop: Header=BB71_35 Depth=2
	v_add_u32_e32 v12, 1, v15
	v_and_b32_e32 v15, 0x1ff, v12
	s_mov_b64 s[14:15], -1
                                        ; implicit-def: $vgpr12
; %bb.38:                               ;   in Loop: Header=BB71_35 Depth=2
	s_andn2_saveexec_b64 s[16:17], s[16:17]
	s_cbranch_execz .LBB71_42
; %bb.39:                               ;   in Loop: Header=BB71_35 Depth=2
	v_mov_b32_e32 v16, s33
	ds_cmpst_rtn_b32 v16, v12, v16, v7
	s_mov_b64 s[26:27], -1
	s_waitcnt lgkmcnt(0)
	v_cmp_eq_u32_e32 vcc, s33, v16
	s_and_saveexec_b64 s[24:25], vcc
	s_cbranch_execz .LBB71_41
; %bb.40:                               ;   in Loop: Header=BB71_35 Depth=2
	v_mad_u64_u32 v[16:17], s[26:27], v15, 12, v[12:13]
	ds_add_f64 v16, v[8:9] offset:2048
	ds_add_f64 v16, v[10:11] offset:2056
	s_xor_b64 s[26:27], exec, -1
.LBB71_41:                              ;   in Loop: Header=BB71_35 Depth=2
	s_or_b64 exec, exec, s[24:25]
	s_andn2_b64 s[14:15], s[14:15], exec
	s_and_b64 s[24:25], s[26:27], exec
	s_or_b64 s[14:15], s[14:15], s[24:25]
.LBB71_42:                              ;   in Loop: Header=BB71_35 Depth=2
	s_or_b64 exec, exec, s[16:17]
	s_and_b64 s[14:15], s[14:15], exec
                                        ; implicit-def: $vgpr12
.LBB71_43:                              ;   in Loop: Header=BB71_35 Depth=2
	s_andn2_saveexec_b64 s[12:13], s[12:13]
	s_cbranch_execz .LBB71_34
; %bb.44:                               ;   in Loop: Header=BB71_35 Depth=2
	v_mad_u64_u32 v[16:17], s[16:17], v15, 12, v[12:13]
	ds_add_f64 v16, v[8:9] offset:2048
	ds_add_f64 v16, v[10:11] offset:2056
	s_andn2_b64 s[14:15], s[14:15], exec
	s_branch .LBB71_34
.LBB71_45:
	s_or_b64 exec, exec, s[6:7]
.LBB71_46:
	s_waitcnt lgkmcnt(0)
	s_barrier
	s_and_saveexec_b64 s[20:21], s[4:5]
	s_cbranch_execz .LBB71_67
; %bb.47:
	s_waitcnt vmcnt(0)
	v_mbcnt_lo_u32_b32 v2, -1, 0
	v_mbcnt_hi_u32_b32 v2, -1, v2
	v_sub_u32_e32 v2, 63, v2
	s_movk_i32 s4, 0xff
	s_movk_i32 s10, 0x5f
	;; [unrolled: 1-line block ×6, first 2 shown]
	v_mov_b32_e32 v4, 0
	v_lshrrev_b64 v[2:3], v2, -1
	v_lshl_add_u32 v5, v24, 2, 0
	v_cmp_eq_u32_e64 s[4:5], s4, v0
	v_cmp_lt_u32_e64 s[6:7], 31, v0
	v_cmp_lt_u32_e64 s[8:9], 63, v0
	;; [unrolled: 1-line block ×7, first 2 shown]
	v_add_u32_e32 v6, 0x800, v23
	v_or_b32_e32 v7, 0xffffff00, v0
	s_mov_b64 s[24:25], 0
	v_mov_b32_e32 v8, 0
	s_branch .LBB71_49
.LBB71_48:                              ;   in Loop: Header=BB71_49 Depth=1
	s_or_b64 exec, exec, s[26:27]
	s_waitcnt lgkmcnt(0)
	s_barrier
	ds_read_b32 v9, v4 offset:10268
	v_add_co_u32_e32 v7, vcc, 0x100, v7
	s_xor_b64 s[26:27], vcc, -1
	s_and_b64 s[26:27], exec, s[26:27]
	v_add_u32_e32 v6, 0x1000, v6
	s_waitcnt lgkmcnt(0)
	v_add_u32_e32 v8, v9, v8
	s_or_b64 s[24:25], s[26:27], s[24:25]
	v_add_u32_e32 v1, 0x400, v1
	s_andn2_b64 exec, exec, s[24:25]
	s_cbranch_execz .LBB71_67
.LBB71_49:                              ; =>This Inner Loop Header: Depth=1
	ds_read2_b64 v[12:15], v6 offset1:1
	ds_read_b32 v10, v1
	s_waitcnt lgkmcnt(1)
	buffer_store_dword v15, off, s[0:3], 0 offset:12
	buffer_store_dword v14, off, s[0:3], 0 offset:8
	;; [unrolled: 1-line block ×3, first 2 shown]
	buffer_store_dword v12, off, s[0:3], 0
	s_waitcnt lgkmcnt(0)
	v_cmp_gt_i32_e32 vcc, s33, v10
	v_and_b32_e32 v11, vcc_lo, v2
	s_bcnt1_i32_b64 s26, vcc
	v_and_b32_e32 v9, vcc_hi, v3
	v_bcnt_u32_b32 v11, v11, 0
	v_bcnt_u32_b32 v9, v9, v11
	v_mov_b32_e32 v11, s26
	s_barrier
	ds_write_b32 v5, v11 offset:10240
	s_waitcnt lgkmcnt(0)
	s_barrier
	s_and_saveexec_b64 s[26:27], s[6:7]
	s_cbranch_execnz .LBB71_58
; %bb.50:                               ;   in Loop: Header=BB71_49 Depth=1
	s_or_b64 exec, exec, s[26:27]
	s_and_saveexec_b64 s[26:27], s[8:9]
	s_cbranch_execnz .LBB71_59
.LBB71_51:                              ;   in Loop: Header=BB71_49 Depth=1
	s_or_b64 exec, exec, s[26:27]
	s_and_saveexec_b64 s[26:27], s[10:11]
	s_cbranch_execnz .LBB71_60
.LBB71_52:                              ;   in Loop: Header=BB71_49 Depth=1
	s_or_b64 exec, exec, s[26:27]
	s_and_saveexec_b64 s[26:27], s[12:13]
	s_cbranch_execnz .LBB71_61
.LBB71_53:                              ;   in Loop: Header=BB71_49 Depth=1
	s_or_b64 exec, exec, s[26:27]
	s_and_saveexec_b64 s[26:27], s[14:15]
	s_cbranch_execnz .LBB71_62
.LBB71_54:                              ;   in Loop: Header=BB71_49 Depth=1
	s_or_b64 exec, exec, s[26:27]
	s_and_saveexec_b64 s[26:27], s[16:17]
	s_cbranch_execnz .LBB71_63
.LBB71_55:                              ;   in Loop: Header=BB71_49 Depth=1
	s_or_b64 exec, exec, s[26:27]
	s_and_saveexec_b64 s[26:27], s[18:19]
	s_cbranch_execnz .LBB71_64
.LBB71_56:                              ;   in Loop: Header=BB71_49 Depth=1
	s_or_b64 exec, exec, s[26:27]
	s_and_saveexec_b64 s[26:27], vcc
	s_cbranch_execnz .LBB71_65
.LBB71_57:                              ;   in Loop: Header=BB71_49 Depth=1
	s_or_b64 exec, exec, s[26:27]
	s_and_saveexec_b64 s[26:27], s[4:5]
	s_cbranch_execz .LBB71_48
	s_branch .LBB71_66
.LBB71_58:                              ;   in Loop: Header=BB71_49 Depth=1
	ds_read_b32 v11, v4 offset:10240
	s_waitcnt lgkmcnt(0)
	v_add_u32_e32 v9, v11, v9
	s_or_b64 exec, exec, s[26:27]
	s_and_saveexec_b64 s[26:27], s[8:9]
	s_cbranch_execz .LBB71_51
.LBB71_59:                              ;   in Loop: Header=BB71_49 Depth=1
	ds_read_b32 v11, v4 offset:10244
	s_waitcnt lgkmcnt(0)
	v_add_u32_e32 v9, v11, v9
	s_or_b64 exec, exec, s[26:27]
	s_and_saveexec_b64 s[26:27], s[10:11]
	s_cbranch_execz .LBB71_52
.LBB71_60:                              ;   in Loop: Header=BB71_49 Depth=1
	ds_read_b32 v11, v4 offset:10248
	s_waitcnt lgkmcnt(0)
	v_add_u32_e32 v9, v11, v9
	s_or_b64 exec, exec, s[26:27]
	s_and_saveexec_b64 s[26:27], s[12:13]
	s_cbranch_execz .LBB71_53
.LBB71_61:                              ;   in Loop: Header=BB71_49 Depth=1
	ds_read_b32 v11, v4 offset:10252
	s_waitcnt lgkmcnt(0)
	v_add_u32_e32 v9, v11, v9
	s_or_b64 exec, exec, s[26:27]
	s_and_saveexec_b64 s[26:27], s[14:15]
	s_cbranch_execz .LBB71_54
.LBB71_62:                              ;   in Loop: Header=BB71_49 Depth=1
	ds_read_b32 v11, v4 offset:10256
	s_waitcnt lgkmcnt(0)
	v_add_u32_e32 v9, v11, v9
	s_or_b64 exec, exec, s[26:27]
	s_and_saveexec_b64 s[26:27], s[16:17]
	s_cbranch_execz .LBB71_55
.LBB71_63:                              ;   in Loop: Header=BB71_49 Depth=1
	ds_read_b32 v11, v4 offset:10260
	s_waitcnt lgkmcnt(0)
	v_add_u32_e32 v9, v11, v9
	s_or_b64 exec, exec, s[26:27]
	s_and_saveexec_b64 s[26:27], s[18:19]
	s_cbranch_execz .LBB71_56
.LBB71_64:                              ;   in Loop: Header=BB71_49 Depth=1
	ds_read_b32 v11, v4 offset:10264
	s_waitcnt lgkmcnt(0)
	v_add_u32_e32 v9, v11, v9
	s_or_b64 exec, exec, s[26:27]
	s_and_saveexec_b64 s[26:27], vcc
	s_cbranch_execz .LBB71_57
.LBB71_65:                              ;   in Loop: Header=BB71_49 Depth=1
	buffer_load_dword v12, off, s[0:3], 0
	buffer_load_dword v13, off, s[0:3], 0 offset:4
	buffer_load_dword v14, off, s[0:3], 0 offset:8
	;; [unrolled: 1-line block ×3, first 2 shown]
	v_add3_u32 v11, v8, -1, v9
	v_lshl_add_u32 v16, v11, 2, 0
	v_lshl_add_u32 v11, v11, 4, 0
	v_add_u32_e32 v11, 0x800, v11
	ds_write_b32 v16, v10
	s_waitcnt vmcnt(0)
	ds_write2_b64 v11, v[12:13], v[14:15] offset1:1
	s_or_b64 exec, exec, s[26:27]
	s_and_saveexec_b64 s[26:27], s[4:5]
	s_cbranch_execz .LBB71_48
.LBB71_66:                              ;   in Loop: Header=BB71_49 Depth=1
	ds_write_b32 v4, v9 offset:10268
	s_branch .LBB71_48
.LBB71_67:
	s_or_b64 exec, exec, s[20:21]
	s_ashr_i32 s35, s34, 31
	s_lshl_b64 s[4:5], s[34:35], 2
	s_add_u32 s4, s22, s4
	s_addc_u32 s5, s23, s5
	s_load_dwordx2 s[4:5], s[4:5], 0x0
	s_waitcnt lgkmcnt(0)
	s_sub_i32 s18, s5, s4
	v_cmp_gt_i32_e32 vcc, s18, v0
	s_and_saveexec_b64 s[6:7], vcc
	s_cbranch_execz .LBB71_82
; %bb.68:
	s_sub_i32 s10, s4, s38
	s_add_i32 s4, s18, -2
	s_lshr_b32 s5, s4, 1
	s_add_i32 s6, s5, 1
	s_cmp_gt_u32 s18, 1
	s_cselect_b64 s[12:13], -1, 0
	s_and_b32 s19, s18, -2
	s_and_b32 s8, s6, 7
	s_cmp_gt_u32 s4, 13
	s_cselect_b64 s[4:5], -1, 0
	s_and_b32 s20, s6, -8
	s_cmp_lg_u32 s8, 0
	s_cselect_b64 s[6:7], -1, 0
	v_cndmask_b32_e64 v1, 0, 1, s[4:5]
	s_cmp_lg_u32 s18, s19
	v_cmp_ne_u32_e64 s[4:5], 1, v1
	v_cndmask_b32_e64 v1, 0, 1, s[6:7]
	s_mov_b32 s11, 0
	s_cselect_b64 s[14:15], -1, 0
	s_lshl_b32 s21, s8, 3
	s_mov_b64 s[16:17], 0
	v_cmp_ne_u32_e64 s[6:7], 1, v1
	s_movk_i32 s22, 0x800
	v_mov_b32_e32 v1, s41
	s_waitcnt vmcnt(0)
	v_mov_b32_e32 v4, s43
	s_branch .LBB71_70
.LBB71_69:                              ;   in Loop: Header=BB71_70 Depth=1
	v_mul_lo_u32 v3, v0, 12
	v_add3_u32 v5, v5, v3, s22
	v_ashrrev_i32_e32 v3, 31, v2
	s_waitcnt lgkmcnt(0)
	v_add_u32_e32 v8, s38, v6
	v_lshlrev_b64 v[6:7], 2, v[2:3]
	v_add_co_u32_e32 v6, vcc, s40, v6
	v_addc_co_u32_e32 v7, vcc, v1, v7, vcc
	global_store_dword v[6:7], v8, off
	v_lshlrev_b64 v[2:3], 4, v[2:3]
	ds_read2_b64 v[6:9], v5 offset1:1
	v_add_co_u32_e32 v2, vcc, s42, v2
	v_addc_co_u32_e32 v3, vcc, v4, v3, vcc
	v_add_u32_e32 v0, 0x100, v0
	v_cmp_le_i32_e32 vcc, s18, v0
	s_or_b64 s[16:17], vcc, s[16:17]
	s_waitcnt lgkmcnt(0)
	global_store_dwordx4 v[2:3], v[6:9], off
	s_andn2_b64 exec, exec, s[16:17]
	s_cbranch_execz .LBB71_82
.LBB71_70:                              ; =>This Loop Header: Depth=1
                                        ;     Child Loop BB71_73 Depth 2
                                        ;     Child Loop BB71_78 Depth 2
	;; [unrolled: 1-line block ×3, first 2 shown]
	v_lshl_add_u32 v5, v0, 2, 0
	ds_read_b32 v6, v5
	s_and_b64 vcc, exec, s[12:13]
	s_cbranch_vccz .LBB71_75
; %bb.71:                               ;   in Loop: Header=BB71_70 Depth=1
	s_and_b64 vcc, exec, s[4:5]
	s_cbranch_vccnz .LBB71_76
; %bb.72:                               ;   in Loop: Header=BB71_70 Depth=1
	s_mov_b32 s24, 0
	v_mov_b32_e32 v2, s10
	v_mov_b32_e32 v3, 0
	s_mov_b32 s25, s20
	s_mov_b32 s23, 0
.LBB71_73:                              ;   Parent Loop BB71_70 Depth=1
                                        ; =>  This Inner Loop Header: Depth=2
	v_mov_b32_e32 v7, s24
	ds_read2_b32 v[8:9], v7 offset1:1
	ds_read2_b32 v[10:11], v7 offset0:2 offset1:3
	ds_read2_b32 v[12:13], v7 offset0:4 offset1:5
	;; [unrolled: 1-line block ×7, first 2 shown]
	s_waitcnt lgkmcnt(7)
	v_cmp_gt_i32_e32 vcc, v6, v9
	s_waitcnt lgkmcnt(5)
	v_cmp_gt_i32_e64 s[8:9], v6, v12
	v_cndmask_b32_e64 v7, 0, 1, vcc
	v_cmp_gt_i32_e32 vcc, v6, v8
	v_cndmask_b32_e64 v9, 0, 1, s[8:9]
	v_cmp_gt_i32_e64 s[8:9], v6, v13
	v_cndmask_b32_e64 v8, 0, 1, vcc
	v_cmp_gt_i32_e32 vcc, v6, v11
	v_cndmask_b32_e64 v11, 0, 1, s[8:9]
	s_waitcnt lgkmcnt(3)
	v_cmp_gt_i32_e64 s[8:9], v6, v17
	v_cndmask_b32_e64 v12, 0, 1, s[8:9]
	v_cmp_gt_i32_e64 s[8:9], v6, v16
	v_cndmask_b32_e64 v13, 0, 1, s[8:9]
	s_waitcnt lgkmcnt(1)
	v_cmp_gt_i32_e64 s[8:9], v6, v20
	v_cndmask_b32_e64 v16, 0, 1, s[8:9]
	v_cmp_gt_i32_e64 s[8:9], v6, v21
	v_cndmask_b32_e64 v17, 0, 1, s[8:9]
	v_cmp_gt_i32_e64 s[8:9], v6, v10
	v_addc_co_u32_e64 v2, s[8:9], v2, v8, s[8:9]
	v_addc_co_u32_e32 v3, vcc, v3, v7, vcc
	v_cmp_gt_i32_e32 vcc, v6, v14
	v_cmp_gt_i32_e64 s[8:9], v6, v15
	v_addc_co_u32_e64 v3, s[8:9], v3, v11, s[8:9]
	v_addc_co_u32_e32 v2, vcc, v2, v9, vcc
	v_cmp_gt_i32_e32 vcc, v6, v19
	v_cmp_gt_i32_e64 s[8:9], v6, v18
	v_addc_co_u32_e64 v2, s[8:9], v2, v13, s[8:9]
	v_addc_co_u32_e32 v3, vcc, v3, v12, vcc
	s_add_i32 s23, s23, 16
	s_add_i32 s24, s24, 64
	s_add_i32 s25, s25, -8
	s_waitcnt lgkmcnt(0)
	v_cmp_gt_i32_e32 vcc, v6, v22
	v_cmp_gt_i32_e64 s[8:9], v6, v23
	s_cmp_lg_u32 s25, 0
	v_addc_co_u32_e64 v3, s[8:9], v3, v17, s[8:9]
	v_addc_co_u32_e32 v2, vcc, v2, v16, vcc
	s_cbranch_scc1 .LBB71_73
; %bb.74:                               ;   in Loop: Header=BB71_70 Depth=1
	s_and_b64 vcc, exec, s[6:7]
	s_cbranch_vccz .LBB71_77
	s_branch .LBB71_79
.LBB71_75:                              ;   in Loop: Header=BB71_70 Depth=1
	v_mov_b32_e32 v2, s10
	s_mov_b32 s23, 0
	s_cbranch_execz .LBB71_69
	s_branch .LBB71_80
.LBB71_76:                              ;   in Loop: Header=BB71_70 Depth=1
	v_pk_mov_b32 v[2:3], s[10:11], s[10:11] op_sel:[0,1]
	s_mov_b32 s23, 0
	s_and_b64 vcc, exec, s[6:7]
	s_cbranch_vccnz .LBB71_79
.LBB71_77:                              ;   in Loop: Header=BB71_70 Depth=1
	s_lshl_b32 s8, s23, 2
	s_add_i32 s8, s8, 0
	s_mov_b32 s9, s21
.LBB71_78:                              ;   Parent Loop BB71_70 Depth=1
                                        ; =>  This Inner Loop Header: Depth=2
	v_mov_b32_e32 v7, s8
	ds_read2_b32 v[8:9], v7 offset1:1
	s_add_i32 s8, s8, 8
	s_add_i32 s9, s9, -8
	s_cmp_lg_u32 s9, 0
	s_waitcnt lgkmcnt(0)
	v_cmp_gt_i32_e32 vcc, v6, v9
	v_addc_co_u32_e32 v3, vcc, 0, v3, vcc
	v_cmp_gt_i32_e32 vcc, v6, v8
	v_addc_co_u32_e32 v2, vcc, 0, v2, vcc
	s_cbranch_scc1 .LBB71_78
.LBB71_79:                              ;   in Loop: Header=BB71_70 Depth=1
	v_add_u32_e32 v2, v2, v3
	s_mov_b32 s23, s19
	s_mov_b64 s[8:9], s[14:15]
	s_and_b64 vcc, exec, s[8:9]
	s_cbranch_vccz .LBB71_69
.LBB71_80:                              ;   in Loop: Header=BB71_70 Depth=1
	s_lshl_b32 s8, s23, 2
	s_add_i32 s8, s8, 0
.LBB71_81:                              ;   Parent Loop BB71_70 Depth=1
                                        ; =>  This Inner Loop Header: Depth=2
	v_mov_b32_e32 v3, s8
	ds_read_b32 v3, v3
	s_add_i32 s23, s23, 1
	s_add_i32 s8, s8, 4
	s_cmp_ge_i32 s23, s18
	s_waitcnt lgkmcnt(0)
	v_cmp_gt_i32_e32 vcc, v6, v3
	v_addc_co_u32_e32 v2, vcc, 0, v2, vcc
	s_cbranch_scc0 .LBB71_81
	s_branch .LBB71_69
.LBB71_82:
	s_endpgm
	.section	.rodata,"a",@progbits
	.p2align	6, 0x0
	.amdhsa_kernel _ZN9rocsparseL26csrgemm_fill_block_per_rowILj256ELj32ELj512ELj137ELj32Eii21rocsparse_complex_numIdEEEvT5_PKS3_S5_NS_24const_host_device_scalarIT6_EEPKT4_S5_PKS7_SB_S5_SD_S8_SB_S5_SD_SB_PS3_PS7_21rocsparse_index_base_SG_SG_SG_bbb
		.amdhsa_group_segment_fixed_size 0
		.amdhsa_private_segment_fixed_size 40
		.amdhsa_kernarg_size 172
		.amdhsa_user_sgpr_count 8
		.amdhsa_user_sgpr_private_segment_buffer 1
		.amdhsa_user_sgpr_dispatch_ptr 0
		.amdhsa_user_sgpr_queue_ptr 0
		.amdhsa_user_sgpr_kernarg_segment_ptr 1
		.amdhsa_user_sgpr_dispatch_id 0
		.amdhsa_user_sgpr_flat_scratch_init 1
		.amdhsa_user_sgpr_kernarg_preload_length 0
		.amdhsa_user_sgpr_kernarg_preload_offset 0
		.amdhsa_user_sgpr_private_segment_size 0
		.amdhsa_uses_dynamic_stack 0
		.amdhsa_system_sgpr_private_segment_wavefront_offset 1
		.amdhsa_system_sgpr_workgroup_id_x 1
		.amdhsa_system_sgpr_workgroup_id_y 0
		.amdhsa_system_sgpr_workgroup_id_z 0
		.amdhsa_system_sgpr_workgroup_info 0
		.amdhsa_system_vgpr_workitem_id 0
		.amdhsa_next_free_vgpr 34
		.amdhsa_next_free_sgpr 58
		.amdhsa_accum_offset 36
		.amdhsa_reserve_vcc 1
		.amdhsa_reserve_flat_scratch 1
		.amdhsa_float_round_mode_32 0
		.amdhsa_float_round_mode_16_64 0
		.amdhsa_float_denorm_mode_32 3
		.amdhsa_float_denorm_mode_16_64 3
		.amdhsa_dx10_clamp 1
		.amdhsa_ieee_mode 1
		.amdhsa_fp16_overflow 0
		.amdhsa_tg_split 0
		.amdhsa_exception_fp_ieee_invalid_op 0
		.amdhsa_exception_fp_denorm_src 0
		.amdhsa_exception_fp_ieee_div_zero 0
		.amdhsa_exception_fp_ieee_overflow 0
		.amdhsa_exception_fp_ieee_underflow 0
		.amdhsa_exception_fp_ieee_inexact 0
		.amdhsa_exception_int_div_zero 0
	.end_amdhsa_kernel
	.section	.text._ZN9rocsparseL26csrgemm_fill_block_per_rowILj256ELj32ELj512ELj137ELj32Eii21rocsparse_complex_numIdEEEvT5_PKS3_S5_NS_24const_host_device_scalarIT6_EEPKT4_S5_PKS7_SB_S5_SD_S8_SB_S5_SD_SB_PS3_PS7_21rocsparse_index_base_SG_SG_SG_bbb,"axG",@progbits,_ZN9rocsparseL26csrgemm_fill_block_per_rowILj256ELj32ELj512ELj137ELj32Eii21rocsparse_complex_numIdEEEvT5_PKS3_S5_NS_24const_host_device_scalarIT6_EEPKT4_S5_PKS7_SB_S5_SD_S8_SB_S5_SD_SB_PS3_PS7_21rocsparse_index_base_SG_SG_SG_bbb,comdat
.Lfunc_end71:
	.size	_ZN9rocsparseL26csrgemm_fill_block_per_rowILj256ELj32ELj512ELj137ELj32Eii21rocsparse_complex_numIdEEEvT5_PKS3_S5_NS_24const_host_device_scalarIT6_EEPKT4_S5_PKS7_SB_S5_SD_S8_SB_S5_SD_SB_PS3_PS7_21rocsparse_index_base_SG_SG_SG_bbb, .Lfunc_end71-_ZN9rocsparseL26csrgemm_fill_block_per_rowILj256ELj32ELj512ELj137ELj32Eii21rocsparse_complex_numIdEEEvT5_PKS3_S5_NS_24const_host_device_scalarIT6_EEPKT4_S5_PKS7_SB_S5_SD_S8_SB_S5_SD_SB_PS3_PS7_21rocsparse_index_base_SG_SG_SG_bbb
                                        ; -- End function
	.section	.AMDGPU.csdata,"",@progbits
; Kernel info:
; codeLenInByte = 3316
; NumSgprs: 64
; NumVgprs: 34
; NumAgprs: 0
; TotalNumVgprs: 34
; ScratchSize: 40
; MemoryBound: 0
; FloatMode: 240
; IeeeMode: 1
; LDSByteSize: 0 bytes/workgroup (compile time only)
; SGPRBlocks: 7
; VGPRBlocks: 4
; NumSGPRsForWavesPerEU: 64
; NumVGPRsForWavesPerEU: 34
; AccumOffset: 36
; Occupancy: 8
; WaveLimiterHint : 1
; COMPUTE_PGM_RSRC2:SCRATCH_EN: 1
; COMPUTE_PGM_RSRC2:USER_SGPR: 8
; COMPUTE_PGM_RSRC2:TRAP_HANDLER: 0
; COMPUTE_PGM_RSRC2:TGID_X_EN: 1
; COMPUTE_PGM_RSRC2:TGID_Y_EN: 0
; COMPUTE_PGM_RSRC2:TGID_Z_EN: 0
; COMPUTE_PGM_RSRC2:TIDIG_COMP_CNT: 0
; COMPUTE_PGM_RSRC3_GFX90A:ACCUM_OFFSET: 8
; COMPUTE_PGM_RSRC3_GFX90A:TG_SPLIT: 0
	.section	.text._ZN9rocsparseL26csrgemm_fill_block_per_rowILj256ELj32ELj512ELj137ELj64Eii21rocsparse_complex_numIdEEEvT5_PKS3_S5_NS_24const_host_device_scalarIT6_EEPKT4_S5_PKS7_SB_S5_SD_S8_SB_S5_SD_SB_PS3_PS7_21rocsparse_index_base_SG_SG_SG_bbb,"axG",@progbits,_ZN9rocsparseL26csrgemm_fill_block_per_rowILj256ELj32ELj512ELj137ELj64Eii21rocsparse_complex_numIdEEEvT5_PKS3_S5_NS_24const_host_device_scalarIT6_EEPKT4_S5_PKS7_SB_S5_SD_S8_SB_S5_SD_SB_PS3_PS7_21rocsparse_index_base_SG_SG_SG_bbb,comdat
	.globl	_ZN9rocsparseL26csrgemm_fill_block_per_rowILj256ELj32ELj512ELj137ELj64Eii21rocsparse_complex_numIdEEEvT5_PKS3_S5_NS_24const_host_device_scalarIT6_EEPKT4_S5_PKS7_SB_S5_SD_S8_SB_S5_SD_SB_PS3_PS7_21rocsparse_index_base_SG_SG_SG_bbb ; -- Begin function _ZN9rocsparseL26csrgemm_fill_block_per_rowILj256ELj32ELj512ELj137ELj64Eii21rocsparse_complex_numIdEEEvT5_PKS3_S5_NS_24const_host_device_scalarIT6_EEPKT4_S5_PKS7_SB_S5_SD_S8_SB_S5_SD_SB_PS3_PS7_21rocsparse_index_base_SG_SG_SG_bbb
	.p2align	8
	.type	_ZN9rocsparseL26csrgemm_fill_block_per_rowILj256ELj32ELj512ELj137ELj64Eii21rocsparse_complex_numIdEEEvT5_PKS3_S5_NS_24const_host_device_scalarIT6_EEPKT4_S5_PKS7_SB_S5_SD_S8_SB_S5_SD_SB_PS3_PS7_21rocsparse_index_base_SG_SG_SG_bbb,@function
_ZN9rocsparseL26csrgemm_fill_block_per_rowILj256ELj32ELj512ELj137ELj64Eii21rocsparse_complex_numIdEEEvT5_PKS3_S5_NS_24const_host_device_scalarIT6_EEPKT4_S5_PKS7_SB_S5_SD_S8_SB_S5_SD_SB_PS3_PS7_21rocsparse_index_base_SG_SG_SG_bbb: ; @_ZN9rocsparseL26csrgemm_fill_block_per_rowILj256ELj32ELj512ELj137ELj64Eii21rocsparse_complex_numIdEEEvT5_PKS3_S5_NS_24const_host_device_scalarIT6_EEPKT4_S5_PKS7_SB_S5_SD_S8_SB_S5_SD_SB_PS3_PS7_21rocsparse_index_base_SG_SG_SG_bbb
; %bb.0:
	s_add_u32 flat_scratch_lo, s6, s9
	s_addc_u32 flat_scratch_hi, s7, 0
	s_add_u32 s0, s0, s9
	s_load_dword s9, s[4:5], 0xa8
	s_load_dwordx4 s[16:19], s[4:5], 0x18
	s_load_dwordx4 s[12:15], s[4:5], 0x58
	s_addc_u32 s1, s1, 0
	v_pk_mov_b32 v[2:3], 0, 0
	s_waitcnt lgkmcnt(0)
	s_bitcmp1_b32 s9, 0
	v_mov_b32_e32 v1, s17
	s_cselect_b64 s[50:51], -1, 0
	s_bitcmp1_b32 s9, 16
	buffer_store_dword v1, off, s[0:3], 0 offset:20
	v_mov_b32_e32 v1, s16
	s_cselect_b64 s[6:7], -1, 0
	buffer_store_dword v1, off, s[0:3], 0 offset:16
	v_mov_b32_e32 v1, s13
	buffer_store_dword v1, off, s[0:3], 0 offset:28
	v_mov_b32_e32 v1, s12
	s_xor_b64 s[10:11], s[6:7], -1
	buffer_store_dword v1, off, s[0:3], 0 offset:24
	v_cndmask_b32_e64 v1, 0, 1, s[10:11]
	s_bitcmp0_b32 s9, 0
	v_cmp_ne_u32_e64 s[10:11], 1, v1
	v_pk_mov_b32 v[6:7], v[2:3], v[2:3] op_sel:[0,1]
	v_pk_mov_b32 v[8:9], v[2:3], v[2:3] op_sel:[0,1]
	s_cbranch_scc1 .LBB72_3
; %bb.1:
	s_mov_b64 s[20:21], src_private_base
	s_and_b64 s[22:23], s[6:7], exec
	s_cselect_b32 s20, s21, s17
	v_mov_b32_e32 v1, 16
	v_mov_b32_e32 v4, s16
	v_cndmask_b32_e64 v4, v4, v1, s[6:7]
	v_mov_b32_e32 v5, s20
	flat_load_dwordx2 v[6:7], v[4:5]
	s_and_b64 vcc, exec, s[10:11]
	v_pk_mov_b32 v[8:9], s[18:19], s[18:19] op_sel:[0,1]
	s_cbranch_vccnz .LBB72_3
; %bb.2:
	v_pk_mov_b32 v[4:5], s[16:17], s[16:17] op_sel:[0,1]
	flat_load_dwordx2 v[8:9], v[4:5] offset:8
.LBB72_3:
	s_load_dwordx4 s[28:31], s[4:5], 0x98
	s_bitcmp1_b32 s9, 8
	s_cselect_b64 s[48:49], -1, 0
	s_bfe_u32 s9, s9, 0x10008
	s_cmp_eq_u32 s9, 0
	v_pk_mov_b32 v[4:5], v[2:3], v[2:3] op_sel:[0,1]
	s_cbranch_scc1 .LBB72_6
; %bb.4:
	s_mov_b64 s[16:17], src_private_base
	s_and_b64 s[18:19], s[6:7], exec
	s_cselect_b32 s9, s17, s13
	v_mov_b32_e32 v1, 24
	v_mov_b32_e32 v2, s12
	v_cndmask_b32_e64 v2, v2, v1, s[6:7]
	v_mov_b32_e32 v3, s9
	flat_load_dwordx2 v[4:5], v[2:3]
	s_and_b64 vcc, exec, s[10:11]
	v_pk_mov_b32 v[2:3], s[14:15], s[14:15] op_sel:[0,1]
	s_cbranch_vccnz .LBB72_6
; %bb.5:
	v_pk_mov_b32 v[2:3], s[12:13], s[12:13] op_sel:[0,1]
	flat_load_dwordx2 v[2:3], v[2:3] offset:8
.LBB72_6:
	s_load_dwordx4 s[36:39], s[4:5], 0x88
	s_load_dwordx8 s[12:19], s[4:5], 0x68
	s_load_dwordx4 s[40:43], s[4:5], 0x48
	s_load_dwordx8 s[20:27], s[4:5], 0x28
	s_load_dwordx4 s[44:47], s[4:5], 0x8
	s_load_dword s33, s[4:5], 0x0
	s_movk_i32 s4, 0x200
	v_cmp_gt_u32_e64 s[4:5], s4, v0
	v_lshl_add_u32 v23, v0, 4, 0
	v_lshl_add_u32 v1, v0, 2, 0
	s_and_saveexec_b64 s[6:7], s[4:5]
	s_cbranch_execz .LBB72_9
; %bb.7:
	s_mov_b32 s34, 0
	s_mov_b32 s35, s34
	;; [unrolled: 1-line block ×4, first 2 shown]
	v_add_u32_e32 v14, 0x800, v23
	v_or_b32_e32 v15, 0xffffff00, v0
	v_lshl_add_u32 v16, v0, 2, 0
	s_mov_b64 s[10:11], 0
	s_waitcnt lgkmcnt(0)
	v_mov_b32_e32 v17, s33
	v_pk_mov_b32 v[10:11], s[34:35], s[34:35] op_sel:[0,1]
	v_pk_mov_b32 v[12:13], s[52:53], s[52:53] op_sel:[0,1]
.LBB72_8:                               ; =>This Inner Loop Header: Depth=1
	v_add_co_u32_e32 v15, vcc, 0x100, v15
	s_xor_b64 s[34:35], vcc, -1
	s_and_b64 s[34:35], exec, s[34:35]
	ds_write_b32 v16, v17
	ds_write2_b64 v14, v[10:11], v[12:13] offset1:1
	v_add_u32_e32 v14, 0x1000, v14
	s_or_b64 s[10:11], s[34:35], s[10:11]
	v_add_u32_e32 v16, 0x400, v16
	s_andn2_b64 exec, exec, s[10:11]
	s_cbranch_execnz .LBB72_8
.LBB72_9:
	s_or_b64 exec, exec, s[6:7]
	s_waitcnt lgkmcnt(0)
	s_barrier
	s_load_dword s6, s[44:45], 0x0
	s_mov_b32 s7, 0
	s_waitcnt lgkmcnt(0)
	s_add_i32 s6, s6, s8
	s_lshl_b64 s[6:7], s[6:7], 2
	s_add_u32 s6, s46, s6
	s_addc_u32 s7, s47, s7
	s_load_dword s34, s[6:7], 0x0
	s_and_b64 vcc, exec, s[50:51]
	s_cbranch_vccz .LBB72_29
; %bb.10:
	s_waitcnt lgkmcnt(0)
	s_ashr_i32 s35, s34, 31
	s_lshl_b64 s[6:7], s[34:35], 2
	s_add_u32 s6, s20, s6
	s_addc_u32 s7, s21, s7
	s_load_dwordx2 s[6:7], s[6:7], 0x0
	v_lshrrev_b32_e32 v10, 5, v0
	v_subrev_u32_e32 v10, s28, v10
	s_waitcnt lgkmcnt(0)
	s_sub_i32 s35, s7, s28
	v_add_u32_e32 v10, s6, v10
	v_cmp_gt_i32_e32 vcc, s35, v10
	s_and_saveexec_b64 s[6:7], vcc
	s_cbranch_execz .LBB72_28
; %bb.11:
	v_and_b32_e32 v11, 31, v0
	v_subrev_u32_e32 v24, s29, v11
	s_mov_b64 s[8:9], 0
	v_mov_b32_e32 v25, s23
	v_mov_b32_e32 v26, s27
	s_movk_i32 s23, 0x89
	s_branch .LBB72_13
.LBB72_12:                              ;   in Loop: Header=BB72_13 Depth=1
	s_or_b64 exec, exec, s[10:11]
	v_add_u32_e32 v10, 8, v10
	v_cmp_le_i32_e32 vcc, s35, v10
	s_or_b64 s[8:9], vcc, s[8:9]
	s_andn2_b64 exec, exec, s[8:9]
	s_cbranch_execz .LBB72_28
.LBB72_13:                              ; =>This Loop Header: Depth=1
                                        ;     Child Loop BB72_16 Depth 2
                                        ;       Child Loop BB72_18 Depth 3
	v_ashrrev_i32_e32 v11, 31, v10
	v_lshlrev_b64 v[12:13], 2, v[10:11]
	v_add_co_u32_e32 v12, vcc, s22, v12
	v_addc_co_u32_e32 v13, vcc, v25, v13, vcc
	global_load_dword v12, v[12:13], off
	s_waitcnt vmcnt(0)
	v_subrev_u32_e32 v12, s28, v12
	v_ashrrev_i32_e32 v13, 31, v12
	v_lshlrev_b64 v[12:13], 2, v[12:13]
	v_add_co_u32_e32 v12, vcc, s26, v12
	v_addc_co_u32_e32 v13, vcc, v26, v13, vcc
	global_load_dwordx2 v[12:13], v[12:13], off
	s_waitcnt vmcnt(0)
	v_subrev_u32_e32 v27, s29, v13
	v_add_u32_e32 v12, v12, v24
	v_cmp_lt_i32_e32 vcc, v12, v27
	s_and_saveexec_b64 s[10:11], vcc
	s_cbranch_execz .LBB72_12
; %bb.14:                               ;   in Loop: Header=BB72_13 Depth=1
	v_lshlrev_b64 v[14:15], 4, v[10:11]
	v_mov_b32_e32 v11, s25
	v_add_co_u32_e32 v14, vcc, s24, v14
	v_addc_co_u32_e32 v15, vcc, v11, v15, vcc
	global_load_dwordx4 v[18:21], v[14:15], off
	s_mov_b64 s[20:21], 0
	s_waitcnt vmcnt(0)
	v_mul_f64 v[14:15], v[20:21], -v[8:9]
	v_mul_f64 v[16:17], v[6:7], v[20:21]
	v_fmac_f64_e32 v[14:15], v[6:7], v[18:19]
	v_fmac_f64_e32 v[16:17], v[8:9], v[18:19]
	s_branch .LBB72_16
.LBB72_15:                              ;   in Loop: Header=BB72_16 Depth=2
	s_or_b64 exec, exec, s[44:45]
	v_add_u32_e32 v12, 32, v12
	v_cmp_ge_i32_e32 vcc, v12, v27
	s_or_b64 s[20:21], vcc, s[20:21]
	s_andn2_b64 exec, exec, s[20:21]
	s_cbranch_execz .LBB72_12
.LBB72_16:                              ;   Parent Loop BB72_13 Depth=1
                                        ; =>  This Loop Header: Depth=2
                                        ;       Child Loop BB72_18 Depth 3
	v_ashrrev_i32_e32 v13, 31, v12
	v_lshlrev_b64 v[18:19], 2, v[12:13]
	v_mov_b32_e32 v11, s41
	v_add_co_u32_e32 v18, vcc, s40, v18
	v_addc_co_u32_e32 v19, vcc, v11, v19, vcc
	global_load_dword v11, v[18:19], off
	v_lshlrev_b64 v[18:19], 4, v[12:13]
	v_mov_b32_e32 v13, s43
	v_add_co_u32_e32 v18, vcc, s42, v18
	v_addc_co_u32_e32 v19, vcc, v13, v19, vcc
	global_load_dwordx4 v[28:31], v[18:19], off
	s_mov_b64 s[44:45], 0
	s_waitcnt vmcnt(1)
	v_subrev_u32_e32 v11, s29, v11
	v_mul_lo_u32 v13, v11, s23
	v_and_b32_e32 v13, 0x1ff, v13
	s_waitcnt vmcnt(0)
	v_mul_f64 v[18:19], v[30:31], -v[16:17]
	v_mul_f64 v[20:21], v[14:15], v[30:31]
	v_fmac_f64_e32 v[18:19], v[14:15], v[28:29]
	v_fmac_f64_e32 v[20:21], v[16:17], v[28:29]
	s_branch .LBB72_18
.LBB72_17:                              ;   in Loop: Header=BB72_18 Depth=3
	s_or_b64 exec, exec, s[46:47]
	s_xor_b64 s[46:47], s[50:51], -1
	s_and_b64 s[46:47], exec, s[46:47]
	s_or_b64 s[44:45], s[46:47], s[44:45]
	s_andn2_b64 exec, exec, s[44:45]
	s_cbranch_execz .LBB72_15
.LBB72_18:                              ;   Parent Loop BB72_13 Depth=1
                                        ;     Parent Loop BB72_16 Depth=2
                                        ; =>    This Inner Loop Header: Depth=3
	v_lshl_add_u32 v22, v13, 2, 0
	ds_read_b32 v28, v22
                                        ; implicit-def: $sgpr50_sgpr51
	s_waitcnt lgkmcnt(0)
	v_cmp_ne_u32_e32 vcc, v28, v11
	s_and_saveexec_b64 s[46:47], vcc
	s_xor_b64 s[46:47], exec, s[46:47]
	s_cbranch_execz .LBB72_26
; %bb.19:                               ;   in Loop: Header=BB72_18 Depth=3
	v_cmp_ne_u32_e32 vcc, s33, v28
                                        ; implicit-def: $sgpr50_sgpr51
	s_and_saveexec_b64 s[52:53], vcc
	s_xor_b64 s[52:53], exec, s[52:53]
; %bb.20:                               ;   in Loop: Header=BB72_18 Depth=3
	v_add_u32_e32 v13, 1, v13
	v_and_b32_e32 v13, 0x1ff, v13
	s_mov_b64 s[50:51], -1
                                        ; implicit-def: $vgpr22
; %bb.21:                               ;   in Loop: Header=BB72_18 Depth=3
	s_andn2_saveexec_b64 s[52:53], s[52:53]
	s_cbranch_execz .LBB72_25
; %bb.22:                               ;   in Loop: Header=BB72_18 Depth=3
	v_mov_b32_e32 v28, s33
	ds_cmpst_rtn_b32 v28, v22, v28, v11
	s_mov_b64 s[56:57], -1
	s_waitcnt lgkmcnt(0)
	v_cmp_eq_u32_e32 vcc, s33, v28
	s_and_saveexec_b64 s[54:55], vcc
	s_cbranch_execz .LBB72_24
; %bb.23:                               ;   in Loop: Header=BB72_18 Depth=3
	v_mad_u64_u32 v[28:29], s[56:57], v13, 12, v[22:23]
	ds_add_f64 v28, v[18:19] offset:2048
	ds_add_f64 v28, v[20:21] offset:2056
	s_xor_b64 s[56:57], exec, -1
.LBB72_24:                              ;   in Loop: Header=BB72_18 Depth=3
	s_or_b64 exec, exec, s[54:55]
	s_andn2_b64 s[50:51], s[50:51], exec
	s_and_b64 s[54:55], s[56:57], exec
	s_or_b64 s[50:51], s[50:51], s[54:55]
.LBB72_25:                              ;   in Loop: Header=BB72_18 Depth=3
	s_or_b64 exec, exec, s[52:53]
	s_and_b64 s[50:51], s[50:51], exec
                                        ; implicit-def: $vgpr22
.LBB72_26:                              ;   in Loop: Header=BB72_18 Depth=3
	s_andn2_saveexec_b64 s[46:47], s[46:47]
	s_cbranch_execz .LBB72_17
; %bb.27:                               ;   in Loop: Header=BB72_18 Depth=3
	v_mad_u64_u32 v[28:29], s[52:53], v13, 12, v[22:23]
	ds_add_f64 v28, v[18:19] offset:2048
	ds_add_f64 v28, v[20:21] offset:2056
	s_andn2_b64 s[50:51], s[50:51], exec
	s_branch .LBB72_17
.LBB72_28:
	s_or_b64 exec, exec, s[6:7]
.LBB72_29:
	s_andn2_b64 vcc, exec, s[48:49]
	s_cbranch_vccnz .LBB72_46
; %bb.30:
	s_waitcnt lgkmcnt(0)
	s_ashr_i32 s35, s34, 31
	s_lshl_b64 s[6:7], s[34:35], 2
	s_add_u32 s6, s12, s6
	s_addc_u32 s7, s13, s7
	s_load_dwordx2 s[6:7], s[6:7], 0x0
	s_waitcnt vmcnt(0)
	v_subrev_u32_e32 v6, s31, v0
	s_waitcnt lgkmcnt(0)
	s_sub_i32 s28, s7, s31
	v_add_u32_e32 v6, s6, v6
	v_cmp_gt_i32_e32 vcc, s28, v6
	s_and_saveexec_b64 s[6:7], vcc
	s_cbranch_execz .LBB72_45
; %bb.31:
	s_mov_b64 s[8:9], 0
	v_mov_b32_e32 v13, s15
	v_mov_b32_e32 v14, s17
	s_movk_i32 s15, 0x89
	s_branch .LBB72_33
.LBB72_32:                              ;   in Loop: Header=BB72_33 Depth=1
	s_or_b64 exec, exec, s[10:11]
	v_add_u32_e32 v6, 0x100, v6
	v_cmp_le_i32_e32 vcc, s28, v6
	s_or_b64 s[8:9], vcc, s[8:9]
	s_andn2_b64 exec, exec, s[8:9]
	s_cbranch_execz .LBB72_45
.LBB72_33:                              ; =>This Loop Header: Depth=1
                                        ;     Child Loop BB72_35 Depth 2
	v_ashrrev_i32_e32 v7, 31, v6
	v_lshlrev_b64 v[8:9], 2, v[6:7]
	v_add_co_u32_e32 v8, vcc, s14, v8
	v_addc_co_u32_e32 v9, vcc, v13, v9, vcc
	global_load_dword v10, v[8:9], off
	v_lshlrev_b64 v[8:9], 4, v[6:7]
	v_add_co_u32_e32 v8, vcc, s16, v8
	v_addc_co_u32_e32 v9, vcc, v14, v9, vcc
	global_load_dwordx4 v[16:19], v[8:9], off
	s_mov_b64 s[10:11], 0
	s_waitcnt vmcnt(1)
	v_subrev_u32_e32 v7, s31, v10
	v_mul_lo_u32 v12, v7, s15
	v_and_b32_e32 v15, 0x1ff, v12
	s_waitcnt vmcnt(0)
	v_mul_f64 v[8:9], v[18:19], -v[2:3]
	v_mul_f64 v[10:11], v[4:5], v[18:19]
	v_fmac_f64_e32 v[8:9], v[4:5], v[16:17]
	v_fmac_f64_e32 v[10:11], v[2:3], v[16:17]
	s_branch .LBB72_35
.LBB72_34:                              ;   in Loop: Header=BB72_35 Depth=2
	s_or_b64 exec, exec, s[12:13]
	s_xor_b64 s[12:13], s[20:21], -1
	s_and_b64 s[12:13], exec, s[12:13]
	s_or_b64 s[10:11], s[12:13], s[10:11]
	s_andn2_b64 exec, exec, s[10:11]
	s_cbranch_execz .LBB72_32
.LBB72_35:                              ;   Parent Loop BB72_33 Depth=1
                                        ; =>  This Inner Loop Header: Depth=2
	v_lshl_add_u32 v12, v15, 2, 0
	ds_read_b32 v16, v12
                                        ; implicit-def: $sgpr20_sgpr21
	s_waitcnt lgkmcnt(0)
	v_cmp_ne_u32_e32 vcc, v16, v7
	s_and_saveexec_b64 s[12:13], vcc
	s_xor_b64 s[12:13], exec, s[12:13]
	s_cbranch_execz .LBB72_43
; %bb.36:                               ;   in Loop: Header=BB72_35 Depth=2
	v_cmp_ne_u32_e32 vcc, s33, v16
                                        ; implicit-def: $sgpr20_sgpr21
	s_and_saveexec_b64 s[22:23], vcc
	s_xor_b64 s[22:23], exec, s[22:23]
; %bb.37:                               ;   in Loop: Header=BB72_35 Depth=2
	v_add_u32_e32 v12, 1, v15
	v_and_b32_e32 v15, 0x1ff, v12
	s_mov_b64 s[20:21], -1
                                        ; implicit-def: $vgpr12
; %bb.38:                               ;   in Loop: Header=BB72_35 Depth=2
	s_andn2_saveexec_b64 s[22:23], s[22:23]
	s_cbranch_execz .LBB72_42
; %bb.39:                               ;   in Loop: Header=BB72_35 Depth=2
	v_mov_b32_e32 v16, s33
	ds_cmpst_rtn_b32 v16, v12, v16, v7
	s_mov_b64 s[26:27], -1
	s_waitcnt lgkmcnt(0)
	v_cmp_eq_u32_e32 vcc, s33, v16
	s_and_saveexec_b64 s[24:25], vcc
	s_cbranch_execz .LBB72_41
; %bb.40:                               ;   in Loop: Header=BB72_35 Depth=2
	v_mad_u64_u32 v[16:17], s[26:27], v15, 12, v[12:13]
	ds_add_f64 v16, v[8:9] offset:2048
	ds_add_f64 v16, v[10:11] offset:2056
	s_xor_b64 s[26:27], exec, -1
.LBB72_41:                              ;   in Loop: Header=BB72_35 Depth=2
	s_or_b64 exec, exec, s[24:25]
	s_andn2_b64 s[20:21], s[20:21], exec
	s_and_b64 s[24:25], s[26:27], exec
	s_or_b64 s[20:21], s[20:21], s[24:25]
.LBB72_42:                              ;   in Loop: Header=BB72_35 Depth=2
	s_or_b64 exec, exec, s[22:23]
	s_and_b64 s[20:21], s[20:21], exec
                                        ; implicit-def: $vgpr12
.LBB72_43:                              ;   in Loop: Header=BB72_35 Depth=2
	s_andn2_saveexec_b64 s[12:13], s[12:13]
	s_cbranch_execz .LBB72_34
; %bb.44:                               ;   in Loop: Header=BB72_35 Depth=2
	v_mad_u64_u32 v[16:17], s[22:23], v15, 12, v[12:13]
	ds_add_f64 v16, v[8:9] offset:2048
	ds_add_f64 v16, v[10:11] offset:2056
	s_andn2_b64 s[20:21], s[20:21], exec
	s_branch .LBB72_34
.LBB72_45:
	s_or_b64 exec, exec, s[6:7]
.LBB72_46:
	s_waitcnt lgkmcnt(0)
	s_barrier
	s_and_saveexec_b64 s[12:13], s[4:5]
	s_cbranch_execz .LBB72_59
; %bb.47:
	s_waitcnt vmcnt(0)
	v_mbcnt_lo_u32_b32 v2, -1, 0
	v_mbcnt_hi_u32_b32 v2, -1, v2
	v_lshrrev_b32_e32 v5, 4, v0
	v_sub_u32_e32 v2, 63, v2
	v_and_b32_e32 v5, 12, v5
	s_movk_i32 s4, 0xff
	s_movk_i32 s8, 0x7f
	s_movk_i32 s10, 0xbf
	v_mov_b32_e32 v4, 0
	v_lshrrev_b64 v[2:3], v2, -1
	v_add_u32_e32 v5, 0, v5
	v_cmp_eq_u32_e64 s[4:5], s4, v0
	v_cmp_lt_u32_e64 s[6:7], 63, v0
	v_cmp_lt_u32_e64 s[8:9], s8, v0
	;; [unrolled: 1-line block ×3, first 2 shown]
	v_add_u32_e32 v6, 0x800, v23
	v_or_b32_e32 v7, 0xffffff00, v0
	s_mov_b64 s[14:15], 0
	v_mov_b32_e32 v8, 0
	s_branch .LBB72_49
.LBB72_48:                              ;   in Loop: Header=BB72_49 Depth=1
	s_or_b64 exec, exec, s[16:17]
	s_waitcnt lgkmcnt(0)
	s_barrier
	ds_read_b32 v9, v4 offset:10252
	v_add_co_u32_e32 v7, vcc, 0x100, v7
	s_xor_b64 s[16:17], vcc, -1
	s_and_b64 s[16:17], exec, s[16:17]
	v_add_u32_e32 v6, 0x1000, v6
	s_waitcnt lgkmcnt(0)
	v_add_u32_e32 v8, v9, v8
	s_or_b64 s[14:15], s[16:17], s[14:15]
	v_add_u32_e32 v1, 0x400, v1
	s_andn2_b64 exec, exec, s[14:15]
	s_cbranch_execz .LBB72_59
.LBB72_49:                              ; =>This Inner Loop Header: Depth=1
	ds_read2_b64 v[12:15], v6 offset1:1
	ds_read_b32 v10, v1
	s_waitcnt lgkmcnt(1)
	buffer_store_dword v15, off, s[0:3], 0 offset:12
	buffer_store_dword v14, off, s[0:3], 0 offset:8
	;; [unrolled: 1-line block ×3, first 2 shown]
	buffer_store_dword v12, off, s[0:3], 0
	s_waitcnt lgkmcnt(0)
	v_cmp_gt_i32_e32 vcc, s33, v10
	v_and_b32_e32 v11, vcc_lo, v2
	s_bcnt1_i32_b64 s16, vcc
	v_and_b32_e32 v9, vcc_hi, v3
	v_bcnt_u32_b32 v11, v11, 0
	v_bcnt_u32_b32 v9, v9, v11
	v_mov_b32_e32 v11, s16
	s_barrier
	ds_write_b32 v5, v11 offset:10240
	s_waitcnt lgkmcnt(0)
	s_barrier
	s_and_saveexec_b64 s[16:17], s[6:7]
	s_cbranch_execnz .LBB72_54
; %bb.50:                               ;   in Loop: Header=BB72_49 Depth=1
	s_or_b64 exec, exec, s[16:17]
	s_and_saveexec_b64 s[16:17], s[8:9]
	s_cbranch_execnz .LBB72_55
.LBB72_51:                              ;   in Loop: Header=BB72_49 Depth=1
	s_or_b64 exec, exec, s[16:17]
	s_and_saveexec_b64 s[16:17], s[10:11]
	s_cbranch_execnz .LBB72_56
.LBB72_52:                              ;   in Loop: Header=BB72_49 Depth=1
	s_or_b64 exec, exec, s[16:17]
	s_and_saveexec_b64 s[16:17], vcc
	s_cbranch_execnz .LBB72_57
.LBB72_53:                              ;   in Loop: Header=BB72_49 Depth=1
	s_or_b64 exec, exec, s[16:17]
	s_and_saveexec_b64 s[16:17], s[4:5]
	s_cbranch_execz .LBB72_48
	s_branch .LBB72_58
.LBB72_54:                              ;   in Loop: Header=BB72_49 Depth=1
	ds_read_b32 v11, v4 offset:10240
	s_waitcnt lgkmcnt(0)
	v_add_u32_e32 v9, v11, v9
	s_or_b64 exec, exec, s[16:17]
	s_and_saveexec_b64 s[16:17], s[8:9]
	s_cbranch_execz .LBB72_51
.LBB72_55:                              ;   in Loop: Header=BB72_49 Depth=1
	ds_read_b32 v11, v4 offset:10244
	s_waitcnt lgkmcnt(0)
	v_add_u32_e32 v9, v11, v9
	s_or_b64 exec, exec, s[16:17]
	s_and_saveexec_b64 s[16:17], s[10:11]
	s_cbranch_execz .LBB72_52
.LBB72_56:                              ;   in Loop: Header=BB72_49 Depth=1
	ds_read_b32 v11, v4 offset:10248
	s_waitcnt lgkmcnt(0)
	v_add_u32_e32 v9, v11, v9
	s_or_b64 exec, exec, s[16:17]
	s_and_saveexec_b64 s[16:17], vcc
	s_cbranch_execz .LBB72_53
.LBB72_57:                              ;   in Loop: Header=BB72_49 Depth=1
	buffer_load_dword v12, off, s[0:3], 0
	buffer_load_dword v13, off, s[0:3], 0 offset:4
	buffer_load_dword v14, off, s[0:3], 0 offset:8
	;; [unrolled: 1-line block ×3, first 2 shown]
	v_add3_u32 v11, v8, -1, v9
	v_lshl_add_u32 v16, v11, 2, 0
	v_lshl_add_u32 v11, v11, 4, 0
	v_add_u32_e32 v11, 0x800, v11
	ds_write_b32 v16, v10
	s_waitcnt vmcnt(0)
	ds_write2_b64 v11, v[12:13], v[14:15] offset1:1
	s_or_b64 exec, exec, s[16:17]
	s_and_saveexec_b64 s[16:17], s[4:5]
	s_cbranch_execz .LBB72_48
.LBB72_58:                              ;   in Loop: Header=BB72_49 Depth=1
	ds_write_b32 v4, v9 offset:10252
	s_branch .LBB72_48
.LBB72_59:
	s_or_b64 exec, exec, s[12:13]
	s_ashr_i32 s35, s34, 31
	s_lshl_b64 s[4:5], s[34:35], 2
	s_add_u32 s4, s18, s4
	s_addc_u32 s5, s19, s5
	s_load_dwordx2 s[4:5], s[4:5], 0x0
	s_waitcnt lgkmcnt(0)
	s_sub_i32 s18, s5, s4
	v_cmp_gt_i32_e32 vcc, s18, v0
	s_and_saveexec_b64 s[6:7], vcc
	s_cbranch_execz .LBB72_74
; %bb.60:
	s_sub_i32 s10, s4, s30
	s_add_i32 s4, s18, -2
	s_lshr_b32 s5, s4, 1
	s_add_i32 s6, s5, 1
	s_cmp_gt_u32 s18, 1
	s_cselect_b64 s[12:13], -1, 0
	s_and_b32 s19, s18, -2
	s_and_b32 s8, s6, 7
	s_cmp_gt_u32 s4, 13
	s_cselect_b64 s[4:5], -1, 0
	s_and_b32 s20, s6, -8
	s_cmp_lg_u32 s8, 0
	s_cselect_b64 s[6:7], -1, 0
	v_cndmask_b32_e64 v1, 0, 1, s[4:5]
	s_cmp_lg_u32 s18, s19
	v_cmp_ne_u32_e64 s[4:5], 1, v1
	v_cndmask_b32_e64 v1, 0, 1, s[6:7]
	s_mov_b32 s11, 0
	s_cselect_b64 s[14:15], -1, 0
	s_lshl_b32 s21, s8, 3
	s_mov_b64 s[16:17], 0
	v_cmp_ne_u32_e64 s[6:7], 1, v1
	s_movk_i32 s22, 0x800
	v_mov_b32_e32 v1, s37
	s_waitcnt vmcnt(0)
	v_mov_b32_e32 v4, s39
	s_branch .LBB72_62
.LBB72_61:                              ;   in Loop: Header=BB72_62 Depth=1
	v_mul_lo_u32 v3, v0, 12
	v_add3_u32 v5, v5, v3, s22
	v_ashrrev_i32_e32 v3, 31, v2
	s_waitcnt lgkmcnt(0)
	v_add_u32_e32 v8, s30, v6
	v_lshlrev_b64 v[6:7], 2, v[2:3]
	v_add_co_u32_e32 v6, vcc, s36, v6
	v_addc_co_u32_e32 v7, vcc, v1, v7, vcc
	global_store_dword v[6:7], v8, off
	v_lshlrev_b64 v[2:3], 4, v[2:3]
	ds_read2_b64 v[6:9], v5 offset1:1
	v_add_co_u32_e32 v2, vcc, s38, v2
	v_addc_co_u32_e32 v3, vcc, v4, v3, vcc
	v_add_u32_e32 v0, 0x100, v0
	v_cmp_le_i32_e32 vcc, s18, v0
	s_or_b64 s[16:17], vcc, s[16:17]
	s_waitcnt lgkmcnt(0)
	global_store_dwordx4 v[2:3], v[6:9], off
	s_andn2_b64 exec, exec, s[16:17]
	s_cbranch_execz .LBB72_74
.LBB72_62:                              ; =>This Loop Header: Depth=1
                                        ;     Child Loop BB72_65 Depth 2
                                        ;     Child Loop BB72_70 Depth 2
	;; [unrolled: 1-line block ×3, first 2 shown]
	v_lshl_add_u32 v5, v0, 2, 0
	ds_read_b32 v6, v5
	s_and_b64 vcc, exec, s[12:13]
	s_cbranch_vccz .LBB72_67
; %bb.63:                               ;   in Loop: Header=BB72_62 Depth=1
	s_and_b64 vcc, exec, s[4:5]
	s_cbranch_vccnz .LBB72_68
; %bb.64:                               ;   in Loop: Header=BB72_62 Depth=1
	s_mov_b32 s24, 0
	v_mov_b32_e32 v2, s10
	v_mov_b32_e32 v3, 0
	s_mov_b32 s25, s20
	s_mov_b32 s23, 0
.LBB72_65:                              ;   Parent Loop BB72_62 Depth=1
                                        ; =>  This Inner Loop Header: Depth=2
	v_mov_b32_e32 v7, s24
	ds_read2_b32 v[8:9], v7 offset1:1
	ds_read2_b32 v[10:11], v7 offset0:2 offset1:3
	ds_read2_b32 v[12:13], v7 offset0:4 offset1:5
	;; [unrolled: 1-line block ×7, first 2 shown]
	s_waitcnt lgkmcnt(7)
	v_cmp_gt_i32_e32 vcc, v6, v9
	s_waitcnt lgkmcnt(5)
	v_cmp_gt_i32_e64 s[8:9], v6, v12
	v_cndmask_b32_e64 v7, 0, 1, vcc
	v_cmp_gt_i32_e32 vcc, v6, v8
	v_cndmask_b32_e64 v9, 0, 1, s[8:9]
	v_cmp_gt_i32_e64 s[8:9], v6, v13
	v_cndmask_b32_e64 v8, 0, 1, vcc
	v_cmp_gt_i32_e32 vcc, v6, v11
	v_cndmask_b32_e64 v11, 0, 1, s[8:9]
	s_waitcnt lgkmcnt(3)
	v_cmp_gt_i32_e64 s[8:9], v6, v17
	v_cndmask_b32_e64 v12, 0, 1, s[8:9]
	v_cmp_gt_i32_e64 s[8:9], v6, v16
	v_cndmask_b32_e64 v13, 0, 1, s[8:9]
	s_waitcnt lgkmcnt(1)
	v_cmp_gt_i32_e64 s[8:9], v6, v20
	v_cndmask_b32_e64 v16, 0, 1, s[8:9]
	v_cmp_gt_i32_e64 s[8:9], v6, v21
	v_cndmask_b32_e64 v17, 0, 1, s[8:9]
	v_cmp_gt_i32_e64 s[8:9], v6, v10
	v_addc_co_u32_e64 v2, s[8:9], v2, v8, s[8:9]
	v_addc_co_u32_e32 v3, vcc, v3, v7, vcc
	v_cmp_gt_i32_e32 vcc, v6, v14
	v_cmp_gt_i32_e64 s[8:9], v6, v15
	v_addc_co_u32_e64 v3, s[8:9], v3, v11, s[8:9]
	v_addc_co_u32_e32 v2, vcc, v2, v9, vcc
	v_cmp_gt_i32_e32 vcc, v6, v19
	v_cmp_gt_i32_e64 s[8:9], v6, v18
	v_addc_co_u32_e64 v2, s[8:9], v2, v13, s[8:9]
	v_addc_co_u32_e32 v3, vcc, v3, v12, vcc
	s_add_i32 s23, s23, 16
	s_add_i32 s24, s24, 64
	s_add_i32 s25, s25, -8
	s_waitcnt lgkmcnt(0)
	v_cmp_gt_i32_e32 vcc, v6, v22
	v_cmp_gt_i32_e64 s[8:9], v6, v23
	s_cmp_lg_u32 s25, 0
	v_addc_co_u32_e64 v3, s[8:9], v3, v17, s[8:9]
	v_addc_co_u32_e32 v2, vcc, v2, v16, vcc
	s_cbranch_scc1 .LBB72_65
; %bb.66:                               ;   in Loop: Header=BB72_62 Depth=1
	s_and_b64 vcc, exec, s[6:7]
	s_cbranch_vccz .LBB72_69
	s_branch .LBB72_71
.LBB72_67:                              ;   in Loop: Header=BB72_62 Depth=1
	v_mov_b32_e32 v2, s10
	s_mov_b32 s23, 0
	s_cbranch_execz .LBB72_61
	s_branch .LBB72_72
.LBB72_68:                              ;   in Loop: Header=BB72_62 Depth=1
	v_pk_mov_b32 v[2:3], s[10:11], s[10:11] op_sel:[0,1]
	s_mov_b32 s23, 0
	s_and_b64 vcc, exec, s[6:7]
	s_cbranch_vccnz .LBB72_71
.LBB72_69:                              ;   in Loop: Header=BB72_62 Depth=1
	s_lshl_b32 s8, s23, 2
	s_add_i32 s8, s8, 0
	s_mov_b32 s9, s21
.LBB72_70:                              ;   Parent Loop BB72_62 Depth=1
                                        ; =>  This Inner Loop Header: Depth=2
	v_mov_b32_e32 v7, s8
	ds_read2_b32 v[8:9], v7 offset1:1
	s_add_i32 s8, s8, 8
	s_add_i32 s9, s9, -8
	s_cmp_lg_u32 s9, 0
	s_waitcnt lgkmcnt(0)
	v_cmp_gt_i32_e32 vcc, v6, v9
	v_addc_co_u32_e32 v3, vcc, 0, v3, vcc
	v_cmp_gt_i32_e32 vcc, v6, v8
	v_addc_co_u32_e32 v2, vcc, 0, v2, vcc
	s_cbranch_scc1 .LBB72_70
.LBB72_71:                              ;   in Loop: Header=BB72_62 Depth=1
	v_add_u32_e32 v2, v2, v3
	s_mov_b32 s23, s19
	s_mov_b64 s[8:9], s[14:15]
	s_and_b64 vcc, exec, s[8:9]
	s_cbranch_vccz .LBB72_61
.LBB72_72:                              ;   in Loop: Header=BB72_62 Depth=1
	s_lshl_b32 s8, s23, 2
	s_add_i32 s8, s8, 0
.LBB72_73:                              ;   Parent Loop BB72_62 Depth=1
                                        ; =>  This Inner Loop Header: Depth=2
	v_mov_b32_e32 v3, s8
	ds_read_b32 v3, v3
	s_add_i32 s23, s23, 1
	s_add_i32 s8, s8, 4
	s_cmp_ge_i32 s23, s18
	s_waitcnt lgkmcnt(0)
	v_cmp_gt_i32_e32 vcc, v6, v3
	v_addc_co_u32_e32 v2, vcc, 0, v2, vcc
	s_cbranch_scc0 .LBB72_73
	s_branch .LBB72_61
.LBB72_74:
	s_endpgm
	.section	.rodata,"a",@progbits
	.p2align	6, 0x0
	.amdhsa_kernel _ZN9rocsparseL26csrgemm_fill_block_per_rowILj256ELj32ELj512ELj137ELj64Eii21rocsparse_complex_numIdEEEvT5_PKS3_S5_NS_24const_host_device_scalarIT6_EEPKT4_S5_PKS7_SB_S5_SD_S8_SB_S5_SD_SB_PS3_PS7_21rocsparse_index_base_SG_SG_SG_bbb
		.amdhsa_group_segment_fixed_size 0
		.amdhsa_private_segment_fixed_size 40
		.amdhsa_kernarg_size 172
		.amdhsa_user_sgpr_count 8
		.amdhsa_user_sgpr_private_segment_buffer 1
		.amdhsa_user_sgpr_dispatch_ptr 0
		.amdhsa_user_sgpr_queue_ptr 0
		.amdhsa_user_sgpr_kernarg_segment_ptr 1
		.amdhsa_user_sgpr_dispatch_id 0
		.amdhsa_user_sgpr_flat_scratch_init 1
		.amdhsa_user_sgpr_kernarg_preload_length 0
		.amdhsa_user_sgpr_kernarg_preload_offset 0
		.amdhsa_user_sgpr_private_segment_size 0
		.amdhsa_uses_dynamic_stack 0
		.amdhsa_system_sgpr_private_segment_wavefront_offset 1
		.amdhsa_system_sgpr_workgroup_id_x 1
		.amdhsa_system_sgpr_workgroup_id_y 0
		.amdhsa_system_sgpr_workgroup_id_z 0
		.amdhsa_system_sgpr_workgroup_info 0
		.amdhsa_system_vgpr_workitem_id 0
		.amdhsa_next_free_vgpr 32
		.amdhsa_next_free_sgpr 58
		.amdhsa_accum_offset 32
		.amdhsa_reserve_vcc 1
		.amdhsa_reserve_flat_scratch 1
		.amdhsa_float_round_mode_32 0
		.amdhsa_float_round_mode_16_64 0
		.amdhsa_float_denorm_mode_32 3
		.amdhsa_float_denorm_mode_16_64 3
		.amdhsa_dx10_clamp 1
		.amdhsa_ieee_mode 1
		.amdhsa_fp16_overflow 0
		.amdhsa_tg_split 0
		.amdhsa_exception_fp_ieee_invalid_op 0
		.amdhsa_exception_fp_denorm_src 0
		.amdhsa_exception_fp_ieee_div_zero 0
		.amdhsa_exception_fp_ieee_overflow 0
		.amdhsa_exception_fp_ieee_underflow 0
		.amdhsa_exception_fp_ieee_inexact 0
		.amdhsa_exception_int_div_zero 0
	.end_amdhsa_kernel
	.section	.text._ZN9rocsparseL26csrgemm_fill_block_per_rowILj256ELj32ELj512ELj137ELj64Eii21rocsparse_complex_numIdEEEvT5_PKS3_S5_NS_24const_host_device_scalarIT6_EEPKT4_S5_PKS7_SB_S5_SD_S8_SB_S5_SD_SB_PS3_PS7_21rocsparse_index_base_SG_SG_SG_bbb,"axG",@progbits,_ZN9rocsparseL26csrgemm_fill_block_per_rowILj256ELj32ELj512ELj137ELj64Eii21rocsparse_complex_numIdEEEvT5_PKS3_S5_NS_24const_host_device_scalarIT6_EEPKT4_S5_PKS7_SB_S5_SD_S8_SB_S5_SD_SB_PS3_PS7_21rocsparse_index_base_SG_SG_SG_bbb,comdat
.Lfunc_end72:
	.size	_ZN9rocsparseL26csrgemm_fill_block_per_rowILj256ELj32ELj512ELj137ELj64Eii21rocsparse_complex_numIdEEEvT5_PKS3_S5_NS_24const_host_device_scalarIT6_EEPKT4_S5_PKS7_SB_S5_SD_S8_SB_S5_SD_SB_PS3_PS7_21rocsparse_index_base_SG_SG_SG_bbb, .Lfunc_end72-_ZN9rocsparseL26csrgemm_fill_block_per_rowILj256ELj32ELj512ELj137ELj64Eii21rocsparse_complex_numIdEEEvT5_PKS3_S5_NS_24const_host_device_scalarIT6_EEPKT4_S5_PKS7_SB_S5_SD_S8_SB_S5_SD_SB_PS3_PS7_21rocsparse_index_base_SG_SG_SG_bbb
                                        ; -- End function
	.section	.AMDGPU.csdata,"",@progbits
; Kernel info:
; codeLenInByte = 3116
; NumSgprs: 64
; NumVgprs: 32
; NumAgprs: 0
; TotalNumVgprs: 32
; ScratchSize: 40
; MemoryBound: 0
; FloatMode: 240
; IeeeMode: 1
; LDSByteSize: 0 bytes/workgroup (compile time only)
; SGPRBlocks: 7
; VGPRBlocks: 3
; NumSGPRsForWavesPerEU: 64
; NumVGPRsForWavesPerEU: 32
; AccumOffset: 32
; Occupancy: 8
; WaveLimiterHint : 1
; COMPUTE_PGM_RSRC2:SCRATCH_EN: 1
; COMPUTE_PGM_RSRC2:USER_SGPR: 8
; COMPUTE_PGM_RSRC2:TRAP_HANDLER: 0
; COMPUTE_PGM_RSRC2:TGID_X_EN: 1
; COMPUTE_PGM_RSRC2:TGID_Y_EN: 0
; COMPUTE_PGM_RSRC2:TGID_Z_EN: 0
; COMPUTE_PGM_RSRC2:TIDIG_COMP_CNT: 0
; COMPUTE_PGM_RSRC3_GFX90A:ACCUM_OFFSET: 7
; COMPUTE_PGM_RSRC3_GFX90A:TG_SPLIT: 0
	.section	.text._ZN9rocsparseL26csrgemm_fill_block_per_rowILj512ELj32ELj1024ELj137ELj32Eii21rocsparse_complex_numIdEEEvT5_PKS3_S5_NS_24const_host_device_scalarIT6_EEPKT4_S5_PKS7_SB_S5_SD_S8_SB_S5_SD_SB_PS3_PS7_21rocsparse_index_base_SG_SG_SG_bbb,"axG",@progbits,_ZN9rocsparseL26csrgemm_fill_block_per_rowILj512ELj32ELj1024ELj137ELj32Eii21rocsparse_complex_numIdEEEvT5_PKS3_S5_NS_24const_host_device_scalarIT6_EEPKT4_S5_PKS7_SB_S5_SD_S8_SB_S5_SD_SB_PS3_PS7_21rocsparse_index_base_SG_SG_SG_bbb,comdat
	.globl	_ZN9rocsparseL26csrgemm_fill_block_per_rowILj512ELj32ELj1024ELj137ELj32Eii21rocsparse_complex_numIdEEEvT5_PKS3_S5_NS_24const_host_device_scalarIT6_EEPKT4_S5_PKS7_SB_S5_SD_S8_SB_S5_SD_SB_PS3_PS7_21rocsparse_index_base_SG_SG_SG_bbb ; -- Begin function _ZN9rocsparseL26csrgemm_fill_block_per_rowILj512ELj32ELj1024ELj137ELj32Eii21rocsparse_complex_numIdEEEvT5_PKS3_S5_NS_24const_host_device_scalarIT6_EEPKT4_S5_PKS7_SB_S5_SD_S8_SB_S5_SD_SB_PS3_PS7_21rocsparse_index_base_SG_SG_SG_bbb
	.p2align	8
	.type	_ZN9rocsparseL26csrgemm_fill_block_per_rowILj512ELj32ELj1024ELj137ELj32Eii21rocsparse_complex_numIdEEEvT5_PKS3_S5_NS_24const_host_device_scalarIT6_EEPKT4_S5_PKS7_SB_S5_SD_S8_SB_S5_SD_SB_PS3_PS7_21rocsparse_index_base_SG_SG_SG_bbb,@function
_ZN9rocsparseL26csrgemm_fill_block_per_rowILj512ELj32ELj1024ELj137ELj32Eii21rocsparse_complex_numIdEEEvT5_PKS3_S5_NS_24const_host_device_scalarIT6_EEPKT4_S5_PKS7_SB_S5_SD_S8_SB_S5_SD_SB_PS3_PS7_21rocsparse_index_base_SG_SG_SG_bbb: ; @_ZN9rocsparseL26csrgemm_fill_block_per_rowILj512ELj32ELj1024ELj137ELj32Eii21rocsparse_complex_numIdEEEvT5_PKS3_S5_NS_24const_host_device_scalarIT6_EEPKT4_S5_PKS7_SB_S5_SD_S8_SB_S5_SD_SB_PS3_PS7_21rocsparse_index_base_SG_SG_SG_bbb
; %bb.0:
	s_add_u32 flat_scratch_lo, s6, s9
	s_addc_u32 flat_scratch_hi, s7, 0
	s_load_dwordx4 s[12:15], s[4:5], 0x18
	s_load_dwordx4 s[28:31], s[4:5], 0x58
	s_add_u32 s0, s0, s9
	s_load_dword s9, s[4:5], 0xa8
	s_load_dwordx4 s[44:47], s[4:5], 0x98
	s_addc_u32 s1, s1, 0
	s_waitcnt lgkmcnt(0)
	v_mov_b32_e32 v1, s13
	buffer_store_dword v1, off, s[0:3], 0 offset:20
	s_bitcmp1_b32 s9, 0
	s_cselect_b64 s[54:55], -1, 0
	s_bitcmp1_b32 s9, 16
	v_mov_b32_e32 v1, s12
	s_cselect_b64 s[6:7], -1, 0
	buffer_store_dword v1, off, s[0:3], 0 offset:16
	v_mov_b32_e32 v1, s29
	buffer_store_dword v1, off, s[0:3], 0 offset:28
	v_mov_b32_e32 v1, s28
	s_xor_b64 s[10:11], s[6:7], -1
	buffer_store_dword v1, off, s[0:3], 0 offset:24
	v_pk_mov_b32 v[2:3], 0, 0
	v_cndmask_b32_e64 v1, 0, 1, s[10:11]
	s_bitcmp0_b32 s9, 0
	v_cmp_ne_u32_e64 s[10:11], 1, v1
	v_pk_mov_b32 v[6:7], v[2:3], v[2:3] op_sel:[0,1]
	v_pk_mov_b32 v[8:9], v[2:3], v[2:3] op_sel:[0,1]
	s_cbranch_scc1 .LBB73_3
; %bb.1:
	s_mov_b64 s[16:17], src_private_base
	s_and_b64 s[18:19], s[6:7], exec
	s_cselect_b32 s16, s17, s13
	v_mov_b32_e32 v1, 16
	v_mov_b32_e32 v4, s12
	v_cndmask_b32_e64 v4, v4, v1, s[6:7]
	v_mov_b32_e32 v5, s16
	flat_load_dwordx2 v[6:7], v[4:5]
	s_and_b64 vcc, exec, s[10:11]
	v_pk_mov_b32 v[8:9], s[14:15], s[14:15] op_sel:[0,1]
	s_cbranch_vccnz .LBB73_3
; %bb.2:
	v_pk_mov_b32 v[4:5], s[12:13], s[12:13] op_sel:[0,1]
	flat_load_dwordx2 v[8:9], v[4:5] offset:8
.LBB73_3:
	s_load_dwordx4 s[48:51], s[4:5], 0x88
	s_load_dwordx8 s[36:43], s[4:5], 0x68
	s_load_dwordx4 s[20:23], s[4:5], 0x48
	s_load_dwordx4 s[24:27], s[4:5], 0x8
	s_load_dwordx8 s[12:19], s[4:5], 0x28
	s_bitcmp1_b32 s9, 8
	s_cselect_b64 s[34:35], -1, 0
	s_bfe_u32 s9, s9, 0x10008
	s_mov_b64 s[52:53], 0
	s_cmp_eq_u32 s9, 0
	v_pk_mov_b32 v[4:5], v[2:3], v[2:3] op_sel:[0,1]
	s_cbranch_scc1 .LBB73_6
; %bb.4:
	s_mov_b64 s[56:57], src_private_base
	s_and_b64 s[58:59], s[6:7], exec
	s_cselect_b32 s9, s57, s29
	v_mov_b32_e32 v1, 24
	v_mov_b32_e32 v2, s28
	v_cndmask_b32_e64 v2, v2, v1, s[6:7]
	v_mov_b32_e32 v3, s9
	flat_load_dwordx2 v[4:5], v[2:3]
	s_and_b64 vcc, exec, s[10:11]
	v_pk_mov_b32 v[2:3], s[30:31], s[30:31] op_sel:[0,1]
	s_cbranch_vccnz .LBB73_6
; %bb.5:
	v_pk_mov_b32 v[2:3], s[28:29], s[28:29] op_sel:[0,1]
	flat_load_dwordx2 v[2:3], v[2:3] offset:8
.LBB73_6:
	s_load_dword s33, s[4:5], 0x0
	s_mov_b32 s4, 0
	v_lshl_add_u32 v1, v0, 4, 0
	v_add_u32_e32 v1, 0x1000, v1
	v_or_b32_e32 v23, 0xfffffe00, v0
	v_lshl_add_u32 v24, v0, 2, 0
	s_mov_b32 s5, s4
	s_mov_b32 s6, s4
	;; [unrolled: 1-line block ×3, first 2 shown]
	s_waitcnt lgkmcnt(0)
	v_mov_b32_e32 v14, s33
	v_pk_mov_b32 v[10:11], s[4:5], s[4:5] op_sel:[0,1]
	v_pk_mov_b32 v[12:13], s[6:7], s[6:7] op_sel:[0,1]
	v_mov_b32_e32 v15, v24
	v_mov_b32_e32 v16, v23
	;; [unrolled: 1-line block ×3, first 2 shown]
.LBB73_7:                               ; =>This Inner Loop Header: Depth=1
	v_add_co_u32_e32 v16, vcc, 0x200, v16
	s_xor_b64 s[4:5], vcc, -1
	s_and_b64 s[4:5], exec, s[4:5]
	ds_write_b32 v15, v14
	ds_write2_b64 v17, v[10:11], v[12:13] offset1:1
	v_add_u32_e32 v17, 0x2000, v17
	s_or_b64 s[52:53], s[4:5], s[52:53]
	v_add_u32_e32 v15, 0x800, v15
	s_andn2_b64 exec, exec, s[52:53]
	s_cbranch_execnz .LBB73_7
; %bb.8:
	s_or_b64 exec, exec, s[52:53]
	s_waitcnt lgkmcnt(0)
	s_barrier
	s_load_dword s4, s[24:25], 0x0
	s_mov_b32 s5, 0
	v_lshrrev_b32_e32 v25, 5, v0
	s_waitcnt lgkmcnt(0)
	s_add_i32 s4, s4, s8
	s_lshl_b64 s[4:5], s[4:5], 2
	s_add_u32 s4, s26, s4
	s_addc_u32 s5, s27, s5
	s_load_dword s52, s[4:5], 0x0
	s_and_b64 vcc, exec, s[54:55]
	s_cbranch_vccz .LBB73_28
; %bb.9:
	s_waitcnt lgkmcnt(0)
	s_ashr_i32 s53, s52, 31
	s_lshl_b64 s[4:5], s[52:53], 2
	s_add_u32 s4, s12, s4
	s_addc_u32 s5, s13, s5
	s_load_dwordx2 s[4:5], s[4:5], 0x0
	v_subrev_u32_e32 v10, s44, v25
	s_waitcnt lgkmcnt(0)
	s_sub_i32 s53, s5, s44
	v_add_u32_e32 v10, s4, v10
	v_cmp_gt_i32_e32 vcc, s53, v10
	s_and_saveexec_b64 s[4:5], vcc
	s_cbranch_execz .LBB73_27
; %bb.10:
	v_and_b32_e32 v11, 31, v0
	v_subrev_u32_e32 v26, s45, v11
	s_mov_b64 s[6:7], 0
	v_mov_b32_e32 v27, s15
	v_mov_b32_e32 v28, s19
	s_movk_i32 s15, 0x89
	s_branch .LBB73_12
.LBB73_11:                              ;   in Loop: Header=BB73_12 Depth=1
	s_or_b64 exec, exec, s[8:9]
	v_add_u32_e32 v10, 16, v10
	v_cmp_le_i32_e32 vcc, s53, v10
	s_or_b64 s[6:7], vcc, s[6:7]
	s_andn2_b64 exec, exec, s[6:7]
	s_cbranch_execz .LBB73_27
.LBB73_12:                              ; =>This Loop Header: Depth=1
                                        ;     Child Loop BB73_15 Depth 2
                                        ;       Child Loop BB73_17 Depth 3
	v_ashrrev_i32_e32 v11, 31, v10
	v_lshlrev_b64 v[12:13], 2, v[10:11]
	v_add_co_u32_e32 v12, vcc, s14, v12
	v_addc_co_u32_e32 v13, vcc, v27, v13, vcc
	global_load_dword v12, v[12:13], off
	s_waitcnt vmcnt(0)
	v_subrev_u32_e32 v12, s44, v12
	v_ashrrev_i32_e32 v13, 31, v12
	v_lshlrev_b64 v[12:13], 2, v[12:13]
	v_add_co_u32_e32 v12, vcc, s18, v12
	v_addc_co_u32_e32 v13, vcc, v28, v13, vcc
	global_load_dwordx2 v[12:13], v[12:13], off
	s_waitcnt vmcnt(0)
	v_subrev_u32_e32 v29, s45, v13
	v_add_u32_e32 v12, v12, v26
	v_cmp_lt_i32_e32 vcc, v12, v29
	s_and_saveexec_b64 s[8:9], vcc
	s_cbranch_execz .LBB73_11
; %bb.13:                               ;   in Loop: Header=BB73_12 Depth=1
	v_lshlrev_b64 v[14:15], 4, v[10:11]
	v_mov_b32_e32 v11, s17
	v_add_co_u32_e32 v14, vcc, s16, v14
	v_addc_co_u32_e32 v15, vcc, v11, v15, vcc
	global_load_dwordx4 v[18:21], v[14:15], off
	s_mov_b64 s[10:11], 0
	s_waitcnt vmcnt(0)
	v_mul_f64 v[14:15], v[20:21], -v[8:9]
	v_mul_f64 v[16:17], v[6:7], v[20:21]
	v_fmac_f64_e32 v[14:15], v[6:7], v[18:19]
	v_fmac_f64_e32 v[16:17], v[8:9], v[18:19]
	s_branch .LBB73_15
.LBB73_14:                              ;   in Loop: Header=BB73_15 Depth=2
	s_or_b64 exec, exec, s[12:13]
	v_add_u32_e32 v12, 32, v12
	v_cmp_ge_i32_e32 vcc, v12, v29
	s_or_b64 s[10:11], vcc, s[10:11]
	s_andn2_b64 exec, exec, s[10:11]
	s_cbranch_execz .LBB73_11
.LBB73_15:                              ;   Parent Loop BB73_12 Depth=1
                                        ; =>  This Loop Header: Depth=2
                                        ;       Child Loop BB73_17 Depth 3
	v_ashrrev_i32_e32 v13, 31, v12
	v_lshlrev_b64 v[18:19], 2, v[12:13]
	v_mov_b32_e32 v11, s21
	v_add_co_u32_e32 v18, vcc, s20, v18
	v_addc_co_u32_e32 v19, vcc, v11, v19, vcc
	global_load_dword v11, v[18:19], off
	v_lshlrev_b64 v[18:19], 4, v[12:13]
	v_mov_b32_e32 v13, s23
	v_add_co_u32_e32 v18, vcc, s22, v18
	v_addc_co_u32_e32 v19, vcc, v13, v19, vcc
	global_load_dwordx4 v[30:33], v[18:19], off
	s_mov_b64 s[12:13], 0
	s_waitcnt vmcnt(1)
	v_subrev_u32_e32 v11, s45, v11
	v_mul_lo_u32 v13, v11, s15
	v_and_b32_e32 v13, 0x3ff, v13
	s_waitcnt vmcnt(0)
	v_mul_f64 v[18:19], v[32:33], -v[16:17]
	v_mul_f64 v[20:21], v[14:15], v[32:33]
	v_fmac_f64_e32 v[18:19], v[14:15], v[30:31]
	v_fmac_f64_e32 v[20:21], v[16:17], v[30:31]
	s_branch .LBB73_17
.LBB73_16:                              ;   in Loop: Header=BB73_17 Depth=3
	s_or_b64 exec, exec, s[24:25]
	s_xor_b64 s[24:25], s[26:27], -1
	s_and_b64 s[24:25], exec, s[24:25]
	s_or_b64 s[12:13], s[24:25], s[12:13]
	s_andn2_b64 exec, exec, s[12:13]
	s_cbranch_execz .LBB73_14
.LBB73_17:                              ;   Parent Loop BB73_12 Depth=1
                                        ;     Parent Loop BB73_15 Depth=2
                                        ; =>    This Inner Loop Header: Depth=3
	v_lshl_add_u32 v22, v13, 2, 0
	ds_read_b32 v30, v22
                                        ; implicit-def: $sgpr26_sgpr27
	s_waitcnt lgkmcnt(0)
	v_cmp_ne_u32_e32 vcc, v30, v11
	s_and_saveexec_b64 s[24:25], vcc
	s_xor_b64 s[24:25], exec, s[24:25]
	s_cbranch_execz .LBB73_25
; %bb.18:                               ;   in Loop: Header=BB73_17 Depth=3
	v_cmp_ne_u32_e32 vcc, s33, v30
                                        ; implicit-def: $sgpr26_sgpr27
	s_and_saveexec_b64 s[28:29], vcc
	s_xor_b64 s[28:29], exec, s[28:29]
; %bb.19:                               ;   in Loop: Header=BB73_17 Depth=3
	v_add_u32_e32 v13, 1, v13
	v_and_b32_e32 v13, 0x3ff, v13
	s_mov_b64 s[26:27], -1
                                        ; implicit-def: $vgpr22
; %bb.20:                               ;   in Loop: Header=BB73_17 Depth=3
	s_andn2_saveexec_b64 s[28:29], s[28:29]
	s_cbranch_execz .LBB73_24
; %bb.21:                               ;   in Loop: Header=BB73_17 Depth=3
	v_mov_b32_e32 v30, s33
	ds_cmpst_rtn_b32 v30, v22, v30, v11
	s_mov_b64 s[54:55], -1
	s_waitcnt lgkmcnt(0)
	v_cmp_eq_u32_e32 vcc, s33, v30
	s_and_saveexec_b64 s[30:31], vcc
	s_cbranch_execz .LBB73_23
; %bb.22:                               ;   in Loop: Header=BB73_17 Depth=3
	v_mad_u64_u32 v[30:31], s[54:55], v13, 12, v[22:23]
	ds_add_f64 v30, v[18:19] offset:4096
	ds_add_f64 v30, v[20:21] offset:4104
	s_xor_b64 s[54:55], exec, -1
.LBB73_23:                              ;   in Loop: Header=BB73_17 Depth=3
	s_or_b64 exec, exec, s[30:31]
	s_andn2_b64 s[26:27], s[26:27], exec
	s_and_b64 s[30:31], s[54:55], exec
	s_or_b64 s[26:27], s[26:27], s[30:31]
.LBB73_24:                              ;   in Loop: Header=BB73_17 Depth=3
	s_or_b64 exec, exec, s[28:29]
	s_and_b64 s[26:27], s[26:27], exec
                                        ; implicit-def: $vgpr22
.LBB73_25:                              ;   in Loop: Header=BB73_17 Depth=3
	s_andn2_saveexec_b64 s[24:25], s[24:25]
	s_cbranch_execz .LBB73_16
; %bb.26:                               ;   in Loop: Header=BB73_17 Depth=3
	v_mad_u64_u32 v[30:31], s[28:29], v13, 12, v[22:23]
	ds_add_f64 v30, v[18:19] offset:4096
	ds_add_f64 v30, v[20:21] offset:4104
	s_andn2_b64 s[26:27], s[26:27], exec
	s_branch .LBB73_16
.LBB73_27:
	s_or_b64 exec, exec, s[4:5]
.LBB73_28:
	s_andn2_b64 vcc, exec, s[34:35]
	s_cbranch_vccnz .LBB73_45
; %bb.29:
	s_waitcnt lgkmcnt(0)
	s_ashr_i32 s53, s52, 31
	s_lshl_b64 s[4:5], s[52:53], 2
	s_add_u32 s4, s36, s4
	s_addc_u32 s5, s37, s5
	s_load_dwordx2 s[4:5], s[4:5], 0x0
	s_waitcnt vmcnt(0)
	v_subrev_u32_e32 v6, s47, v0
	s_waitcnt lgkmcnt(0)
	s_sub_i32 s20, s5, s47
	v_add_u32_e32 v6, s4, v6
	v_cmp_gt_i32_e32 vcc, s20, v6
	s_and_saveexec_b64 s[4:5], vcc
	s_cbranch_execz .LBB73_44
; %bb.30:
	s_mov_b64 s[6:7], 0
	v_mov_b32_e32 v13, s39
	v_mov_b32_e32 v14, s41
	s_movk_i32 s21, 0x89
	s_branch .LBB73_32
.LBB73_31:                              ;   in Loop: Header=BB73_32 Depth=1
	s_or_b64 exec, exec, s[8:9]
	v_add_u32_e32 v6, 0x200, v6
	v_cmp_le_i32_e32 vcc, s20, v6
	s_or_b64 s[6:7], vcc, s[6:7]
	s_andn2_b64 exec, exec, s[6:7]
	s_cbranch_execz .LBB73_44
.LBB73_32:                              ; =>This Loop Header: Depth=1
                                        ;     Child Loop BB73_34 Depth 2
	v_ashrrev_i32_e32 v7, 31, v6
	v_lshlrev_b64 v[8:9], 2, v[6:7]
	v_add_co_u32_e32 v8, vcc, s38, v8
	v_addc_co_u32_e32 v9, vcc, v13, v9, vcc
	global_load_dword v10, v[8:9], off
	v_lshlrev_b64 v[8:9], 4, v[6:7]
	v_add_co_u32_e32 v8, vcc, s40, v8
	v_addc_co_u32_e32 v9, vcc, v14, v9, vcc
	global_load_dwordx4 v[16:19], v[8:9], off
	s_mov_b64 s[8:9], 0
	s_waitcnt vmcnt(1)
	v_subrev_u32_e32 v7, s47, v10
	v_mul_lo_u32 v12, v7, s21
	v_and_b32_e32 v15, 0x3ff, v12
	s_waitcnt vmcnt(0)
	v_mul_f64 v[8:9], v[18:19], -v[2:3]
	v_mul_f64 v[10:11], v[4:5], v[18:19]
	v_fmac_f64_e32 v[8:9], v[4:5], v[16:17]
	v_fmac_f64_e32 v[10:11], v[2:3], v[16:17]
	s_branch .LBB73_34
.LBB73_33:                              ;   in Loop: Header=BB73_34 Depth=2
	s_or_b64 exec, exec, s[10:11]
	s_xor_b64 s[10:11], s[12:13], -1
	s_and_b64 s[10:11], exec, s[10:11]
	s_or_b64 s[8:9], s[10:11], s[8:9]
	s_andn2_b64 exec, exec, s[8:9]
	s_cbranch_execz .LBB73_31
.LBB73_34:                              ;   Parent Loop BB73_32 Depth=1
                                        ; =>  This Inner Loop Header: Depth=2
	v_lshl_add_u32 v12, v15, 2, 0
	ds_read_b32 v16, v12
                                        ; implicit-def: $sgpr12_sgpr13
	s_waitcnt lgkmcnt(0)
	v_cmp_ne_u32_e32 vcc, v16, v7
	s_and_saveexec_b64 s[10:11], vcc
	s_xor_b64 s[10:11], exec, s[10:11]
	s_cbranch_execz .LBB73_42
; %bb.35:                               ;   in Loop: Header=BB73_34 Depth=2
	v_cmp_ne_u32_e32 vcc, s33, v16
                                        ; implicit-def: $sgpr12_sgpr13
	s_and_saveexec_b64 s[14:15], vcc
	s_xor_b64 s[14:15], exec, s[14:15]
; %bb.36:                               ;   in Loop: Header=BB73_34 Depth=2
	v_add_u32_e32 v12, 1, v15
	v_and_b32_e32 v15, 0x3ff, v12
	s_mov_b64 s[12:13], -1
                                        ; implicit-def: $vgpr12
; %bb.37:                               ;   in Loop: Header=BB73_34 Depth=2
	s_andn2_saveexec_b64 s[14:15], s[14:15]
	s_cbranch_execz .LBB73_41
; %bb.38:                               ;   in Loop: Header=BB73_34 Depth=2
	v_mov_b32_e32 v16, s33
	ds_cmpst_rtn_b32 v16, v12, v16, v7
	s_mov_b64 s[18:19], -1
	s_waitcnt lgkmcnt(0)
	v_cmp_eq_u32_e32 vcc, s33, v16
	s_and_saveexec_b64 s[16:17], vcc
	s_cbranch_execz .LBB73_40
; %bb.39:                               ;   in Loop: Header=BB73_34 Depth=2
	v_mad_u64_u32 v[16:17], s[18:19], v15, 12, v[12:13]
	ds_add_f64 v16, v[8:9] offset:4096
	ds_add_f64 v16, v[10:11] offset:4104
	s_xor_b64 s[18:19], exec, -1
.LBB73_40:                              ;   in Loop: Header=BB73_34 Depth=2
	s_or_b64 exec, exec, s[16:17]
	s_andn2_b64 s[12:13], s[12:13], exec
	s_and_b64 s[16:17], s[18:19], exec
	s_or_b64 s[12:13], s[12:13], s[16:17]
.LBB73_41:                              ;   in Loop: Header=BB73_34 Depth=2
	s_or_b64 exec, exec, s[14:15]
	s_and_b64 s[12:13], s[12:13], exec
                                        ; implicit-def: $vgpr12
.LBB73_42:                              ;   in Loop: Header=BB73_34 Depth=2
	s_andn2_saveexec_b64 s[10:11], s[10:11]
	s_cbranch_execz .LBB73_33
; %bb.43:                               ;   in Loop: Header=BB73_34 Depth=2
	v_mad_u64_u32 v[16:17], s[14:15], v15, 12, v[12:13]
	ds_add_f64 v16, v[8:9] offset:4096
	ds_add_f64 v16, v[10:11] offset:4104
	s_andn2_b64 s[12:13], s[12:13], exec
	s_branch .LBB73_33
.LBB73_44:
	s_or_b64 exec, exec, s[4:5]
.LBB73_45:
	s_waitcnt vmcnt(0)
	v_mbcnt_lo_u32_b32 v2, -1, 0
	v_mbcnt_hi_u32_b32 v2, -1, v2
	v_sub_u32_e32 v2, 63, v2
	s_movk_i32 s4, 0x1ff
	s_movk_i32 s10, 0x5f
	s_movk_i32 s12, 0x7f
	s_movk_i32 s14, 0x9f
	s_movk_i32 s16, 0xbf
	s_movk_i32 s18, 0xdf
	s_movk_i32 s20, 0xff
	s_movk_i32 s22, 0x11f
	s_movk_i32 s24, 0x13f
	s_movk_i32 s26, 0x15f
	s_movk_i32 s28, 0x17f
	s_movk_i32 s30, 0x19f
	s_movk_i32 s34, 0x1bf
	s_movk_i32 s36, 0x1df
	v_mov_b32_e32 v4, 0
	v_lshrrev_b64 v[2:3], v2, -1
	v_lshl_add_u32 v5, v25, 2, 0
	v_cmp_eq_u32_e64 s[4:5], s4, v0
	v_cmp_lt_u32_e64 s[6:7], 31, v0
	v_cmp_lt_u32_e64 s[8:9], 63, v0
	;; [unrolled: 1-line block ×15, first 2 shown]
	s_mov_b64 s[38:39], 0
	v_mov_b32_e32 v6, 0
	s_waitcnt lgkmcnt(0)
	s_barrier
	s_branch .LBB73_47
.LBB73_46:                              ;   in Loop: Header=BB73_47 Depth=1
	s_or_b64 exec, exec, s[40:41]
	s_waitcnt lgkmcnt(0)
	s_barrier
	ds_read_b32 v7, v4 offset:20540
	v_add_co_u32_e32 v23, vcc, 0x200, v23
	s_xor_b64 s[40:41], vcc, -1
	s_and_b64 s[40:41], exec, s[40:41]
	v_add_u32_e32 v1, 0x2000, v1
	s_waitcnt lgkmcnt(0)
	v_add_u32_e32 v6, v7, v6
	s_or_b64 s[38:39], s[40:41], s[38:39]
	v_add_u32_e32 v24, 0x800, v24
	s_andn2_b64 exec, exec, s[38:39]
	s_cbranch_execz .LBB73_81
.LBB73_47:                              ; =>This Inner Loop Header: Depth=1
	ds_read2_b64 v[10:13], v1 offset1:1
	ds_read_b32 v8, v24
	s_waitcnt lgkmcnt(1)
	buffer_store_dword v13, off, s[0:3], 0 offset:12
	buffer_store_dword v12, off, s[0:3], 0 offset:8
	;; [unrolled: 1-line block ×3, first 2 shown]
	buffer_store_dword v10, off, s[0:3], 0
	s_waitcnt lgkmcnt(0)
	v_cmp_gt_i32_e32 vcc, s33, v8
	v_and_b32_e32 v9, vcc_lo, v2
	s_bcnt1_i32_b64 s40, vcc
	v_and_b32_e32 v7, vcc_hi, v3
	v_bcnt_u32_b32 v9, v9, 0
	v_bcnt_u32_b32 v7, v7, v9
	v_mov_b32_e32 v9, s40
	s_barrier
	ds_write_b32 v5, v9 offset:20480
	s_waitcnt lgkmcnt(0)
	s_barrier
	s_and_saveexec_b64 s[40:41], s[6:7]
	s_cbranch_execnz .LBB73_64
; %bb.48:                               ;   in Loop: Header=BB73_47 Depth=1
	s_or_b64 exec, exec, s[40:41]
	s_and_saveexec_b64 s[40:41], s[8:9]
	s_cbranch_execnz .LBB73_65
.LBB73_49:                              ;   in Loop: Header=BB73_47 Depth=1
	s_or_b64 exec, exec, s[40:41]
	s_and_saveexec_b64 s[40:41], s[10:11]
	s_cbranch_execnz .LBB73_66
.LBB73_50:                              ;   in Loop: Header=BB73_47 Depth=1
	s_or_b64 exec, exec, s[40:41]
	s_and_saveexec_b64 s[40:41], s[12:13]
	s_cbranch_execnz .LBB73_67
.LBB73_51:                              ;   in Loop: Header=BB73_47 Depth=1
	s_or_b64 exec, exec, s[40:41]
	s_and_saveexec_b64 s[40:41], s[14:15]
	s_cbranch_execnz .LBB73_68
.LBB73_52:                              ;   in Loop: Header=BB73_47 Depth=1
	s_or_b64 exec, exec, s[40:41]
	s_and_saveexec_b64 s[40:41], s[16:17]
	s_cbranch_execnz .LBB73_69
.LBB73_53:                              ;   in Loop: Header=BB73_47 Depth=1
	s_or_b64 exec, exec, s[40:41]
	s_and_saveexec_b64 s[40:41], s[18:19]
	s_cbranch_execnz .LBB73_70
.LBB73_54:                              ;   in Loop: Header=BB73_47 Depth=1
	s_or_b64 exec, exec, s[40:41]
	s_and_saveexec_b64 s[40:41], s[20:21]
	s_cbranch_execnz .LBB73_71
.LBB73_55:                              ;   in Loop: Header=BB73_47 Depth=1
	s_or_b64 exec, exec, s[40:41]
	s_and_saveexec_b64 s[40:41], s[22:23]
	s_cbranch_execnz .LBB73_72
.LBB73_56:                              ;   in Loop: Header=BB73_47 Depth=1
	s_or_b64 exec, exec, s[40:41]
	s_and_saveexec_b64 s[40:41], s[24:25]
	s_cbranch_execnz .LBB73_73
.LBB73_57:                              ;   in Loop: Header=BB73_47 Depth=1
	s_or_b64 exec, exec, s[40:41]
	s_and_saveexec_b64 s[40:41], s[26:27]
	s_cbranch_execnz .LBB73_74
.LBB73_58:                              ;   in Loop: Header=BB73_47 Depth=1
	s_or_b64 exec, exec, s[40:41]
	s_and_saveexec_b64 s[40:41], s[28:29]
	s_cbranch_execnz .LBB73_75
.LBB73_59:                              ;   in Loop: Header=BB73_47 Depth=1
	s_or_b64 exec, exec, s[40:41]
	s_and_saveexec_b64 s[40:41], s[30:31]
	s_cbranch_execnz .LBB73_76
.LBB73_60:                              ;   in Loop: Header=BB73_47 Depth=1
	s_or_b64 exec, exec, s[40:41]
	s_and_saveexec_b64 s[40:41], s[34:35]
	s_cbranch_execnz .LBB73_77
.LBB73_61:                              ;   in Loop: Header=BB73_47 Depth=1
	s_or_b64 exec, exec, s[40:41]
	s_and_saveexec_b64 s[40:41], s[36:37]
	s_cbranch_execnz .LBB73_78
.LBB73_62:                              ;   in Loop: Header=BB73_47 Depth=1
	s_or_b64 exec, exec, s[40:41]
	s_and_saveexec_b64 s[40:41], vcc
	s_cbranch_execnz .LBB73_79
.LBB73_63:                              ;   in Loop: Header=BB73_47 Depth=1
	s_or_b64 exec, exec, s[40:41]
	s_and_saveexec_b64 s[40:41], s[4:5]
	s_cbranch_execz .LBB73_46
	s_branch .LBB73_80
.LBB73_64:                              ;   in Loop: Header=BB73_47 Depth=1
	ds_read_b32 v9, v4 offset:20480
	s_waitcnt lgkmcnt(0)
	v_add_u32_e32 v7, v9, v7
	s_or_b64 exec, exec, s[40:41]
	s_and_saveexec_b64 s[40:41], s[8:9]
	s_cbranch_execz .LBB73_49
.LBB73_65:                              ;   in Loop: Header=BB73_47 Depth=1
	ds_read_b32 v9, v4 offset:20484
	s_waitcnt lgkmcnt(0)
	v_add_u32_e32 v7, v9, v7
	s_or_b64 exec, exec, s[40:41]
	s_and_saveexec_b64 s[40:41], s[10:11]
	s_cbranch_execz .LBB73_50
.LBB73_66:                              ;   in Loop: Header=BB73_47 Depth=1
	ds_read_b32 v9, v4 offset:20488
	s_waitcnt lgkmcnt(0)
	v_add_u32_e32 v7, v9, v7
	s_or_b64 exec, exec, s[40:41]
	s_and_saveexec_b64 s[40:41], s[12:13]
	s_cbranch_execz .LBB73_51
.LBB73_67:                              ;   in Loop: Header=BB73_47 Depth=1
	ds_read_b32 v9, v4 offset:20492
	s_waitcnt lgkmcnt(0)
	v_add_u32_e32 v7, v9, v7
	s_or_b64 exec, exec, s[40:41]
	s_and_saveexec_b64 s[40:41], s[14:15]
	s_cbranch_execz .LBB73_52
.LBB73_68:                              ;   in Loop: Header=BB73_47 Depth=1
	ds_read_b32 v9, v4 offset:20496
	s_waitcnt lgkmcnt(0)
	v_add_u32_e32 v7, v9, v7
	s_or_b64 exec, exec, s[40:41]
	s_and_saveexec_b64 s[40:41], s[16:17]
	s_cbranch_execz .LBB73_53
.LBB73_69:                              ;   in Loop: Header=BB73_47 Depth=1
	ds_read_b32 v9, v4 offset:20500
	s_waitcnt lgkmcnt(0)
	v_add_u32_e32 v7, v9, v7
	s_or_b64 exec, exec, s[40:41]
	s_and_saveexec_b64 s[40:41], s[18:19]
	s_cbranch_execz .LBB73_54
.LBB73_70:                              ;   in Loop: Header=BB73_47 Depth=1
	ds_read_b32 v9, v4 offset:20504
	s_waitcnt lgkmcnt(0)
	v_add_u32_e32 v7, v9, v7
	s_or_b64 exec, exec, s[40:41]
	s_and_saveexec_b64 s[40:41], s[20:21]
	s_cbranch_execz .LBB73_55
.LBB73_71:                              ;   in Loop: Header=BB73_47 Depth=1
	ds_read_b32 v9, v4 offset:20508
	s_waitcnt lgkmcnt(0)
	v_add_u32_e32 v7, v9, v7
	s_or_b64 exec, exec, s[40:41]
	s_and_saveexec_b64 s[40:41], s[22:23]
	s_cbranch_execz .LBB73_56
.LBB73_72:                              ;   in Loop: Header=BB73_47 Depth=1
	ds_read_b32 v9, v4 offset:20512
	s_waitcnt lgkmcnt(0)
	v_add_u32_e32 v7, v9, v7
	s_or_b64 exec, exec, s[40:41]
	s_and_saveexec_b64 s[40:41], s[24:25]
	s_cbranch_execz .LBB73_57
.LBB73_73:                              ;   in Loop: Header=BB73_47 Depth=1
	ds_read_b32 v9, v4 offset:20516
	s_waitcnt lgkmcnt(0)
	v_add_u32_e32 v7, v9, v7
	s_or_b64 exec, exec, s[40:41]
	s_and_saveexec_b64 s[40:41], s[26:27]
	s_cbranch_execz .LBB73_58
.LBB73_74:                              ;   in Loop: Header=BB73_47 Depth=1
	ds_read_b32 v9, v4 offset:20520
	s_waitcnt lgkmcnt(0)
	v_add_u32_e32 v7, v9, v7
	s_or_b64 exec, exec, s[40:41]
	s_and_saveexec_b64 s[40:41], s[28:29]
	s_cbranch_execz .LBB73_59
.LBB73_75:                              ;   in Loop: Header=BB73_47 Depth=1
	ds_read_b32 v9, v4 offset:20524
	s_waitcnt lgkmcnt(0)
	v_add_u32_e32 v7, v9, v7
	s_or_b64 exec, exec, s[40:41]
	s_and_saveexec_b64 s[40:41], s[30:31]
	s_cbranch_execz .LBB73_60
.LBB73_76:                              ;   in Loop: Header=BB73_47 Depth=1
	ds_read_b32 v9, v4 offset:20528
	s_waitcnt lgkmcnt(0)
	v_add_u32_e32 v7, v9, v7
	s_or_b64 exec, exec, s[40:41]
	s_and_saveexec_b64 s[40:41], s[34:35]
	s_cbranch_execz .LBB73_61
.LBB73_77:                              ;   in Loop: Header=BB73_47 Depth=1
	ds_read_b32 v9, v4 offset:20532
	s_waitcnt lgkmcnt(0)
	v_add_u32_e32 v7, v9, v7
	s_or_b64 exec, exec, s[40:41]
	s_and_saveexec_b64 s[40:41], s[36:37]
	s_cbranch_execz .LBB73_62
.LBB73_78:                              ;   in Loop: Header=BB73_47 Depth=1
	ds_read_b32 v9, v4 offset:20536
	s_waitcnt lgkmcnt(0)
	v_add_u32_e32 v7, v9, v7
	s_or_b64 exec, exec, s[40:41]
	s_and_saveexec_b64 s[40:41], vcc
	s_cbranch_execz .LBB73_63
.LBB73_79:                              ;   in Loop: Header=BB73_47 Depth=1
	buffer_load_dword v10, off, s[0:3], 0
	buffer_load_dword v11, off, s[0:3], 0 offset:4
	buffer_load_dword v12, off, s[0:3], 0 offset:8
	buffer_load_dword v13, off, s[0:3], 0 offset:12
	v_add3_u32 v9, v6, -1, v7
	v_lshl_add_u32 v14, v9, 2, 0
	v_lshl_add_u32 v9, v9, 4, 0
	v_add_u32_e32 v9, 0x1000, v9
	ds_write_b32 v14, v8
	s_waitcnt vmcnt(0)
	ds_write2_b64 v9, v[10:11], v[12:13] offset1:1
	s_or_b64 exec, exec, s[40:41]
	s_and_saveexec_b64 s[40:41], s[4:5]
	s_cbranch_execz .LBB73_46
.LBB73_80:                              ;   in Loop: Header=BB73_47 Depth=1
	ds_write_b32 v4, v7 offset:20540
	s_branch .LBB73_46
.LBB73_81:
	s_or_b64 exec, exec, s[38:39]
	s_ashr_i32 s53, s52, 31
	s_lshl_b64 s[4:5], s[52:53], 2
	s_add_u32 s4, s42, s4
	s_addc_u32 s5, s43, s5
	s_load_dwordx2 s[4:5], s[4:5], 0x0
	s_waitcnt lgkmcnt(0)
	s_sub_i32 s18, s5, s4
	v_cmp_gt_i32_e32 vcc, s18, v0
	s_and_saveexec_b64 s[6:7], vcc
	s_cbranch_execz .LBB73_96
; %bb.82:
	s_sub_i32 s10, s4, s46
	s_add_i32 s4, s18, -2
	s_lshr_b32 s5, s4, 1
	s_add_i32 s6, s5, 1
	s_cmp_gt_u32 s18, 1
	s_cselect_b64 s[12:13], -1, 0
	s_and_b32 s19, s18, -2
	s_and_b32 s8, s6, 7
	s_cmp_gt_u32 s4, 13
	s_cselect_b64 s[4:5], -1, 0
	s_and_b32 s20, s6, -8
	s_cmp_lg_u32 s8, 0
	s_cselect_b64 s[6:7], -1, 0
	v_cndmask_b32_e64 v1, 0, 1, s[4:5]
	s_cmp_lg_u32 s18, s19
	v_cmp_ne_u32_e64 s[4:5], 1, v1
	v_cndmask_b32_e64 v1, 0, 1, s[6:7]
	s_mov_b32 s11, 0
	s_cselect_b64 s[14:15], -1, 0
	s_lshl_b32 s21, s8, 3
	s_mov_b64 s[16:17], 0
	v_cmp_ne_u32_e64 s[6:7], 1, v1
	s_movk_i32 s22, 0x1000
	v_mov_b32_e32 v1, s49
	v_mov_b32_e32 v4, s51
	s_branch .LBB73_84
.LBB73_83:                              ;   in Loop: Header=BB73_84 Depth=1
	v_mul_lo_u32 v3, v0, 12
	v_add3_u32 v5, v5, v3, s22
	v_ashrrev_i32_e32 v3, 31, v2
	s_waitcnt lgkmcnt(0)
	v_add_u32_e32 v8, s46, v6
	v_lshlrev_b64 v[6:7], 2, v[2:3]
	v_add_co_u32_e32 v6, vcc, s48, v6
	v_addc_co_u32_e32 v7, vcc, v1, v7, vcc
	global_store_dword v[6:7], v8, off
	v_lshlrev_b64 v[2:3], 4, v[2:3]
	ds_read2_b64 v[6:9], v5 offset1:1
	v_add_co_u32_e32 v2, vcc, s50, v2
	v_addc_co_u32_e32 v3, vcc, v4, v3, vcc
	v_add_u32_e32 v0, 0x200, v0
	v_cmp_le_i32_e32 vcc, s18, v0
	s_or_b64 s[16:17], vcc, s[16:17]
	s_waitcnt lgkmcnt(0)
	global_store_dwordx4 v[2:3], v[6:9], off
	s_andn2_b64 exec, exec, s[16:17]
	s_cbranch_execz .LBB73_96
.LBB73_84:                              ; =>This Loop Header: Depth=1
                                        ;     Child Loop BB73_87 Depth 2
                                        ;     Child Loop BB73_92 Depth 2
	;; [unrolled: 1-line block ×3, first 2 shown]
	v_lshl_add_u32 v5, v0, 2, 0
	ds_read_b32 v6, v5
	s_and_b64 vcc, exec, s[12:13]
	s_cbranch_vccz .LBB73_89
; %bb.85:                               ;   in Loop: Header=BB73_84 Depth=1
	s_and_b64 vcc, exec, s[4:5]
	s_cbranch_vccnz .LBB73_90
; %bb.86:                               ;   in Loop: Header=BB73_84 Depth=1
	s_mov_b32 s24, 0
	v_mov_b32_e32 v2, s10
	v_mov_b32_e32 v3, 0
	s_mov_b32 s25, s20
	s_mov_b32 s23, 0
.LBB73_87:                              ;   Parent Loop BB73_84 Depth=1
                                        ; =>  This Inner Loop Header: Depth=2
	v_mov_b32_e32 v7, s24
	ds_read2_b32 v[8:9], v7 offset1:1
	ds_read2_b32 v[10:11], v7 offset0:2 offset1:3
	ds_read2_b32 v[12:13], v7 offset0:4 offset1:5
	;; [unrolled: 1-line block ×7, first 2 shown]
	s_waitcnt lgkmcnt(7)
	v_cmp_gt_i32_e32 vcc, v6, v9
	s_waitcnt lgkmcnt(5)
	v_cmp_gt_i32_e64 s[8:9], v6, v12
	v_cndmask_b32_e64 v7, 0, 1, vcc
	v_cmp_gt_i32_e32 vcc, v6, v8
	v_cndmask_b32_e64 v9, 0, 1, s[8:9]
	v_cmp_gt_i32_e64 s[8:9], v6, v13
	v_cndmask_b32_e64 v8, 0, 1, vcc
	v_cmp_gt_i32_e32 vcc, v6, v11
	v_cndmask_b32_e64 v11, 0, 1, s[8:9]
	s_waitcnt lgkmcnt(3)
	v_cmp_gt_i32_e64 s[8:9], v6, v17
	v_cndmask_b32_e64 v12, 0, 1, s[8:9]
	v_cmp_gt_i32_e64 s[8:9], v6, v16
	v_cndmask_b32_e64 v13, 0, 1, s[8:9]
	s_waitcnt lgkmcnt(1)
	v_cmp_gt_i32_e64 s[8:9], v6, v20
	v_cndmask_b32_e64 v16, 0, 1, s[8:9]
	v_cmp_gt_i32_e64 s[8:9], v6, v21
	v_cndmask_b32_e64 v17, 0, 1, s[8:9]
	v_cmp_gt_i32_e64 s[8:9], v6, v10
	v_addc_co_u32_e64 v2, s[8:9], v2, v8, s[8:9]
	v_addc_co_u32_e32 v3, vcc, v3, v7, vcc
	v_cmp_gt_i32_e32 vcc, v6, v14
	v_cmp_gt_i32_e64 s[8:9], v6, v15
	v_addc_co_u32_e64 v3, s[8:9], v3, v11, s[8:9]
	v_addc_co_u32_e32 v2, vcc, v2, v9, vcc
	v_cmp_gt_i32_e32 vcc, v6, v19
	v_cmp_gt_i32_e64 s[8:9], v6, v18
	v_addc_co_u32_e64 v2, s[8:9], v2, v13, s[8:9]
	v_addc_co_u32_e32 v3, vcc, v3, v12, vcc
	s_add_i32 s23, s23, 16
	s_add_i32 s24, s24, 64
	s_add_i32 s25, s25, -8
	s_waitcnt lgkmcnt(0)
	v_cmp_gt_i32_e32 vcc, v6, v22
	v_cmp_gt_i32_e64 s[8:9], v6, v23
	s_cmp_lg_u32 s25, 0
	v_addc_co_u32_e64 v3, s[8:9], v3, v17, s[8:9]
	v_addc_co_u32_e32 v2, vcc, v2, v16, vcc
	s_cbranch_scc1 .LBB73_87
; %bb.88:                               ;   in Loop: Header=BB73_84 Depth=1
	s_and_b64 vcc, exec, s[6:7]
	s_cbranch_vccz .LBB73_91
	s_branch .LBB73_93
.LBB73_89:                              ;   in Loop: Header=BB73_84 Depth=1
	v_mov_b32_e32 v2, s10
	s_mov_b32 s23, 0
	s_cbranch_execz .LBB73_83
	s_branch .LBB73_94
.LBB73_90:                              ;   in Loop: Header=BB73_84 Depth=1
	v_pk_mov_b32 v[2:3], s[10:11], s[10:11] op_sel:[0,1]
	s_mov_b32 s23, 0
	s_and_b64 vcc, exec, s[6:7]
	s_cbranch_vccnz .LBB73_93
.LBB73_91:                              ;   in Loop: Header=BB73_84 Depth=1
	s_lshl_b32 s8, s23, 2
	s_add_i32 s8, s8, 0
	s_mov_b32 s9, s21
.LBB73_92:                              ;   Parent Loop BB73_84 Depth=1
                                        ; =>  This Inner Loop Header: Depth=2
	v_mov_b32_e32 v7, s8
	ds_read2_b32 v[8:9], v7 offset1:1
	s_add_i32 s8, s8, 8
	s_add_i32 s9, s9, -8
	s_cmp_lg_u32 s9, 0
	s_waitcnt lgkmcnt(0)
	v_cmp_gt_i32_e32 vcc, v6, v9
	v_addc_co_u32_e32 v3, vcc, 0, v3, vcc
	v_cmp_gt_i32_e32 vcc, v6, v8
	v_addc_co_u32_e32 v2, vcc, 0, v2, vcc
	s_cbranch_scc1 .LBB73_92
.LBB73_93:                              ;   in Loop: Header=BB73_84 Depth=1
	v_add_u32_e32 v2, v2, v3
	s_mov_b32 s23, s19
	s_mov_b64 s[8:9], s[14:15]
	s_and_b64 vcc, exec, s[8:9]
	s_cbranch_vccz .LBB73_83
.LBB73_94:                              ;   in Loop: Header=BB73_84 Depth=1
	s_lshl_b32 s8, s23, 2
	s_add_i32 s8, s8, 0
.LBB73_95:                              ;   Parent Loop BB73_84 Depth=1
                                        ; =>  This Inner Loop Header: Depth=2
	v_mov_b32_e32 v3, s8
	ds_read_b32 v3, v3
	s_add_i32 s23, s23, 1
	s_add_i32 s8, s8, 4
	s_cmp_ge_i32 s23, s18
	s_waitcnt lgkmcnt(0)
	v_cmp_gt_i32_e32 vcc, v6, v3
	v_addc_co_u32_e32 v2, vcc, 0, v2, vcc
	s_cbranch_scc0 .LBB73_95
	s_branch .LBB73_83
.LBB73_96:
	s_endpgm
	.section	.rodata,"a",@progbits
	.p2align	6, 0x0
	.amdhsa_kernel _ZN9rocsparseL26csrgemm_fill_block_per_rowILj512ELj32ELj1024ELj137ELj32Eii21rocsparse_complex_numIdEEEvT5_PKS3_S5_NS_24const_host_device_scalarIT6_EEPKT4_S5_PKS7_SB_S5_SD_S8_SB_S5_SD_SB_PS3_PS7_21rocsparse_index_base_SG_SG_SG_bbb
		.amdhsa_group_segment_fixed_size 0
		.amdhsa_private_segment_fixed_size 40
		.amdhsa_kernarg_size 172
		.amdhsa_user_sgpr_count 8
		.amdhsa_user_sgpr_private_segment_buffer 1
		.amdhsa_user_sgpr_dispatch_ptr 0
		.amdhsa_user_sgpr_queue_ptr 0
		.amdhsa_user_sgpr_kernarg_segment_ptr 1
		.amdhsa_user_sgpr_dispatch_id 0
		.amdhsa_user_sgpr_flat_scratch_init 1
		.amdhsa_user_sgpr_kernarg_preload_length 0
		.amdhsa_user_sgpr_kernarg_preload_offset 0
		.amdhsa_user_sgpr_private_segment_size 0
		.amdhsa_uses_dynamic_stack 0
		.amdhsa_system_sgpr_private_segment_wavefront_offset 1
		.amdhsa_system_sgpr_workgroup_id_x 1
		.amdhsa_system_sgpr_workgroup_id_y 0
		.amdhsa_system_sgpr_workgroup_id_z 0
		.amdhsa_system_sgpr_workgroup_info 0
		.amdhsa_system_vgpr_workitem_id 0
		.amdhsa_next_free_vgpr 34
		.amdhsa_next_free_sgpr 60
		.amdhsa_accum_offset 36
		.amdhsa_reserve_vcc 1
		.amdhsa_reserve_flat_scratch 1
		.amdhsa_float_round_mode_32 0
		.amdhsa_float_round_mode_16_64 0
		.amdhsa_float_denorm_mode_32 3
		.amdhsa_float_denorm_mode_16_64 3
		.amdhsa_dx10_clamp 1
		.amdhsa_ieee_mode 1
		.amdhsa_fp16_overflow 0
		.amdhsa_tg_split 0
		.amdhsa_exception_fp_ieee_invalid_op 0
		.amdhsa_exception_fp_denorm_src 0
		.amdhsa_exception_fp_ieee_div_zero 0
		.amdhsa_exception_fp_ieee_overflow 0
		.amdhsa_exception_fp_ieee_underflow 0
		.amdhsa_exception_fp_ieee_inexact 0
		.amdhsa_exception_int_div_zero 0
	.end_amdhsa_kernel
	.section	.text._ZN9rocsparseL26csrgemm_fill_block_per_rowILj512ELj32ELj1024ELj137ELj32Eii21rocsparse_complex_numIdEEEvT5_PKS3_S5_NS_24const_host_device_scalarIT6_EEPKT4_S5_PKS7_SB_S5_SD_S8_SB_S5_SD_SB_PS3_PS7_21rocsparse_index_base_SG_SG_SG_bbb,"axG",@progbits,_ZN9rocsparseL26csrgemm_fill_block_per_rowILj512ELj32ELj1024ELj137ELj32Eii21rocsparse_complex_numIdEEEvT5_PKS3_S5_NS_24const_host_device_scalarIT6_EEPKT4_S5_PKS7_SB_S5_SD_S8_SB_S5_SD_SB_PS3_PS7_21rocsparse_index_base_SG_SG_SG_bbb,comdat
.Lfunc_end73:
	.size	_ZN9rocsparseL26csrgemm_fill_block_per_rowILj512ELj32ELj1024ELj137ELj32Eii21rocsparse_complex_numIdEEEvT5_PKS3_S5_NS_24const_host_device_scalarIT6_EEPKT4_S5_PKS7_SB_S5_SD_S8_SB_S5_SD_SB_PS3_PS7_21rocsparse_index_base_SG_SG_SG_bbb, .Lfunc_end73-_ZN9rocsparseL26csrgemm_fill_block_per_rowILj512ELj32ELj1024ELj137ELj32Eii21rocsparse_complex_numIdEEEvT5_PKS3_S5_NS_24const_host_device_scalarIT6_EEPKT4_S5_PKS7_SB_S5_SD_S8_SB_S5_SD_SB_PS3_PS7_21rocsparse_index_base_SG_SG_SG_bbb
                                        ; -- End function
	.section	.AMDGPU.csdata,"",@progbits
; Kernel info:
; codeLenInByte = 3688
; NumSgprs: 66
; NumVgprs: 34
; NumAgprs: 0
; TotalNumVgprs: 34
; ScratchSize: 40
; MemoryBound: 0
; FloatMode: 240
; IeeeMode: 1
; LDSByteSize: 0 bytes/workgroup (compile time only)
; SGPRBlocks: 8
; VGPRBlocks: 4
; NumSGPRsForWavesPerEU: 66
; NumVGPRsForWavesPerEU: 34
; AccumOffset: 36
; Occupancy: 8
; WaveLimiterHint : 1
; COMPUTE_PGM_RSRC2:SCRATCH_EN: 1
; COMPUTE_PGM_RSRC2:USER_SGPR: 8
; COMPUTE_PGM_RSRC2:TRAP_HANDLER: 0
; COMPUTE_PGM_RSRC2:TGID_X_EN: 1
; COMPUTE_PGM_RSRC2:TGID_Y_EN: 0
; COMPUTE_PGM_RSRC2:TGID_Z_EN: 0
; COMPUTE_PGM_RSRC2:TIDIG_COMP_CNT: 0
; COMPUTE_PGM_RSRC3_GFX90A:ACCUM_OFFSET: 8
; COMPUTE_PGM_RSRC3_GFX90A:TG_SPLIT: 0
	.section	.text._ZN9rocsparseL26csrgemm_fill_block_per_rowILj512ELj32ELj1024ELj137ELj64Eii21rocsparse_complex_numIdEEEvT5_PKS3_S5_NS_24const_host_device_scalarIT6_EEPKT4_S5_PKS7_SB_S5_SD_S8_SB_S5_SD_SB_PS3_PS7_21rocsparse_index_base_SG_SG_SG_bbb,"axG",@progbits,_ZN9rocsparseL26csrgemm_fill_block_per_rowILj512ELj32ELj1024ELj137ELj64Eii21rocsparse_complex_numIdEEEvT5_PKS3_S5_NS_24const_host_device_scalarIT6_EEPKT4_S5_PKS7_SB_S5_SD_S8_SB_S5_SD_SB_PS3_PS7_21rocsparse_index_base_SG_SG_SG_bbb,comdat
	.globl	_ZN9rocsparseL26csrgemm_fill_block_per_rowILj512ELj32ELj1024ELj137ELj64Eii21rocsparse_complex_numIdEEEvT5_PKS3_S5_NS_24const_host_device_scalarIT6_EEPKT4_S5_PKS7_SB_S5_SD_S8_SB_S5_SD_SB_PS3_PS7_21rocsparse_index_base_SG_SG_SG_bbb ; -- Begin function _ZN9rocsparseL26csrgemm_fill_block_per_rowILj512ELj32ELj1024ELj137ELj64Eii21rocsparse_complex_numIdEEEvT5_PKS3_S5_NS_24const_host_device_scalarIT6_EEPKT4_S5_PKS7_SB_S5_SD_S8_SB_S5_SD_SB_PS3_PS7_21rocsparse_index_base_SG_SG_SG_bbb
	.p2align	8
	.type	_ZN9rocsparseL26csrgemm_fill_block_per_rowILj512ELj32ELj1024ELj137ELj64Eii21rocsparse_complex_numIdEEEvT5_PKS3_S5_NS_24const_host_device_scalarIT6_EEPKT4_S5_PKS7_SB_S5_SD_S8_SB_S5_SD_SB_PS3_PS7_21rocsparse_index_base_SG_SG_SG_bbb,@function
_ZN9rocsparseL26csrgemm_fill_block_per_rowILj512ELj32ELj1024ELj137ELj64Eii21rocsparse_complex_numIdEEEvT5_PKS3_S5_NS_24const_host_device_scalarIT6_EEPKT4_S5_PKS7_SB_S5_SD_S8_SB_S5_SD_SB_PS3_PS7_21rocsparse_index_base_SG_SG_SG_bbb: ; @_ZN9rocsparseL26csrgemm_fill_block_per_rowILj512ELj32ELj1024ELj137ELj64Eii21rocsparse_complex_numIdEEEvT5_PKS3_S5_NS_24const_host_device_scalarIT6_EEPKT4_S5_PKS7_SB_S5_SD_S8_SB_S5_SD_SB_PS3_PS7_21rocsparse_index_base_SG_SG_SG_bbb
; %bb.0:
	s_add_u32 flat_scratch_lo, s6, s9
	s_addc_u32 flat_scratch_hi, s7, 0
	s_load_dwordx4 s[12:15], s[4:5], 0x18
	s_load_dwordx4 s[48:51], s[4:5], 0x58
	s_add_u32 s0, s0, s9
	s_load_dword s9, s[4:5], 0xa8
	s_load_dwordx4 s[36:39], s[4:5], 0x98
	s_addc_u32 s1, s1, 0
	s_waitcnt lgkmcnt(0)
	v_mov_b32_e32 v1, s13
	buffer_store_dword v1, off, s[0:3], 0 offset:20
	s_bitcmp1_b32 s9, 0
	s_cselect_b64 s[54:55], -1, 0
	s_bitcmp1_b32 s9, 16
	v_mov_b32_e32 v1, s12
	s_cselect_b64 s[6:7], -1, 0
	buffer_store_dword v1, off, s[0:3], 0 offset:16
	v_mov_b32_e32 v1, s49
	buffer_store_dword v1, off, s[0:3], 0 offset:28
	v_mov_b32_e32 v1, s48
	s_xor_b64 s[10:11], s[6:7], -1
	buffer_store_dword v1, off, s[0:3], 0 offset:24
	v_pk_mov_b32 v[2:3], 0, 0
	v_cndmask_b32_e64 v1, 0, 1, s[10:11]
	s_bitcmp0_b32 s9, 0
	v_cmp_ne_u32_e64 s[10:11], 1, v1
	v_pk_mov_b32 v[6:7], v[2:3], v[2:3] op_sel:[0,1]
	v_pk_mov_b32 v[8:9], v[2:3], v[2:3] op_sel:[0,1]
	s_cbranch_scc1 .LBB74_3
; %bb.1:
	s_mov_b64 s[16:17], src_private_base
	s_and_b64 s[18:19], s[6:7], exec
	s_cselect_b32 s16, s17, s13
	v_mov_b32_e32 v1, 16
	v_mov_b32_e32 v4, s12
	v_cndmask_b32_e64 v4, v4, v1, s[6:7]
	v_mov_b32_e32 v5, s16
	flat_load_dwordx2 v[6:7], v[4:5]
	s_and_b64 vcc, exec, s[10:11]
	v_pk_mov_b32 v[8:9], s[14:15], s[14:15] op_sel:[0,1]
	s_cbranch_vccnz .LBB74_3
; %bb.2:
	v_pk_mov_b32 v[4:5], s[12:13], s[12:13] op_sel:[0,1]
	flat_load_dwordx2 v[8:9], v[4:5] offset:8
.LBB74_3:
	s_load_dwordx4 s[40:43], s[4:5], 0x88
	s_load_dwordx8 s[16:23], s[4:5], 0x68
	s_load_dwordx4 s[12:15], s[4:5], 0x48
	s_load_dwordx4 s[44:47], s[4:5], 0x8
	s_load_dwordx8 s[24:31], s[4:5], 0x28
	s_bitcmp1_b32 s9, 8
	s_cselect_b64 s[52:53], -1, 0
	s_bfe_u32 s9, s9, 0x10008
	s_mov_b64 s[34:35], 0
	s_cmp_eq_u32 s9, 0
	v_pk_mov_b32 v[4:5], v[2:3], v[2:3] op_sel:[0,1]
	s_cbranch_scc1 .LBB74_6
; %bb.4:
	s_mov_b64 s[56:57], src_private_base
	s_and_b64 s[58:59], s[6:7], exec
	s_cselect_b32 s9, s57, s49
	v_mov_b32_e32 v1, 24
	v_mov_b32_e32 v2, s48
	v_cndmask_b32_e64 v2, v2, v1, s[6:7]
	v_mov_b32_e32 v3, s9
	flat_load_dwordx2 v[4:5], v[2:3]
	s_and_b64 vcc, exec, s[10:11]
	v_pk_mov_b32 v[2:3], s[50:51], s[50:51] op_sel:[0,1]
	s_cbranch_vccnz .LBB74_6
; %bb.5:
	v_pk_mov_b32 v[2:3], s[48:49], s[48:49] op_sel:[0,1]
	flat_load_dwordx2 v[2:3], v[2:3] offset:8
.LBB74_6:
	s_load_dword s33, s[4:5], 0x0
	s_mov_b32 s4, 0
	v_lshl_add_u32 v1, v0, 4, 0
	v_add_u32_e32 v1, 0x1000, v1
	v_or_b32_e32 v23, 0xfffffe00, v0
	v_lshl_add_u32 v24, v0, 2, 0
	s_mov_b32 s5, s4
	s_mov_b32 s6, s4
	s_mov_b32 s7, s4
	s_waitcnt lgkmcnt(0)
	v_mov_b32_e32 v14, s33
	v_pk_mov_b32 v[10:11], s[4:5], s[4:5] op_sel:[0,1]
	v_pk_mov_b32 v[12:13], s[6:7], s[6:7] op_sel:[0,1]
	v_mov_b32_e32 v15, v24
	v_mov_b32_e32 v16, v23
	;; [unrolled: 1-line block ×3, first 2 shown]
.LBB74_7:                               ; =>This Inner Loop Header: Depth=1
	v_add_co_u32_e32 v16, vcc, 0x200, v16
	s_xor_b64 s[4:5], vcc, -1
	s_and_b64 s[4:5], exec, s[4:5]
	ds_write_b32 v15, v14
	ds_write2_b64 v17, v[10:11], v[12:13] offset1:1
	v_add_u32_e32 v17, 0x2000, v17
	s_or_b64 s[34:35], s[4:5], s[34:35]
	v_add_u32_e32 v15, 0x800, v15
	s_andn2_b64 exec, exec, s[34:35]
	s_cbranch_execnz .LBB74_7
; %bb.8:
	s_or_b64 exec, exec, s[34:35]
	s_waitcnt lgkmcnt(0)
	s_barrier
	s_load_dword s4, s[44:45], 0x0
	s_mov_b32 s5, 0
	s_waitcnt lgkmcnt(0)
	s_add_i32 s4, s4, s8
	s_lshl_b64 s[4:5], s[4:5], 2
	s_add_u32 s4, s46, s4
	s_addc_u32 s5, s47, s5
	s_load_dword s34, s[4:5], 0x0
	s_and_b64 vcc, exec, s[54:55]
	s_cbranch_vccz .LBB74_28
; %bb.9:
	s_waitcnt lgkmcnt(0)
	s_ashr_i32 s35, s34, 31
	s_lshl_b64 s[4:5], s[34:35], 2
	s_add_u32 s4, s24, s4
	s_addc_u32 s5, s25, s5
	s_load_dwordx2 s[4:5], s[4:5], 0x0
	v_lshrrev_b32_e32 v10, 5, v0
	v_subrev_u32_e32 v10, s36, v10
	s_waitcnt lgkmcnt(0)
	s_sub_i32 s35, s5, s36
	v_add_u32_e32 v10, s4, v10
	v_cmp_gt_i32_e32 vcc, s35, v10
	s_and_saveexec_b64 s[4:5], vcc
	s_cbranch_execz .LBB74_27
; %bb.10:
	v_and_b32_e32 v11, 31, v0
	v_subrev_u32_e32 v25, s37, v11
	s_mov_b64 s[6:7], 0
	v_mov_b32_e32 v26, s27
	v_mov_b32_e32 v27, s31
	s_movk_i32 s27, 0x89
	s_branch .LBB74_12
.LBB74_11:                              ;   in Loop: Header=BB74_12 Depth=1
	s_or_b64 exec, exec, s[8:9]
	v_add_u32_e32 v10, 16, v10
	v_cmp_le_i32_e32 vcc, s35, v10
	s_or_b64 s[6:7], vcc, s[6:7]
	s_andn2_b64 exec, exec, s[6:7]
	s_cbranch_execz .LBB74_27
.LBB74_12:                              ; =>This Loop Header: Depth=1
                                        ;     Child Loop BB74_15 Depth 2
                                        ;       Child Loop BB74_17 Depth 3
	v_ashrrev_i32_e32 v11, 31, v10
	v_lshlrev_b64 v[12:13], 2, v[10:11]
	v_add_co_u32_e32 v12, vcc, s26, v12
	v_addc_co_u32_e32 v13, vcc, v26, v13, vcc
	global_load_dword v12, v[12:13], off
	s_waitcnt vmcnt(0)
	v_subrev_u32_e32 v12, s36, v12
	v_ashrrev_i32_e32 v13, 31, v12
	v_lshlrev_b64 v[12:13], 2, v[12:13]
	v_add_co_u32_e32 v12, vcc, s30, v12
	v_addc_co_u32_e32 v13, vcc, v27, v13, vcc
	global_load_dwordx2 v[12:13], v[12:13], off
	s_waitcnt vmcnt(0)
	v_subrev_u32_e32 v28, s37, v13
	v_add_u32_e32 v12, v12, v25
	v_cmp_lt_i32_e32 vcc, v12, v28
	s_and_saveexec_b64 s[8:9], vcc
	s_cbranch_execz .LBB74_11
; %bb.13:                               ;   in Loop: Header=BB74_12 Depth=1
	v_lshlrev_b64 v[14:15], 4, v[10:11]
	v_mov_b32_e32 v11, s29
	v_add_co_u32_e32 v14, vcc, s28, v14
	v_addc_co_u32_e32 v15, vcc, v11, v15, vcc
	global_load_dwordx4 v[18:21], v[14:15], off
	s_mov_b64 s[10:11], 0
	s_waitcnt vmcnt(0)
	v_mul_f64 v[14:15], v[20:21], -v[8:9]
	v_mul_f64 v[16:17], v[6:7], v[20:21]
	v_fmac_f64_e32 v[14:15], v[6:7], v[18:19]
	v_fmac_f64_e32 v[16:17], v[8:9], v[18:19]
	s_branch .LBB74_15
.LBB74_14:                              ;   in Loop: Header=BB74_15 Depth=2
	s_or_b64 exec, exec, s[24:25]
	v_add_u32_e32 v12, 32, v12
	v_cmp_ge_i32_e32 vcc, v12, v28
	s_or_b64 s[10:11], vcc, s[10:11]
	s_andn2_b64 exec, exec, s[10:11]
	s_cbranch_execz .LBB74_11
.LBB74_15:                              ;   Parent Loop BB74_12 Depth=1
                                        ; =>  This Loop Header: Depth=2
                                        ;       Child Loop BB74_17 Depth 3
	v_ashrrev_i32_e32 v13, 31, v12
	v_lshlrev_b64 v[18:19], 2, v[12:13]
	v_mov_b32_e32 v11, s13
	v_add_co_u32_e32 v18, vcc, s12, v18
	v_addc_co_u32_e32 v19, vcc, v11, v19, vcc
	global_load_dword v11, v[18:19], off
	v_lshlrev_b64 v[18:19], 4, v[12:13]
	v_mov_b32_e32 v13, s15
	v_add_co_u32_e32 v18, vcc, s14, v18
	v_addc_co_u32_e32 v19, vcc, v13, v19, vcc
	global_load_dwordx4 v[30:33], v[18:19], off
	s_mov_b64 s[24:25], 0
	s_waitcnt vmcnt(1)
	v_subrev_u32_e32 v11, s37, v11
	v_mul_lo_u32 v13, v11, s27
	v_and_b32_e32 v13, 0x3ff, v13
	s_waitcnt vmcnt(0)
	v_mul_f64 v[18:19], v[32:33], -v[16:17]
	v_mul_f64 v[20:21], v[14:15], v[32:33]
	v_fmac_f64_e32 v[18:19], v[14:15], v[30:31]
	v_fmac_f64_e32 v[20:21], v[16:17], v[30:31]
	s_branch .LBB74_17
.LBB74_16:                              ;   in Loop: Header=BB74_17 Depth=3
	s_or_b64 exec, exec, s[44:45]
	s_xor_b64 s[44:45], s[46:47], -1
	s_and_b64 s[44:45], exec, s[44:45]
	s_or_b64 s[24:25], s[44:45], s[24:25]
	s_andn2_b64 exec, exec, s[24:25]
	s_cbranch_execz .LBB74_14
.LBB74_17:                              ;   Parent Loop BB74_12 Depth=1
                                        ;     Parent Loop BB74_15 Depth=2
                                        ; =>    This Inner Loop Header: Depth=3
	v_lshl_add_u32 v22, v13, 2, 0
	ds_read_b32 v29, v22
                                        ; implicit-def: $sgpr46_sgpr47
	s_waitcnt lgkmcnt(0)
	v_cmp_ne_u32_e32 vcc, v29, v11
	s_and_saveexec_b64 s[44:45], vcc
	s_xor_b64 s[44:45], exec, s[44:45]
	s_cbranch_execz .LBB74_25
; %bb.18:                               ;   in Loop: Header=BB74_17 Depth=3
	v_cmp_ne_u32_e32 vcc, s33, v29
                                        ; implicit-def: $sgpr46_sgpr47
	s_and_saveexec_b64 s[48:49], vcc
	s_xor_b64 s[48:49], exec, s[48:49]
; %bb.19:                               ;   in Loop: Header=BB74_17 Depth=3
	v_add_u32_e32 v13, 1, v13
	v_and_b32_e32 v13, 0x3ff, v13
	s_mov_b64 s[46:47], -1
                                        ; implicit-def: $vgpr22
; %bb.20:                               ;   in Loop: Header=BB74_17 Depth=3
	s_andn2_saveexec_b64 s[48:49], s[48:49]
	s_cbranch_execz .LBB74_24
; %bb.21:                               ;   in Loop: Header=BB74_17 Depth=3
	v_mov_b32_e32 v29, s33
	ds_cmpst_rtn_b32 v29, v22, v29, v11
	s_mov_b64 s[54:55], -1
	s_waitcnt lgkmcnt(0)
	v_cmp_eq_u32_e32 vcc, s33, v29
	s_and_saveexec_b64 s[50:51], vcc
	s_cbranch_execz .LBB74_23
; %bb.22:                               ;   in Loop: Header=BB74_17 Depth=3
	v_mad_u64_u32 v[30:31], s[54:55], v13, 12, v[22:23]
	ds_add_f64 v30, v[18:19] offset:4096
	ds_add_f64 v30, v[20:21] offset:4104
	s_xor_b64 s[54:55], exec, -1
.LBB74_23:                              ;   in Loop: Header=BB74_17 Depth=3
	s_or_b64 exec, exec, s[50:51]
	s_andn2_b64 s[46:47], s[46:47], exec
	s_and_b64 s[50:51], s[54:55], exec
	s_or_b64 s[46:47], s[46:47], s[50:51]
.LBB74_24:                              ;   in Loop: Header=BB74_17 Depth=3
	s_or_b64 exec, exec, s[48:49]
	s_and_b64 s[46:47], s[46:47], exec
                                        ; implicit-def: $vgpr22
.LBB74_25:                              ;   in Loop: Header=BB74_17 Depth=3
	s_andn2_saveexec_b64 s[44:45], s[44:45]
	s_cbranch_execz .LBB74_16
; %bb.26:                               ;   in Loop: Header=BB74_17 Depth=3
	v_mad_u64_u32 v[30:31], s[48:49], v13, 12, v[22:23]
	ds_add_f64 v30, v[18:19] offset:4096
	ds_add_f64 v30, v[20:21] offset:4104
	s_andn2_b64 s[46:47], s[46:47], exec
	s_branch .LBB74_16
.LBB74_27:
	s_or_b64 exec, exec, s[4:5]
.LBB74_28:
	s_andn2_b64 vcc, exec, s[52:53]
	s_cbranch_vccnz .LBB74_45
; %bb.29:
	s_waitcnt lgkmcnt(0)
	s_ashr_i32 s35, s34, 31
	s_lshl_b64 s[4:5], s[34:35], 2
	s_add_u32 s4, s16, s4
	s_addc_u32 s5, s17, s5
	s_load_dwordx2 s[4:5], s[4:5], 0x0
	s_waitcnt vmcnt(0)
	v_subrev_u32_e32 v6, s39, v0
	s_waitcnt lgkmcnt(0)
	s_sub_i32 s26, s5, s39
	v_add_u32_e32 v6, s4, v6
	v_cmp_gt_i32_e32 vcc, s26, v6
	s_and_saveexec_b64 s[4:5], vcc
	s_cbranch_execz .LBB74_44
; %bb.30:
	s_mov_b64 s[6:7], 0
	v_mov_b32_e32 v13, s19
	v_mov_b32_e32 v14, s21
	s_movk_i32 s19, 0x89
	s_branch .LBB74_32
.LBB74_31:                              ;   in Loop: Header=BB74_32 Depth=1
	s_or_b64 exec, exec, s[8:9]
	v_add_u32_e32 v6, 0x200, v6
	v_cmp_le_i32_e32 vcc, s26, v6
	s_or_b64 s[6:7], vcc, s[6:7]
	s_andn2_b64 exec, exec, s[6:7]
	s_cbranch_execz .LBB74_44
.LBB74_32:                              ; =>This Loop Header: Depth=1
                                        ;     Child Loop BB74_34 Depth 2
	v_ashrrev_i32_e32 v7, 31, v6
	v_lshlrev_b64 v[8:9], 2, v[6:7]
	v_add_co_u32_e32 v8, vcc, s18, v8
	v_addc_co_u32_e32 v9, vcc, v13, v9, vcc
	global_load_dword v10, v[8:9], off
	v_lshlrev_b64 v[8:9], 4, v[6:7]
	v_add_co_u32_e32 v8, vcc, s20, v8
	v_addc_co_u32_e32 v9, vcc, v14, v9, vcc
	global_load_dwordx4 v[16:19], v[8:9], off
	s_mov_b64 s[8:9], 0
	s_waitcnt vmcnt(1)
	v_subrev_u32_e32 v7, s39, v10
	v_mul_lo_u32 v12, v7, s19
	v_and_b32_e32 v15, 0x3ff, v12
	s_waitcnt vmcnt(0)
	v_mul_f64 v[8:9], v[18:19], -v[2:3]
	v_mul_f64 v[10:11], v[4:5], v[18:19]
	v_fmac_f64_e32 v[8:9], v[4:5], v[16:17]
	v_fmac_f64_e32 v[10:11], v[2:3], v[16:17]
	s_branch .LBB74_34
.LBB74_33:                              ;   in Loop: Header=BB74_34 Depth=2
	s_or_b64 exec, exec, s[10:11]
	s_xor_b64 s[10:11], s[12:13], -1
	s_and_b64 s[10:11], exec, s[10:11]
	s_or_b64 s[8:9], s[10:11], s[8:9]
	s_andn2_b64 exec, exec, s[8:9]
	s_cbranch_execz .LBB74_31
.LBB74_34:                              ;   Parent Loop BB74_32 Depth=1
                                        ; =>  This Inner Loop Header: Depth=2
	v_lshl_add_u32 v12, v15, 2, 0
	ds_read_b32 v16, v12
                                        ; implicit-def: $sgpr12_sgpr13
	s_waitcnt lgkmcnt(0)
	v_cmp_ne_u32_e32 vcc, v16, v7
	s_and_saveexec_b64 s[10:11], vcc
	s_xor_b64 s[10:11], exec, s[10:11]
	s_cbranch_execz .LBB74_42
; %bb.35:                               ;   in Loop: Header=BB74_34 Depth=2
	v_cmp_ne_u32_e32 vcc, s33, v16
                                        ; implicit-def: $sgpr12_sgpr13
	s_and_saveexec_b64 s[14:15], vcc
	s_xor_b64 s[14:15], exec, s[14:15]
; %bb.36:                               ;   in Loop: Header=BB74_34 Depth=2
	v_add_u32_e32 v12, 1, v15
	v_and_b32_e32 v15, 0x3ff, v12
	s_mov_b64 s[12:13], -1
                                        ; implicit-def: $vgpr12
; %bb.37:                               ;   in Loop: Header=BB74_34 Depth=2
	s_andn2_saveexec_b64 s[14:15], s[14:15]
	s_cbranch_execz .LBB74_41
; %bb.38:                               ;   in Loop: Header=BB74_34 Depth=2
	v_mov_b32_e32 v16, s33
	ds_cmpst_rtn_b32 v16, v12, v16, v7
	s_mov_b64 s[24:25], -1
	s_waitcnt lgkmcnt(0)
	v_cmp_eq_u32_e32 vcc, s33, v16
	s_and_saveexec_b64 s[16:17], vcc
	s_cbranch_execz .LBB74_40
; %bb.39:                               ;   in Loop: Header=BB74_34 Depth=2
	v_mad_u64_u32 v[16:17], s[24:25], v15, 12, v[12:13]
	ds_add_f64 v16, v[8:9] offset:4096
	ds_add_f64 v16, v[10:11] offset:4104
	s_xor_b64 s[24:25], exec, -1
.LBB74_40:                              ;   in Loop: Header=BB74_34 Depth=2
	s_or_b64 exec, exec, s[16:17]
	s_andn2_b64 s[12:13], s[12:13], exec
	s_and_b64 s[16:17], s[24:25], exec
	s_or_b64 s[12:13], s[12:13], s[16:17]
.LBB74_41:                              ;   in Loop: Header=BB74_34 Depth=2
	s_or_b64 exec, exec, s[14:15]
	s_and_b64 s[12:13], s[12:13], exec
                                        ; implicit-def: $vgpr12
.LBB74_42:                              ;   in Loop: Header=BB74_34 Depth=2
	s_andn2_saveexec_b64 s[10:11], s[10:11]
	s_cbranch_execz .LBB74_33
; %bb.43:                               ;   in Loop: Header=BB74_34 Depth=2
	v_mad_u64_u32 v[16:17], s[14:15], v15, 12, v[12:13]
	ds_add_f64 v16, v[8:9] offset:4096
	ds_add_f64 v16, v[10:11] offset:4104
	s_andn2_b64 s[12:13], s[12:13], exec
	s_branch .LBB74_33
.LBB74_44:
	s_or_b64 exec, exec, s[4:5]
.LBB74_45:
	s_waitcnt vmcnt(0)
	v_mbcnt_lo_u32_b32 v2, -1, 0
	v_mbcnt_hi_u32_b32 v2, -1, v2
	v_lshrrev_b32_e32 v5, 4, v0
	v_sub_u32_e32 v2, 63, v2
	v_and_b32_e32 v5, 28, v5
	s_movk_i32 s4, 0x1ff
	s_movk_i32 s8, 0x7f
	;; [unrolled: 1-line block ×7, first 2 shown]
	v_mov_b32_e32 v4, 0
	v_lshrrev_b64 v[2:3], v2, -1
	v_add_u32_e32 v5, 0, v5
	v_cmp_eq_u32_e64 s[4:5], s4, v0
	v_cmp_lt_u32_e64 s[6:7], 63, v0
	v_cmp_lt_u32_e64 s[8:9], s8, v0
	;; [unrolled: 1-line block ×7, first 2 shown]
	s_mov_b64 s[20:21], 0
	v_mov_b32_e32 v6, 0
	s_waitcnt lgkmcnt(0)
	s_barrier
	s_branch .LBB74_47
.LBB74_46:                              ;   in Loop: Header=BB74_47 Depth=1
	s_or_b64 exec, exec, s[24:25]
	s_waitcnt lgkmcnt(0)
	s_barrier
	ds_read_b32 v7, v4 offset:20508
	v_add_co_u32_e32 v23, vcc, 0x200, v23
	s_xor_b64 s[24:25], vcc, -1
	s_and_b64 s[24:25], exec, s[24:25]
	v_add_u32_e32 v1, 0x2000, v1
	s_waitcnt lgkmcnt(0)
	v_add_u32_e32 v6, v7, v6
	s_or_b64 s[20:21], s[24:25], s[20:21]
	v_add_u32_e32 v24, 0x800, v24
	s_andn2_b64 exec, exec, s[20:21]
	s_cbranch_execz .LBB74_65
.LBB74_47:                              ; =>This Inner Loop Header: Depth=1
	ds_read2_b64 v[10:13], v1 offset1:1
	ds_read_b32 v8, v24
	s_waitcnt lgkmcnt(1)
	buffer_store_dword v13, off, s[0:3], 0 offset:12
	buffer_store_dword v12, off, s[0:3], 0 offset:8
	;; [unrolled: 1-line block ×3, first 2 shown]
	buffer_store_dword v10, off, s[0:3], 0
	s_waitcnt lgkmcnt(0)
	v_cmp_gt_i32_e32 vcc, s33, v8
	v_and_b32_e32 v9, vcc_lo, v2
	s_bcnt1_i32_b64 s24, vcc
	v_and_b32_e32 v7, vcc_hi, v3
	v_bcnt_u32_b32 v9, v9, 0
	v_bcnt_u32_b32 v7, v7, v9
	v_mov_b32_e32 v9, s24
	s_barrier
	ds_write_b32 v5, v9 offset:20480
	s_waitcnt lgkmcnt(0)
	s_barrier
	s_and_saveexec_b64 s[24:25], s[6:7]
	s_cbranch_execnz .LBB74_56
; %bb.48:                               ;   in Loop: Header=BB74_47 Depth=1
	s_or_b64 exec, exec, s[24:25]
	s_and_saveexec_b64 s[24:25], s[8:9]
	s_cbranch_execnz .LBB74_57
.LBB74_49:                              ;   in Loop: Header=BB74_47 Depth=1
	s_or_b64 exec, exec, s[24:25]
	s_and_saveexec_b64 s[24:25], s[10:11]
	s_cbranch_execnz .LBB74_58
.LBB74_50:                              ;   in Loop: Header=BB74_47 Depth=1
	s_or_b64 exec, exec, s[24:25]
	s_and_saveexec_b64 s[24:25], s[12:13]
	s_cbranch_execnz .LBB74_59
.LBB74_51:                              ;   in Loop: Header=BB74_47 Depth=1
	s_or_b64 exec, exec, s[24:25]
	s_and_saveexec_b64 s[24:25], s[14:15]
	s_cbranch_execnz .LBB74_60
.LBB74_52:                              ;   in Loop: Header=BB74_47 Depth=1
	s_or_b64 exec, exec, s[24:25]
	s_and_saveexec_b64 s[24:25], s[16:17]
	s_cbranch_execnz .LBB74_61
.LBB74_53:                              ;   in Loop: Header=BB74_47 Depth=1
	s_or_b64 exec, exec, s[24:25]
	s_and_saveexec_b64 s[24:25], s[18:19]
	s_cbranch_execnz .LBB74_62
.LBB74_54:                              ;   in Loop: Header=BB74_47 Depth=1
	s_or_b64 exec, exec, s[24:25]
	s_and_saveexec_b64 s[24:25], vcc
	s_cbranch_execnz .LBB74_63
.LBB74_55:                              ;   in Loop: Header=BB74_47 Depth=1
	s_or_b64 exec, exec, s[24:25]
	s_and_saveexec_b64 s[24:25], s[4:5]
	s_cbranch_execz .LBB74_46
	s_branch .LBB74_64
.LBB74_56:                              ;   in Loop: Header=BB74_47 Depth=1
	ds_read_b32 v9, v4 offset:20480
	s_waitcnt lgkmcnt(0)
	v_add_u32_e32 v7, v9, v7
	s_or_b64 exec, exec, s[24:25]
	s_and_saveexec_b64 s[24:25], s[8:9]
	s_cbranch_execz .LBB74_49
.LBB74_57:                              ;   in Loop: Header=BB74_47 Depth=1
	ds_read_b32 v9, v4 offset:20484
	s_waitcnt lgkmcnt(0)
	v_add_u32_e32 v7, v9, v7
	s_or_b64 exec, exec, s[24:25]
	s_and_saveexec_b64 s[24:25], s[10:11]
	s_cbranch_execz .LBB74_50
.LBB74_58:                              ;   in Loop: Header=BB74_47 Depth=1
	ds_read_b32 v9, v4 offset:20488
	s_waitcnt lgkmcnt(0)
	v_add_u32_e32 v7, v9, v7
	s_or_b64 exec, exec, s[24:25]
	s_and_saveexec_b64 s[24:25], s[12:13]
	s_cbranch_execz .LBB74_51
.LBB74_59:                              ;   in Loop: Header=BB74_47 Depth=1
	ds_read_b32 v9, v4 offset:20492
	s_waitcnt lgkmcnt(0)
	v_add_u32_e32 v7, v9, v7
	s_or_b64 exec, exec, s[24:25]
	s_and_saveexec_b64 s[24:25], s[14:15]
	s_cbranch_execz .LBB74_52
.LBB74_60:                              ;   in Loop: Header=BB74_47 Depth=1
	ds_read_b32 v9, v4 offset:20496
	s_waitcnt lgkmcnt(0)
	v_add_u32_e32 v7, v9, v7
	s_or_b64 exec, exec, s[24:25]
	s_and_saveexec_b64 s[24:25], s[16:17]
	s_cbranch_execz .LBB74_53
.LBB74_61:                              ;   in Loop: Header=BB74_47 Depth=1
	ds_read_b32 v9, v4 offset:20500
	s_waitcnt lgkmcnt(0)
	v_add_u32_e32 v7, v9, v7
	s_or_b64 exec, exec, s[24:25]
	s_and_saveexec_b64 s[24:25], s[18:19]
	s_cbranch_execz .LBB74_54
.LBB74_62:                              ;   in Loop: Header=BB74_47 Depth=1
	ds_read_b32 v9, v4 offset:20504
	s_waitcnt lgkmcnt(0)
	v_add_u32_e32 v7, v9, v7
	s_or_b64 exec, exec, s[24:25]
	s_and_saveexec_b64 s[24:25], vcc
	s_cbranch_execz .LBB74_55
.LBB74_63:                              ;   in Loop: Header=BB74_47 Depth=1
	buffer_load_dword v10, off, s[0:3], 0
	buffer_load_dword v11, off, s[0:3], 0 offset:4
	buffer_load_dword v12, off, s[0:3], 0 offset:8
	;; [unrolled: 1-line block ×3, first 2 shown]
	v_add3_u32 v9, v6, -1, v7
	v_lshl_add_u32 v14, v9, 2, 0
	v_lshl_add_u32 v9, v9, 4, 0
	v_add_u32_e32 v9, 0x1000, v9
	ds_write_b32 v14, v8
	s_waitcnt vmcnt(0)
	ds_write2_b64 v9, v[10:11], v[12:13] offset1:1
	s_or_b64 exec, exec, s[24:25]
	s_and_saveexec_b64 s[24:25], s[4:5]
	s_cbranch_execz .LBB74_46
.LBB74_64:                              ;   in Loop: Header=BB74_47 Depth=1
	ds_write_b32 v4, v7 offset:20508
	s_branch .LBB74_46
.LBB74_65:
	s_or_b64 exec, exec, s[20:21]
	s_ashr_i32 s35, s34, 31
	s_lshl_b64 s[4:5], s[34:35], 2
	s_add_u32 s4, s22, s4
	s_addc_u32 s5, s23, s5
	s_load_dwordx2 s[4:5], s[4:5], 0x0
	s_waitcnt lgkmcnt(0)
	s_sub_i32 s18, s5, s4
	v_cmp_gt_i32_e32 vcc, s18, v0
	s_and_saveexec_b64 s[6:7], vcc
	s_cbranch_execz .LBB74_80
; %bb.66:
	s_sub_i32 s10, s4, s38
	s_add_i32 s4, s18, -2
	s_lshr_b32 s5, s4, 1
	s_add_i32 s6, s5, 1
	s_cmp_gt_u32 s18, 1
	s_cselect_b64 s[12:13], -1, 0
	s_and_b32 s19, s18, -2
	s_and_b32 s8, s6, 7
	s_cmp_gt_u32 s4, 13
	s_cselect_b64 s[4:5], -1, 0
	s_and_b32 s20, s6, -8
	s_cmp_lg_u32 s8, 0
	s_cselect_b64 s[6:7], -1, 0
	v_cndmask_b32_e64 v1, 0, 1, s[4:5]
	s_cmp_lg_u32 s18, s19
	v_cmp_ne_u32_e64 s[4:5], 1, v1
	v_cndmask_b32_e64 v1, 0, 1, s[6:7]
	s_mov_b32 s11, 0
	s_cselect_b64 s[14:15], -1, 0
	s_lshl_b32 s21, s8, 3
	s_mov_b64 s[16:17], 0
	v_cmp_ne_u32_e64 s[6:7], 1, v1
	s_movk_i32 s22, 0x1000
	v_mov_b32_e32 v1, s41
	v_mov_b32_e32 v4, s43
	s_branch .LBB74_68
.LBB74_67:                              ;   in Loop: Header=BB74_68 Depth=1
	v_mul_lo_u32 v3, v0, 12
	v_add3_u32 v5, v5, v3, s22
	v_ashrrev_i32_e32 v3, 31, v2
	s_waitcnt lgkmcnt(0)
	v_add_u32_e32 v8, s38, v6
	v_lshlrev_b64 v[6:7], 2, v[2:3]
	v_add_co_u32_e32 v6, vcc, s40, v6
	v_addc_co_u32_e32 v7, vcc, v1, v7, vcc
	global_store_dword v[6:7], v8, off
	v_lshlrev_b64 v[2:3], 4, v[2:3]
	ds_read2_b64 v[6:9], v5 offset1:1
	v_add_co_u32_e32 v2, vcc, s42, v2
	v_addc_co_u32_e32 v3, vcc, v4, v3, vcc
	v_add_u32_e32 v0, 0x200, v0
	v_cmp_le_i32_e32 vcc, s18, v0
	s_or_b64 s[16:17], vcc, s[16:17]
	s_waitcnt lgkmcnt(0)
	global_store_dwordx4 v[2:3], v[6:9], off
	s_andn2_b64 exec, exec, s[16:17]
	s_cbranch_execz .LBB74_80
.LBB74_68:                              ; =>This Loop Header: Depth=1
                                        ;     Child Loop BB74_71 Depth 2
                                        ;     Child Loop BB74_76 Depth 2
	;; [unrolled: 1-line block ×3, first 2 shown]
	v_lshl_add_u32 v5, v0, 2, 0
	ds_read_b32 v6, v5
	s_and_b64 vcc, exec, s[12:13]
	s_cbranch_vccz .LBB74_73
; %bb.69:                               ;   in Loop: Header=BB74_68 Depth=1
	s_and_b64 vcc, exec, s[4:5]
	s_cbranch_vccnz .LBB74_74
; %bb.70:                               ;   in Loop: Header=BB74_68 Depth=1
	s_mov_b32 s24, 0
	v_mov_b32_e32 v2, s10
	v_mov_b32_e32 v3, 0
	s_mov_b32 s25, s20
	s_mov_b32 s23, 0
.LBB74_71:                              ;   Parent Loop BB74_68 Depth=1
                                        ; =>  This Inner Loop Header: Depth=2
	v_mov_b32_e32 v7, s24
	ds_read2_b32 v[8:9], v7 offset1:1
	ds_read2_b32 v[10:11], v7 offset0:2 offset1:3
	ds_read2_b32 v[12:13], v7 offset0:4 offset1:5
	;; [unrolled: 1-line block ×7, first 2 shown]
	s_waitcnt lgkmcnt(7)
	v_cmp_gt_i32_e32 vcc, v6, v9
	s_waitcnt lgkmcnt(5)
	v_cmp_gt_i32_e64 s[8:9], v6, v12
	v_cndmask_b32_e64 v7, 0, 1, vcc
	v_cmp_gt_i32_e32 vcc, v6, v8
	v_cndmask_b32_e64 v9, 0, 1, s[8:9]
	v_cmp_gt_i32_e64 s[8:9], v6, v13
	v_cndmask_b32_e64 v8, 0, 1, vcc
	v_cmp_gt_i32_e32 vcc, v6, v11
	v_cndmask_b32_e64 v11, 0, 1, s[8:9]
	s_waitcnt lgkmcnt(3)
	v_cmp_gt_i32_e64 s[8:9], v6, v17
	v_cndmask_b32_e64 v12, 0, 1, s[8:9]
	v_cmp_gt_i32_e64 s[8:9], v6, v16
	v_cndmask_b32_e64 v13, 0, 1, s[8:9]
	s_waitcnt lgkmcnt(1)
	v_cmp_gt_i32_e64 s[8:9], v6, v20
	v_cndmask_b32_e64 v16, 0, 1, s[8:9]
	v_cmp_gt_i32_e64 s[8:9], v6, v21
	v_cndmask_b32_e64 v17, 0, 1, s[8:9]
	v_cmp_gt_i32_e64 s[8:9], v6, v10
	v_addc_co_u32_e64 v2, s[8:9], v2, v8, s[8:9]
	v_addc_co_u32_e32 v3, vcc, v3, v7, vcc
	v_cmp_gt_i32_e32 vcc, v6, v14
	v_cmp_gt_i32_e64 s[8:9], v6, v15
	v_addc_co_u32_e64 v3, s[8:9], v3, v11, s[8:9]
	v_addc_co_u32_e32 v2, vcc, v2, v9, vcc
	v_cmp_gt_i32_e32 vcc, v6, v19
	v_cmp_gt_i32_e64 s[8:9], v6, v18
	v_addc_co_u32_e64 v2, s[8:9], v2, v13, s[8:9]
	v_addc_co_u32_e32 v3, vcc, v3, v12, vcc
	s_add_i32 s23, s23, 16
	s_add_i32 s24, s24, 64
	s_add_i32 s25, s25, -8
	s_waitcnt lgkmcnt(0)
	v_cmp_gt_i32_e32 vcc, v6, v22
	v_cmp_gt_i32_e64 s[8:9], v6, v23
	s_cmp_lg_u32 s25, 0
	v_addc_co_u32_e64 v3, s[8:9], v3, v17, s[8:9]
	v_addc_co_u32_e32 v2, vcc, v2, v16, vcc
	s_cbranch_scc1 .LBB74_71
; %bb.72:                               ;   in Loop: Header=BB74_68 Depth=1
	s_and_b64 vcc, exec, s[6:7]
	s_cbranch_vccz .LBB74_75
	s_branch .LBB74_77
.LBB74_73:                              ;   in Loop: Header=BB74_68 Depth=1
	v_mov_b32_e32 v2, s10
	s_mov_b32 s23, 0
	s_cbranch_execz .LBB74_67
	s_branch .LBB74_78
.LBB74_74:                              ;   in Loop: Header=BB74_68 Depth=1
	v_pk_mov_b32 v[2:3], s[10:11], s[10:11] op_sel:[0,1]
	s_mov_b32 s23, 0
	s_and_b64 vcc, exec, s[6:7]
	s_cbranch_vccnz .LBB74_77
.LBB74_75:                              ;   in Loop: Header=BB74_68 Depth=1
	s_lshl_b32 s8, s23, 2
	s_add_i32 s8, s8, 0
	s_mov_b32 s9, s21
.LBB74_76:                              ;   Parent Loop BB74_68 Depth=1
                                        ; =>  This Inner Loop Header: Depth=2
	v_mov_b32_e32 v7, s8
	ds_read2_b32 v[8:9], v7 offset1:1
	s_add_i32 s8, s8, 8
	s_add_i32 s9, s9, -8
	s_cmp_lg_u32 s9, 0
	s_waitcnt lgkmcnt(0)
	v_cmp_gt_i32_e32 vcc, v6, v9
	v_addc_co_u32_e32 v3, vcc, 0, v3, vcc
	v_cmp_gt_i32_e32 vcc, v6, v8
	v_addc_co_u32_e32 v2, vcc, 0, v2, vcc
	s_cbranch_scc1 .LBB74_76
.LBB74_77:                              ;   in Loop: Header=BB74_68 Depth=1
	v_add_u32_e32 v2, v2, v3
	s_mov_b32 s23, s19
	s_mov_b64 s[8:9], s[14:15]
	s_and_b64 vcc, exec, s[8:9]
	s_cbranch_vccz .LBB74_67
.LBB74_78:                              ;   in Loop: Header=BB74_68 Depth=1
	s_lshl_b32 s8, s23, 2
	s_add_i32 s8, s8, 0
.LBB74_79:                              ;   Parent Loop BB74_68 Depth=1
                                        ; =>  This Inner Loop Header: Depth=2
	v_mov_b32_e32 v3, s8
	ds_read_b32 v3, v3
	s_add_i32 s23, s23, 1
	s_add_i32 s8, s8, 4
	s_cmp_ge_i32 s23, s18
	s_waitcnt lgkmcnt(0)
	v_cmp_gt_i32_e32 vcc, v6, v3
	v_addc_co_u32_e32 v2, vcc, 0, v2, vcc
	s_cbranch_scc0 .LBB74_79
	s_branch .LBB74_67
.LBB74_80:
	s_endpgm
	.section	.rodata,"a",@progbits
	.p2align	6, 0x0
	.amdhsa_kernel _ZN9rocsparseL26csrgemm_fill_block_per_rowILj512ELj32ELj1024ELj137ELj64Eii21rocsparse_complex_numIdEEEvT5_PKS3_S5_NS_24const_host_device_scalarIT6_EEPKT4_S5_PKS7_SB_S5_SD_S8_SB_S5_SD_SB_PS3_PS7_21rocsparse_index_base_SG_SG_SG_bbb
		.amdhsa_group_segment_fixed_size 0
		.amdhsa_private_segment_fixed_size 40
		.amdhsa_kernarg_size 172
		.amdhsa_user_sgpr_count 8
		.amdhsa_user_sgpr_private_segment_buffer 1
		.amdhsa_user_sgpr_dispatch_ptr 0
		.amdhsa_user_sgpr_queue_ptr 0
		.amdhsa_user_sgpr_kernarg_segment_ptr 1
		.amdhsa_user_sgpr_dispatch_id 0
		.amdhsa_user_sgpr_flat_scratch_init 1
		.amdhsa_user_sgpr_kernarg_preload_length 0
		.amdhsa_user_sgpr_kernarg_preload_offset 0
		.amdhsa_user_sgpr_private_segment_size 0
		.amdhsa_uses_dynamic_stack 0
		.amdhsa_system_sgpr_private_segment_wavefront_offset 1
		.amdhsa_system_sgpr_workgroup_id_x 1
		.amdhsa_system_sgpr_workgroup_id_y 0
		.amdhsa_system_sgpr_workgroup_id_z 0
		.amdhsa_system_sgpr_workgroup_info 0
		.amdhsa_system_vgpr_workitem_id 0
		.amdhsa_next_free_vgpr 34
		.amdhsa_next_free_sgpr 60
		.amdhsa_accum_offset 36
		.amdhsa_reserve_vcc 1
		.amdhsa_reserve_flat_scratch 1
		.amdhsa_float_round_mode_32 0
		.amdhsa_float_round_mode_16_64 0
		.amdhsa_float_denorm_mode_32 3
		.amdhsa_float_denorm_mode_16_64 3
		.amdhsa_dx10_clamp 1
		.amdhsa_ieee_mode 1
		.amdhsa_fp16_overflow 0
		.amdhsa_tg_split 0
		.amdhsa_exception_fp_ieee_invalid_op 0
		.amdhsa_exception_fp_denorm_src 0
		.amdhsa_exception_fp_ieee_div_zero 0
		.amdhsa_exception_fp_ieee_overflow 0
		.amdhsa_exception_fp_ieee_underflow 0
		.amdhsa_exception_fp_ieee_inexact 0
		.amdhsa_exception_int_div_zero 0
	.end_amdhsa_kernel
	.section	.text._ZN9rocsparseL26csrgemm_fill_block_per_rowILj512ELj32ELj1024ELj137ELj64Eii21rocsparse_complex_numIdEEEvT5_PKS3_S5_NS_24const_host_device_scalarIT6_EEPKT4_S5_PKS7_SB_S5_SD_S8_SB_S5_SD_SB_PS3_PS7_21rocsparse_index_base_SG_SG_SG_bbb,"axG",@progbits,_ZN9rocsparseL26csrgemm_fill_block_per_rowILj512ELj32ELj1024ELj137ELj64Eii21rocsparse_complex_numIdEEEvT5_PKS3_S5_NS_24const_host_device_scalarIT6_EEPKT4_S5_PKS7_SB_S5_SD_S8_SB_S5_SD_SB_PS3_PS7_21rocsparse_index_base_SG_SG_SG_bbb,comdat
.Lfunc_end74:
	.size	_ZN9rocsparseL26csrgemm_fill_block_per_rowILj512ELj32ELj1024ELj137ELj64Eii21rocsparse_complex_numIdEEEvT5_PKS3_S5_NS_24const_host_device_scalarIT6_EEPKT4_S5_PKS7_SB_S5_SD_S8_SB_S5_SD_SB_PS3_PS7_21rocsparse_index_base_SG_SG_SG_bbb, .Lfunc_end74-_ZN9rocsparseL26csrgemm_fill_block_per_rowILj512ELj32ELj1024ELj137ELj64Eii21rocsparse_complex_numIdEEEvT5_PKS3_S5_NS_24const_host_device_scalarIT6_EEPKT4_S5_PKS7_SB_S5_SD_S8_SB_S5_SD_SB_PS3_PS7_21rocsparse_index_base_SG_SG_SG_bbb
                                        ; -- End function
	.section	.AMDGPU.csdata,"",@progbits
; Kernel info:
; codeLenInByte = 3280
; NumSgprs: 66
; NumVgprs: 34
; NumAgprs: 0
; TotalNumVgprs: 34
; ScratchSize: 40
; MemoryBound: 0
; FloatMode: 240
; IeeeMode: 1
; LDSByteSize: 0 bytes/workgroup (compile time only)
; SGPRBlocks: 8
; VGPRBlocks: 4
; NumSGPRsForWavesPerEU: 66
; NumVGPRsForWavesPerEU: 34
; AccumOffset: 36
; Occupancy: 8
; WaveLimiterHint : 1
; COMPUTE_PGM_RSRC2:SCRATCH_EN: 1
; COMPUTE_PGM_RSRC2:USER_SGPR: 8
; COMPUTE_PGM_RSRC2:TRAP_HANDLER: 0
; COMPUTE_PGM_RSRC2:TGID_X_EN: 1
; COMPUTE_PGM_RSRC2:TGID_Y_EN: 0
; COMPUTE_PGM_RSRC2:TGID_Z_EN: 0
; COMPUTE_PGM_RSRC2:TIDIG_COMP_CNT: 0
; COMPUTE_PGM_RSRC3_GFX90A:ACCUM_OFFSET: 8
; COMPUTE_PGM_RSRC3_GFX90A:TG_SPLIT: 0
	.section	.text._ZN9rocsparseL26csrgemm_fill_block_per_rowILj1024ELj32ELj2048ELj137ELj32Eii21rocsparse_complex_numIdEEEvT5_PKS3_S5_NS_24const_host_device_scalarIT6_EEPKT4_S5_PKS7_SB_S5_SD_S8_SB_S5_SD_SB_PS3_PS7_21rocsparse_index_base_SG_SG_SG_bbb,"axG",@progbits,_ZN9rocsparseL26csrgemm_fill_block_per_rowILj1024ELj32ELj2048ELj137ELj32Eii21rocsparse_complex_numIdEEEvT5_PKS3_S5_NS_24const_host_device_scalarIT6_EEPKT4_S5_PKS7_SB_S5_SD_S8_SB_S5_SD_SB_PS3_PS7_21rocsparse_index_base_SG_SG_SG_bbb,comdat
	.globl	_ZN9rocsparseL26csrgemm_fill_block_per_rowILj1024ELj32ELj2048ELj137ELj32Eii21rocsparse_complex_numIdEEEvT5_PKS3_S5_NS_24const_host_device_scalarIT6_EEPKT4_S5_PKS7_SB_S5_SD_S8_SB_S5_SD_SB_PS3_PS7_21rocsparse_index_base_SG_SG_SG_bbb ; -- Begin function _ZN9rocsparseL26csrgemm_fill_block_per_rowILj1024ELj32ELj2048ELj137ELj32Eii21rocsparse_complex_numIdEEEvT5_PKS3_S5_NS_24const_host_device_scalarIT6_EEPKT4_S5_PKS7_SB_S5_SD_S8_SB_S5_SD_SB_PS3_PS7_21rocsparse_index_base_SG_SG_SG_bbb
	.p2align	8
	.type	_ZN9rocsparseL26csrgemm_fill_block_per_rowILj1024ELj32ELj2048ELj137ELj32Eii21rocsparse_complex_numIdEEEvT5_PKS3_S5_NS_24const_host_device_scalarIT6_EEPKT4_S5_PKS7_SB_S5_SD_S8_SB_S5_SD_SB_PS3_PS7_21rocsparse_index_base_SG_SG_SG_bbb,@function
_ZN9rocsparseL26csrgemm_fill_block_per_rowILj1024ELj32ELj2048ELj137ELj32Eii21rocsparse_complex_numIdEEEvT5_PKS3_S5_NS_24const_host_device_scalarIT6_EEPKT4_S5_PKS7_SB_S5_SD_S8_SB_S5_SD_SB_PS3_PS7_21rocsparse_index_base_SG_SG_SG_bbb: ; @_ZN9rocsparseL26csrgemm_fill_block_per_rowILj1024ELj32ELj2048ELj137ELj32Eii21rocsparse_complex_numIdEEEvT5_PKS3_S5_NS_24const_host_device_scalarIT6_EEPKT4_S5_PKS7_SB_S5_SD_S8_SB_S5_SD_SB_PS3_PS7_21rocsparse_index_base_SG_SG_SG_bbb
; %bb.0:
	s_add_u32 flat_scratch_lo, s6, s9
	s_addc_u32 flat_scratch_hi, s7, 0
	s_load_dwordx4 s[12:15], s[4:5], 0x18
	s_load_dwordx4 s[28:31], s[4:5], 0x58
	s_add_u32 s0, s0, s9
	s_load_dword s9, s[4:5], 0xa8
	s_load_dwordx4 s[72:75], s[4:5], 0x98
	s_addc_u32 s1, s1, 0
	s_waitcnt lgkmcnt(0)
	v_mov_b32_e32 v1, s13
	buffer_store_dword v1, off, s[0:3], 0 offset:20
	s_bitcmp1_b32 s9, 0
	s_cselect_b64 s[36:37], -1, 0
	s_bitcmp1_b32 s9, 16
	v_mov_b32_e32 v1, s12
	s_cselect_b64 s[6:7], -1, 0
	buffer_store_dword v1, off, s[0:3], 0 offset:16
	v_mov_b32_e32 v1, s29
	buffer_store_dword v1, off, s[0:3], 0 offset:28
	v_mov_b32_e32 v1, s28
	s_xor_b64 s[10:11], s[6:7], -1
	buffer_store_dword v1, off, s[0:3], 0 offset:24
	v_pk_mov_b32 v[2:3], 0, 0
	v_cndmask_b32_e64 v1, 0, 1, s[10:11]
	s_bitcmp0_b32 s9, 0
	v_cmp_ne_u32_e64 s[10:11], 1, v1
	v_pk_mov_b32 v[6:7], v[2:3], v[2:3] op_sel:[0,1]
	v_pk_mov_b32 v[8:9], v[2:3], v[2:3] op_sel:[0,1]
	s_cbranch_scc1 .LBB75_3
; %bb.1:
	s_mov_b64 s[16:17], src_private_base
	s_and_b64 s[18:19], s[6:7], exec
	s_cselect_b32 s16, s17, s13
	v_mov_b32_e32 v1, 16
	v_mov_b32_e32 v4, s12
	v_cndmask_b32_e64 v4, v4, v1, s[6:7]
	v_mov_b32_e32 v5, s16
	flat_load_dwordx2 v[6:7], v[4:5]
	s_and_b64 vcc, exec, s[10:11]
	v_pk_mov_b32 v[8:9], s[14:15], s[14:15] op_sel:[0,1]
	s_cbranch_vccnz .LBB75_3
; %bb.2:
	v_pk_mov_b32 v[4:5], s[12:13], s[12:13] op_sel:[0,1]
	flat_load_dwordx2 v[8:9], v[4:5] offset:8
.LBB75_3:
	s_load_dwordx4 s[76:79], s[4:5], 0x88
	s_load_dwordx8 s[64:71], s[4:5], 0x68
	s_load_dwordx4 s[20:23], s[4:5], 0x48
	s_load_dwordx4 s[24:27], s[4:5], 0x8
	s_load_dwordx8 s[12:19], s[4:5], 0x28
	s_bitcmp1_b32 s9, 8
	s_cselect_b64 s[34:35], -1, 0
	s_bfe_u32 s9, s9, 0x10008
	s_mov_b64 s[38:39], 0
	s_cmp_eq_u32 s9, 0
	v_pk_mov_b32 v[4:5], v[2:3], v[2:3] op_sel:[0,1]
	s_cbranch_scc1 .LBB75_6
; %bb.4:
	s_mov_b64 s[40:41], src_private_base
	s_and_b64 s[42:43], s[6:7], exec
	s_cselect_b32 s9, s41, s29
	v_mov_b32_e32 v1, 24
	v_mov_b32_e32 v2, s28
	v_cndmask_b32_e64 v2, v2, v1, s[6:7]
	v_mov_b32_e32 v3, s9
	flat_load_dwordx2 v[4:5], v[2:3]
	s_and_b64 vcc, exec, s[10:11]
	v_pk_mov_b32 v[2:3], s[30:31], s[30:31] op_sel:[0,1]
	s_cbranch_vccnz .LBB75_6
; %bb.5:
	v_pk_mov_b32 v[2:3], s[28:29], s[28:29] op_sel:[0,1]
	flat_load_dwordx2 v[2:3], v[2:3] offset:8
.LBB75_6:
	s_load_dword s33, s[4:5], 0x0
	s_mov_b32 s4, 0
	v_lshl_add_u32 v1, v0, 4, 0
	v_add_u32_e32 v1, 0x2000, v1
	v_or_b32_e32 v23, 0xfffffc00, v0
	v_lshl_add_u32 v24, v0, 2, 0
	s_mov_b32 s5, s4
	s_mov_b32 s6, s4
	;; [unrolled: 1-line block ×3, first 2 shown]
	s_waitcnt lgkmcnt(0)
	v_mov_b32_e32 v14, s33
	v_pk_mov_b32 v[10:11], s[4:5], s[4:5] op_sel:[0,1]
	v_pk_mov_b32 v[12:13], s[6:7], s[6:7] op_sel:[0,1]
	v_mov_b32_e32 v15, v24
	v_mov_b32_e32 v16, v23
	v_mov_b32_e32 v17, v1
.LBB75_7:                               ; =>This Inner Loop Header: Depth=1
	v_add_co_u32_e32 v16, vcc, 0x400, v16
	s_xor_b64 s[4:5], vcc, -1
	s_and_b64 s[4:5], exec, s[4:5]
	ds_write_b32 v15, v14
	ds_write2_b64 v17, v[10:11], v[12:13] offset1:1
	v_add_u32_e32 v17, 0x4000, v17
	s_or_b64 s[38:39], s[4:5], s[38:39]
	v_add_u32_e32 v15, 0x1000, v15
	s_andn2_b64 exec, exec, s[38:39]
	s_cbranch_execnz .LBB75_7
; %bb.8:
	s_or_b64 exec, exec, s[38:39]
	s_waitcnt lgkmcnt(0)
	s_barrier
	s_load_dword s4, s[24:25], 0x0
	s_mov_b32 s5, 0
	v_lshrrev_b32_e32 v25, 5, v0
	s_waitcnt lgkmcnt(0)
	s_add_i32 s4, s4, s8
	s_lshl_b64 s[4:5], s[4:5], 2
	s_add_u32 s4, s26, s4
	s_addc_u32 s5, s27, s5
	s_load_dword s80, s[4:5], 0x0
	s_and_b64 vcc, exec, s[36:37]
	s_cbranch_vccz .LBB75_28
; %bb.9:
	s_waitcnt lgkmcnt(0)
	s_ashr_i32 s81, s80, 31
	s_lshl_b64 s[4:5], s[80:81], 2
	s_add_u32 s4, s12, s4
	s_addc_u32 s5, s13, s5
	s_load_dwordx2 s[4:5], s[4:5], 0x0
	v_subrev_u32_e32 v10, s72, v25
	s_waitcnt lgkmcnt(0)
	s_sub_i32 s38, s5, s72
	v_add_u32_e32 v10, s4, v10
	v_cmp_gt_i32_e32 vcc, s38, v10
	s_and_saveexec_b64 s[4:5], vcc
	s_cbranch_execz .LBB75_27
; %bb.10:
	v_and_b32_e32 v11, 31, v0
	v_subrev_u32_e32 v26, s73, v11
	s_mov_b64 s[6:7], 0
	v_mov_b32_e32 v27, s15
	v_mov_b32_e32 v28, s19
	s_movk_i32 s15, 0x89
	s_branch .LBB75_12
.LBB75_11:                              ;   in Loop: Header=BB75_12 Depth=1
	s_or_b64 exec, exec, s[8:9]
	v_add_u32_e32 v10, 32, v10
	v_cmp_le_i32_e32 vcc, s38, v10
	s_or_b64 s[6:7], vcc, s[6:7]
	s_andn2_b64 exec, exec, s[6:7]
	s_cbranch_execz .LBB75_27
.LBB75_12:                              ; =>This Loop Header: Depth=1
                                        ;     Child Loop BB75_15 Depth 2
                                        ;       Child Loop BB75_17 Depth 3
	v_ashrrev_i32_e32 v11, 31, v10
	v_lshlrev_b64 v[12:13], 2, v[10:11]
	v_add_co_u32_e32 v12, vcc, s14, v12
	v_addc_co_u32_e32 v13, vcc, v27, v13, vcc
	global_load_dword v12, v[12:13], off
	s_waitcnt vmcnt(0)
	v_subrev_u32_e32 v12, s72, v12
	v_ashrrev_i32_e32 v13, 31, v12
	v_lshlrev_b64 v[12:13], 2, v[12:13]
	v_add_co_u32_e32 v12, vcc, s18, v12
	v_addc_co_u32_e32 v13, vcc, v28, v13, vcc
	global_load_dwordx2 v[12:13], v[12:13], off
	s_waitcnt vmcnt(0)
	v_subrev_u32_e32 v29, s73, v13
	v_add_u32_e32 v12, v12, v26
	v_cmp_lt_i32_e32 vcc, v12, v29
	s_and_saveexec_b64 s[8:9], vcc
	s_cbranch_execz .LBB75_11
; %bb.13:                               ;   in Loop: Header=BB75_12 Depth=1
	v_lshlrev_b64 v[14:15], 4, v[10:11]
	v_mov_b32_e32 v11, s17
	v_add_co_u32_e32 v14, vcc, s16, v14
	v_addc_co_u32_e32 v15, vcc, v11, v15, vcc
	global_load_dwordx4 v[18:21], v[14:15], off
	s_mov_b64 s[10:11], 0
	s_waitcnt vmcnt(0)
	v_mul_f64 v[14:15], v[20:21], -v[8:9]
	v_mul_f64 v[16:17], v[6:7], v[20:21]
	v_fmac_f64_e32 v[14:15], v[6:7], v[18:19]
	v_fmac_f64_e32 v[16:17], v[8:9], v[18:19]
	s_branch .LBB75_15
.LBB75_14:                              ;   in Loop: Header=BB75_15 Depth=2
	s_or_b64 exec, exec, s[12:13]
	v_add_u32_e32 v12, 32, v12
	v_cmp_ge_i32_e32 vcc, v12, v29
	s_or_b64 s[10:11], vcc, s[10:11]
	s_andn2_b64 exec, exec, s[10:11]
	s_cbranch_execz .LBB75_11
.LBB75_15:                              ;   Parent Loop BB75_12 Depth=1
                                        ; =>  This Loop Header: Depth=2
                                        ;       Child Loop BB75_17 Depth 3
	v_ashrrev_i32_e32 v13, 31, v12
	v_lshlrev_b64 v[18:19], 2, v[12:13]
	v_mov_b32_e32 v11, s21
	v_add_co_u32_e32 v18, vcc, s20, v18
	v_addc_co_u32_e32 v19, vcc, v11, v19, vcc
	global_load_dword v11, v[18:19], off
	v_lshlrev_b64 v[18:19], 4, v[12:13]
	v_mov_b32_e32 v13, s23
	v_add_co_u32_e32 v18, vcc, s22, v18
	v_addc_co_u32_e32 v19, vcc, v13, v19, vcc
	global_load_dwordx4 v[30:33], v[18:19], off
	s_mov_b64 s[12:13], 0
	s_waitcnt vmcnt(1)
	v_subrev_u32_e32 v11, s73, v11
	v_mul_lo_u32 v13, v11, s15
	v_and_b32_e32 v13, 0x7ff, v13
	s_waitcnt vmcnt(0)
	v_mul_f64 v[18:19], v[32:33], -v[16:17]
	v_mul_f64 v[20:21], v[14:15], v[32:33]
	v_fmac_f64_e32 v[18:19], v[14:15], v[30:31]
	v_fmac_f64_e32 v[20:21], v[16:17], v[30:31]
	s_branch .LBB75_17
.LBB75_16:                              ;   in Loop: Header=BB75_17 Depth=3
	s_or_b64 exec, exec, s[24:25]
	s_xor_b64 s[24:25], s[26:27], -1
	s_and_b64 s[24:25], exec, s[24:25]
	s_or_b64 s[12:13], s[24:25], s[12:13]
	s_andn2_b64 exec, exec, s[12:13]
	s_cbranch_execz .LBB75_14
.LBB75_17:                              ;   Parent Loop BB75_12 Depth=1
                                        ;     Parent Loop BB75_15 Depth=2
                                        ; =>    This Inner Loop Header: Depth=3
	v_lshl_add_u32 v22, v13, 2, 0
	ds_read_b32 v30, v22
                                        ; implicit-def: $sgpr26_sgpr27
	s_waitcnt lgkmcnt(0)
	v_cmp_ne_u32_e32 vcc, v30, v11
	s_and_saveexec_b64 s[24:25], vcc
	s_xor_b64 s[24:25], exec, s[24:25]
	s_cbranch_execz .LBB75_25
; %bb.18:                               ;   in Loop: Header=BB75_17 Depth=3
	v_cmp_ne_u32_e32 vcc, s33, v30
                                        ; implicit-def: $sgpr26_sgpr27
	s_and_saveexec_b64 s[28:29], vcc
	s_xor_b64 s[28:29], exec, s[28:29]
; %bb.19:                               ;   in Loop: Header=BB75_17 Depth=3
	v_add_u32_e32 v13, 1, v13
	v_and_b32_e32 v13, 0x7ff, v13
	s_mov_b64 s[26:27], -1
                                        ; implicit-def: $vgpr22
; %bb.20:                               ;   in Loop: Header=BB75_17 Depth=3
	s_andn2_saveexec_b64 s[28:29], s[28:29]
	s_cbranch_execz .LBB75_24
; %bb.21:                               ;   in Loop: Header=BB75_17 Depth=3
	v_mov_b32_e32 v30, s33
	ds_cmpst_rtn_b32 v30, v22, v30, v11
	s_mov_b64 s[36:37], -1
	s_waitcnt lgkmcnt(0)
	v_cmp_eq_u32_e32 vcc, s33, v30
	s_and_saveexec_b64 s[30:31], vcc
	s_cbranch_execz .LBB75_23
; %bb.22:                               ;   in Loop: Header=BB75_17 Depth=3
	v_mad_u64_u32 v[30:31], s[36:37], v13, 12, v[22:23]
	ds_add_f64 v30, v[18:19] offset:8192
	ds_add_f64 v30, v[20:21] offset:8200
	s_xor_b64 s[36:37], exec, -1
.LBB75_23:                              ;   in Loop: Header=BB75_17 Depth=3
	s_or_b64 exec, exec, s[30:31]
	s_andn2_b64 s[26:27], s[26:27], exec
	s_and_b64 s[30:31], s[36:37], exec
	s_or_b64 s[26:27], s[26:27], s[30:31]
.LBB75_24:                              ;   in Loop: Header=BB75_17 Depth=3
	s_or_b64 exec, exec, s[28:29]
	s_and_b64 s[26:27], s[26:27], exec
                                        ; implicit-def: $vgpr22
.LBB75_25:                              ;   in Loop: Header=BB75_17 Depth=3
	s_andn2_saveexec_b64 s[24:25], s[24:25]
	s_cbranch_execz .LBB75_16
; %bb.26:                               ;   in Loop: Header=BB75_17 Depth=3
	v_mad_u64_u32 v[30:31], s[28:29], v13, 12, v[22:23]
	ds_add_f64 v30, v[18:19] offset:8192
	ds_add_f64 v30, v[20:21] offset:8200
	s_andn2_b64 s[26:27], s[26:27], exec
	s_branch .LBB75_16
.LBB75_27:
	s_or_b64 exec, exec, s[4:5]
.LBB75_28:
	s_andn2_b64 vcc, exec, s[34:35]
	s_cbranch_vccnz .LBB75_45
; %bb.29:
	s_waitcnt lgkmcnt(0)
	s_ashr_i32 s81, s80, 31
	s_lshl_b64 s[4:5], s[80:81], 2
	s_add_u32 s4, s64, s4
	s_addc_u32 s5, s65, s5
	s_load_dwordx2 s[4:5], s[4:5], 0x0
	s_waitcnt vmcnt(0)
	v_subrev_u32_e32 v6, s75, v0
	s_waitcnt lgkmcnt(0)
	s_sub_i32 s20, s5, s75
	v_add_u32_e32 v6, s4, v6
	v_cmp_gt_i32_e32 vcc, s20, v6
	s_and_saveexec_b64 s[4:5], vcc
	s_cbranch_execz .LBB75_44
; %bb.30:
	s_mov_b64 s[6:7], 0
	v_mov_b32_e32 v13, s67
	v_mov_b32_e32 v14, s69
	s_movk_i32 s21, 0x89
	s_branch .LBB75_32
.LBB75_31:                              ;   in Loop: Header=BB75_32 Depth=1
	s_or_b64 exec, exec, s[8:9]
	v_add_u32_e32 v6, 0x400, v6
	v_cmp_le_i32_e32 vcc, s20, v6
	s_or_b64 s[6:7], vcc, s[6:7]
	s_andn2_b64 exec, exec, s[6:7]
	s_cbranch_execz .LBB75_44
.LBB75_32:                              ; =>This Loop Header: Depth=1
                                        ;     Child Loop BB75_34 Depth 2
	v_ashrrev_i32_e32 v7, 31, v6
	v_lshlrev_b64 v[8:9], 2, v[6:7]
	v_add_co_u32_e32 v8, vcc, s66, v8
	v_addc_co_u32_e32 v9, vcc, v13, v9, vcc
	global_load_dword v10, v[8:9], off
	v_lshlrev_b64 v[8:9], 4, v[6:7]
	v_add_co_u32_e32 v8, vcc, s68, v8
	v_addc_co_u32_e32 v9, vcc, v14, v9, vcc
	global_load_dwordx4 v[16:19], v[8:9], off
	s_mov_b64 s[8:9], 0
	s_waitcnt vmcnt(1)
	v_subrev_u32_e32 v7, s75, v10
	v_mul_lo_u32 v12, v7, s21
	v_and_b32_e32 v15, 0x7ff, v12
	s_waitcnt vmcnt(0)
	v_mul_f64 v[8:9], v[18:19], -v[2:3]
	v_mul_f64 v[10:11], v[4:5], v[18:19]
	v_fmac_f64_e32 v[8:9], v[4:5], v[16:17]
	v_fmac_f64_e32 v[10:11], v[2:3], v[16:17]
	s_branch .LBB75_34
.LBB75_33:                              ;   in Loop: Header=BB75_34 Depth=2
	s_or_b64 exec, exec, s[10:11]
	s_xor_b64 s[10:11], s[12:13], -1
	s_and_b64 s[10:11], exec, s[10:11]
	s_or_b64 s[8:9], s[10:11], s[8:9]
	s_andn2_b64 exec, exec, s[8:9]
	s_cbranch_execz .LBB75_31
.LBB75_34:                              ;   Parent Loop BB75_32 Depth=1
                                        ; =>  This Inner Loop Header: Depth=2
	v_lshl_add_u32 v12, v15, 2, 0
	ds_read_b32 v16, v12
                                        ; implicit-def: $sgpr12_sgpr13
	s_waitcnt lgkmcnt(0)
	v_cmp_ne_u32_e32 vcc, v16, v7
	s_and_saveexec_b64 s[10:11], vcc
	s_xor_b64 s[10:11], exec, s[10:11]
	s_cbranch_execz .LBB75_42
; %bb.35:                               ;   in Loop: Header=BB75_34 Depth=2
	v_cmp_ne_u32_e32 vcc, s33, v16
                                        ; implicit-def: $sgpr12_sgpr13
	s_and_saveexec_b64 s[14:15], vcc
	s_xor_b64 s[14:15], exec, s[14:15]
; %bb.36:                               ;   in Loop: Header=BB75_34 Depth=2
	v_add_u32_e32 v12, 1, v15
	v_and_b32_e32 v15, 0x7ff, v12
	s_mov_b64 s[12:13], -1
                                        ; implicit-def: $vgpr12
; %bb.37:                               ;   in Loop: Header=BB75_34 Depth=2
	s_andn2_saveexec_b64 s[14:15], s[14:15]
	s_cbranch_execz .LBB75_41
; %bb.38:                               ;   in Loop: Header=BB75_34 Depth=2
	v_mov_b32_e32 v16, s33
	ds_cmpst_rtn_b32 v16, v12, v16, v7
	s_mov_b64 s[18:19], -1
	s_waitcnt lgkmcnt(0)
	v_cmp_eq_u32_e32 vcc, s33, v16
	s_and_saveexec_b64 s[16:17], vcc
	s_cbranch_execz .LBB75_40
; %bb.39:                               ;   in Loop: Header=BB75_34 Depth=2
	v_mad_u64_u32 v[16:17], s[18:19], v15, 12, v[12:13]
	ds_add_f64 v16, v[8:9] offset:8192
	ds_add_f64 v16, v[10:11] offset:8200
	s_xor_b64 s[18:19], exec, -1
.LBB75_40:                              ;   in Loop: Header=BB75_34 Depth=2
	s_or_b64 exec, exec, s[16:17]
	s_andn2_b64 s[12:13], s[12:13], exec
	s_and_b64 s[16:17], s[18:19], exec
	s_or_b64 s[12:13], s[12:13], s[16:17]
.LBB75_41:                              ;   in Loop: Header=BB75_34 Depth=2
	s_or_b64 exec, exec, s[14:15]
	s_and_b64 s[12:13], s[12:13], exec
                                        ; implicit-def: $vgpr12
.LBB75_42:                              ;   in Loop: Header=BB75_34 Depth=2
	s_andn2_saveexec_b64 s[10:11], s[10:11]
	s_cbranch_execz .LBB75_33
; %bb.43:                               ;   in Loop: Header=BB75_34 Depth=2
	v_mad_u64_u32 v[16:17], s[14:15], v15, 12, v[12:13]
	ds_add_f64 v16, v[8:9] offset:8192
	ds_add_f64 v16, v[10:11] offset:8200
	s_andn2_b64 s[12:13], s[12:13], exec
	s_branch .LBB75_33
.LBB75_44:
	s_or_b64 exec, exec, s[4:5]
.LBB75_45:
	s_waitcnt vmcnt(0)
	v_mbcnt_lo_u32_b32 v2, -1, 0
	v_mbcnt_hi_u32_b32 v2, -1, v2
	v_sub_u32_e32 v2, 63, v2
	s_movk_i32 s4, 0x3ff
	s_movk_i32 s10, 0x5f
	;; [unrolled: 1-line block ×30, first 2 shown]
	v_mov_b32_e32 v4, 0
	v_lshrrev_b64 v[2:3], v2, -1
	v_lshl_add_u32 v5, v25, 2, 0
	v_cmp_eq_u32_e64 s[4:5], s4, v0
	v_cmp_lt_u32_e64 s[6:7], 31, v0
	v_cmp_lt_u32_e64 s[8:9], 63, v0
	;; [unrolled: 1-line block ×31, first 2 shown]
	s_mov_b64 s[72:73], 0
	v_mov_b32_e32 v6, 0
	s_waitcnt lgkmcnt(0)
	s_barrier
	s_branch .LBB75_47
.LBB75_46:                              ;   in Loop: Header=BB75_47 Depth=1
	s_or_b64 exec, exec, s[82:83]
	s_waitcnt lgkmcnt(0)
	s_barrier
	ds_read_b32 v7, v4 offset:41084
	v_add_co_u32_e32 v23, vcc, 0x400, v23
	s_xor_b64 s[82:83], vcc, -1
	s_and_b64 s[82:83], exec, s[82:83]
	v_add_u32_e32 v1, 0x4000, v1
	s_waitcnt lgkmcnt(0)
	v_add_u32_e32 v6, v7, v6
	s_or_b64 s[72:73], s[82:83], s[72:73]
	v_add_u32_e32 v24, 0x1000, v24
	s_andn2_b64 exec, exec, s[72:73]
	s_cbranch_execz .LBB75_113
.LBB75_47:                              ; =>This Inner Loop Header: Depth=1
	ds_read2_b64 v[10:13], v1 offset1:1
	ds_read_b32 v8, v24
	s_waitcnt lgkmcnt(1)
	buffer_store_dword v13, off, s[0:3], 0 offset:12
	buffer_store_dword v12, off, s[0:3], 0 offset:8
	buffer_store_dword v11, off, s[0:3], 0 offset:4
	buffer_store_dword v10, off, s[0:3], 0
	s_waitcnt lgkmcnt(0)
	v_cmp_gt_i32_e32 vcc, s33, v8
	v_and_b32_e32 v9, vcc_lo, v2
	s_bcnt1_i32_b64 s75, vcc
	v_and_b32_e32 v7, vcc_hi, v3
	v_bcnt_u32_b32 v9, v9, 0
	v_bcnt_u32_b32 v7, v7, v9
	v_mov_b32_e32 v9, s75
	s_barrier
	ds_write_b32 v5, v9 offset:40960
	s_waitcnt lgkmcnt(0)
	s_barrier
	s_and_saveexec_b64 s[82:83], s[6:7]
	s_cbranch_execnz .LBB75_80
; %bb.48:                               ;   in Loop: Header=BB75_47 Depth=1
	s_or_b64 exec, exec, s[82:83]
	s_and_saveexec_b64 s[82:83], s[8:9]
	s_cbranch_execnz .LBB75_81
.LBB75_49:                              ;   in Loop: Header=BB75_47 Depth=1
	s_or_b64 exec, exec, s[82:83]
	s_and_saveexec_b64 s[82:83], s[10:11]
	s_cbranch_execnz .LBB75_82
.LBB75_50:                              ;   in Loop: Header=BB75_47 Depth=1
	s_or_b64 exec, exec, s[82:83]
	s_and_saveexec_b64 s[82:83], s[12:13]
	s_cbranch_execnz .LBB75_83
.LBB75_51:                              ;   in Loop: Header=BB75_47 Depth=1
	s_or_b64 exec, exec, s[82:83]
	s_and_saveexec_b64 s[82:83], s[14:15]
	s_cbranch_execnz .LBB75_84
.LBB75_52:                              ;   in Loop: Header=BB75_47 Depth=1
	s_or_b64 exec, exec, s[82:83]
	s_and_saveexec_b64 s[82:83], s[16:17]
	s_cbranch_execnz .LBB75_85
.LBB75_53:                              ;   in Loop: Header=BB75_47 Depth=1
	s_or_b64 exec, exec, s[82:83]
	s_and_saveexec_b64 s[82:83], s[18:19]
	s_cbranch_execnz .LBB75_86
.LBB75_54:                              ;   in Loop: Header=BB75_47 Depth=1
	s_or_b64 exec, exec, s[82:83]
	s_and_saveexec_b64 s[82:83], s[20:21]
	s_cbranch_execnz .LBB75_87
.LBB75_55:                              ;   in Loop: Header=BB75_47 Depth=1
	s_or_b64 exec, exec, s[82:83]
	s_and_saveexec_b64 s[82:83], s[22:23]
	s_cbranch_execnz .LBB75_88
.LBB75_56:                              ;   in Loop: Header=BB75_47 Depth=1
	s_or_b64 exec, exec, s[82:83]
	s_and_saveexec_b64 s[82:83], s[24:25]
	s_cbranch_execnz .LBB75_89
.LBB75_57:                              ;   in Loop: Header=BB75_47 Depth=1
	s_or_b64 exec, exec, s[82:83]
	s_and_saveexec_b64 s[82:83], s[26:27]
	s_cbranch_execnz .LBB75_90
.LBB75_58:                              ;   in Loop: Header=BB75_47 Depth=1
	s_or_b64 exec, exec, s[82:83]
	s_and_saveexec_b64 s[82:83], s[28:29]
	s_cbranch_execnz .LBB75_91
.LBB75_59:                              ;   in Loop: Header=BB75_47 Depth=1
	s_or_b64 exec, exec, s[82:83]
	s_and_saveexec_b64 s[82:83], s[30:31]
	s_cbranch_execnz .LBB75_92
.LBB75_60:                              ;   in Loop: Header=BB75_47 Depth=1
	s_or_b64 exec, exec, s[82:83]
	s_and_saveexec_b64 s[82:83], s[34:35]
	s_cbranch_execnz .LBB75_93
.LBB75_61:                              ;   in Loop: Header=BB75_47 Depth=1
	s_or_b64 exec, exec, s[82:83]
	s_and_saveexec_b64 s[82:83], s[36:37]
	s_cbranch_execnz .LBB75_94
.LBB75_62:                              ;   in Loop: Header=BB75_47 Depth=1
	s_or_b64 exec, exec, s[82:83]
	s_and_saveexec_b64 s[82:83], s[38:39]
	s_cbranch_execnz .LBB75_95
.LBB75_63:                              ;   in Loop: Header=BB75_47 Depth=1
	s_or_b64 exec, exec, s[82:83]
	s_and_saveexec_b64 s[82:83], s[40:41]
	s_cbranch_execnz .LBB75_96
.LBB75_64:                              ;   in Loop: Header=BB75_47 Depth=1
	s_or_b64 exec, exec, s[82:83]
	s_and_saveexec_b64 s[82:83], s[42:43]
	s_cbranch_execnz .LBB75_97
.LBB75_65:                              ;   in Loop: Header=BB75_47 Depth=1
	s_or_b64 exec, exec, s[82:83]
	s_and_saveexec_b64 s[82:83], s[44:45]
	s_cbranch_execnz .LBB75_98
.LBB75_66:                              ;   in Loop: Header=BB75_47 Depth=1
	s_or_b64 exec, exec, s[82:83]
	s_and_saveexec_b64 s[82:83], s[46:47]
	s_cbranch_execnz .LBB75_99
.LBB75_67:                              ;   in Loop: Header=BB75_47 Depth=1
	s_or_b64 exec, exec, s[82:83]
	s_and_saveexec_b64 s[82:83], s[48:49]
	s_cbranch_execnz .LBB75_100
.LBB75_68:                              ;   in Loop: Header=BB75_47 Depth=1
	s_or_b64 exec, exec, s[82:83]
	s_and_saveexec_b64 s[82:83], s[50:51]
	s_cbranch_execnz .LBB75_101
.LBB75_69:                              ;   in Loop: Header=BB75_47 Depth=1
	s_or_b64 exec, exec, s[82:83]
	s_and_saveexec_b64 s[82:83], s[52:53]
	s_cbranch_execnz .LBB75_102
.LBB75_70:                              ;   in Loop: Header=BB75_47 Depth=1
	s_or_b64 exec, exec, s[82:83]
	s_and_saveexec_b64 s[82:83], s[54:55]
	s_cbranch_execnz .LBB75_103
.LBB75_71:                              ;   in Loop: Header=BB75_47 Depth=1
	s_or_b64 exec, exec, s[82:83]
	s_and_saveexec_b64 s[82:83], s[56:57]
	s_cbranch_execnz .LBB75_104
.LBB75_72:                              ;   in Loop: Header=BB75_47 Depth=1
	s_or_b64 exec, exec, s[82:83]
	s_and_saveexec_b64 s[82:83], s[58:59]
	s_cbranch_execnz .LBB75_105
.LBB75_73:                              ;   in Loop: Header=BB75_47 Depth=1
	s_or_b64 exec, exec, s[82:83]
	s_and_saveexec_b64 s[82:83], s[60:61]
	s_cbranch_execnz .LBB75_106
.LBB75_74:                              ;   in Loop: Header=BB75_47 Depth=1
	s_or_b64 exec, exec, s[82:83]
	s_and_saveexec_b64 s[82:83], s[62:63]
	s_cbranch_execnz .LBB75_107
.LBB75_75:                              ;   in Loop: Header=BB75_47 Depth=1
	s_or_b64 exec, exec, s[82:83]
	s_and_saveexec_b64 s[82:83], s[64:65]
	s_cbranch_execnz .LBB75_108
.LBB75_76:                              ;   in Loop: Header=BB75_47 Depth=1
	s_or_b64 exec, exec, s[82:83]
	s_and_saveexec_b64 s[82:83], s[66:67]
	s_cbranch_execnz .LBB75_109
.LBB75_77:                              ;   in Loop: Header=BB75_47 Depth=1
	s_or_b64 exec, exec, s[82:83]
	s_and_saveexec_b64 s[82:83], s[68:69]
	s_cbranch_execnz .LBB75_110
.LBB75_78:                              ;   in Loop: Header=BB75_47 Depth=1
	s_or_b64 exec, exec, s[82:83]
	s_and_saveexec_b64 s[82:83], vcc
	s_cbranch_execnz .LBB75_111
.LBB75_79:                              ;   in Loop: Header=BB75_47 Depth=1
	s_or_b64 exec, exec, s[82:83]
	s_and_saveexec_b64 s[82:83], s[4:5]
	s_cbranch_execz .LBB75_46
	s_branch .LBB75_112
.LBB75_80:                              ;   in Loop: Header=BB75_47 Depth=1
	ds_read_b32 v9, v4 offset:40960
	s_waitcnt lgkmcnt(0)
	v_add_u32_e32 v7, v9, v7
	s_or_b64 exec, exec, s[82:83]
	s_and_saveexec_b64 s[82:83], s[8:9]
	s_cbranch_execz .LBB75_49
.LBB75_81:                              ;   in Loop: Header=BB75_47 Depth=1
	ds_read_b32 v9, v4 offset:40964
	s_waitcnt lgkmcnt(0)
	v_add_u32_e32 v7, v9, v7
	s_or_b64 exec, exec, s[82:83]
	s_and_saveexec_b64 s[82:83], s[10:11]
	s_cbranch_execz .LBB75_50
.LBB75_82:                              ;   in Loop: Header=BB75_47 Depth=1
	ds_read_b32 v9, v4 offset:40968
	s_waitcnt lgkmcnt(0)
	v_add_u32_e32 v7, v9, v7
	s_or_b64 exec, exec, s[82:83]
	s_and_saveexec_b64 s[82:83], s[12:13]
	s_cbranch_execz .LBB75_51
.LBB75_83:                              ;   in Loop: Header=BB75_47 Depth=1
	ds_read_b32 v9, v4 offset:40972
	s_waitcnt lgkmcnt(0)
	v_add_u32_e32 v7, v9, v7
	s_or_b64 exec, exec, s[82:83]
	s_and_saveexec_b64 s[82:83], s[14:15]
	s_cbranch_execz .LBB75_52
.LBB75_84:                              ;   in Loop: Header=BB75_47 Depth=1
	ds_read_b32 v9, v4 offset:40976
	s_waitcnt lgkmcnt(0)
	v_add_u32_e32 v7, v9, v7
	s_or_b64 exec, exec, s[82:83]
	s_and_saveexec_b64 s[82:83], s[16:17]
	s_cbranch_execz .LBB75_53
.LBB75_85:                              ;   in Loop: Header=BB75_47 Depth=1
	ds_read_b32 v9, v4 offset:40980
	s_waitcnt lgkmcnt(0)
	v_add_u32_e32 v7, v9, v7
	s_or_b64 exec, exec, s[82:83]
	s_and_saveexec_b64 s[82:83], s[18:19]
	s_cbranch_execz .LBB75_54
.LBB75_86:                              ;   in Loop: Header=BB75_47 Depth=1
	ds_read_b32 v9, v4 offset:40984
	s_waitcnt lgkmcnt(0)
	v_add_u32_e32 v7, v9, v7
	s_or_b64 exec, exec, s[82:83]
	s_and_saveexec_b64 s[82:83], s[20:21]
	s_cbranch_execz .LBB75_55
.LBB75_87:                              ;   in Loop: Header=BB75_47 Depth=1
	ds_read_b32 v9, v4 offset:40988
	s_waitcnt lgkmcnt(0)
	v_add_u32_e32 v7, v9, v7
	s_or_b64 exec, exec, s[82:83]
	s_and_saveexec_b64 s[82:83], s[22:23]
	s_cbranch_execz .LBB75_56
.LBB75_88:                              ;   in Loop: Header=BB75_47 Depth=1
	ds_read_b32 v9, v4 offset:40992
	s_waitcnt lgkmcnt(0)
	v_add_u32_e32 v7, v9, v7
	s_or_b64 exec, exec, s[82:83]
	s_and_saveexec_b64 s[82:83], s[24:25]
	s_cbranch_execz .LBB75_57
.LBB75_89:                              ;   in Loop: Header=BB75_47 Depth=1
	ds_read_b32 v9, v4 offset:40996
	s_waitcnt lgkmcnt(0)
	v_add_u32_e32 v7, v9, v7
	s_or_b64 exec, exec, s[82:83]
	s_and_saveexec_b64 s[82:83], s[26:27]
	s_cbranch_execz .LBB75_58
.LBB75_90:                              ;   in Loop: Header=BB75_47 Depth=1
	ds_read_b32 v9, v4 offset:41000
	s_waitcnt lgkmcnt(0)
	v_add_u32_e32 v7, v9, v7
	s_or_b64 exec, exec, s[82:83]
	s_and_saveexec_b64 s[82:83], s[28:29]
	s_cbranch_execz .LBB75_59
.LBB75_91:                              ;   in Loop: Header=BB75_47 Depth=1
	ds_read_b32 v9, v4 offset:41004
	s_waitcnt lgkmcnt(0)
	v_add_u32_e32 v7, v9, v7
	s_or_b64 exec, exec, s[82:83]
	s_and_saveexec_b64 s[82:83], s[30:31]
	s_cbranch_execz .LBB75_60
.LBB75_92:                              ;   in Loop: Header=BB75_47 Depth=1
	ds_read_b32 v9, v4 offset:41008
	s_waitcnt lgkmcnt(0)
	v_add_u32_e32 v7, v9, v7
	s_or_b64 exec, exec, s[82:83]
	s_and_saveexec_b64 s[82:83], s[34:35]
	s_cbranch_execz .LBB75_61
.LBB75_93:                              ;   in Loop: Header=BB75_47 Depth=1
	ds_read_b32 v9, v4 offset:41012
	s_waitcnt lgkmcnt(0)
	v_add_u32_e32 v7, v9, v7
	s_or_b64 exec, exec, s[82:83]
	s_and_saveexec_b64 s[82:83], s[36:37]
	s_cbranch_execz .LBB75_62
.LBB75_94:                              ;   in Loop: Header=BB75_47 Depth=1
	ds_read_b32 v9, v4 offset:41016
	s_waitcnt lgkmcnt(0)
	v_add_u32_e32 v7, v9, v7
	s_or_b64 exec, exec, s[82:83]
	s_and_saveexec_b64 s[82:83], s[38:39]
	s_cbranch_execz .LBB75_63
.LBB75_95:                              ;   in Loop: Header=BB75_47 Depth=1
	ds_read_b32 v9, v4 offset:41020
	s_waitcnt lgkmcnt(0)
	v_add_u32_e32 v7, v9, v7
	s_or_b64 exec, exec, s[82:83]
	s_and_saveexec_b64 s[82:83], s[40:41]
	s_cbranch_execz .LBB75_64
.LBB75_96:                              ;   in Loop: Header=BB75_47 Depth=1
	ds_read_b32 v9, v4 offset:41024
	s_waitcnt lgkmcnt(0)
	v_add_u32_e32 v7, v9, v7
	s_or_b64 exec, exec, s[82:83]
	s_and_saveexec_b64 s[82:83], s[42:43]
	s_cbranch_execz .LBB75_65
.LBB75_97:                              ;   in Loop: Header=BB75_47 Depth=1
	ds_read_b32 v9, v4 offset:41028
	s_waitcnt lgkmcnt(0)
	v_add_u32_e32 v7, v9, v7
	s_or_b64 exec, exec, s[82:83]
	s_and_saveexec_b64 s[82:83], s[44:45]
	s_cbranch_execz .LBB75_66
.LBB75_98:                              ;   in Loop: Header=BB75_47 Depth=1
	ds_read_b32 v9, v4 offset:41032
	s_waitcnt lgkmcnt(0)
	v_add_u32_e32 v7, v9, v7
	s_or_b64 exec, exec, s[82:83]
	s_and_saveexec_b64 s[82:83], s[46:47]
	s_cbranch_execz .LBB75_67
.LBB75_99:                              ;   in Loop: Header=BB75_47 Depth=1
	ds_read_b32 v9, v4 offset:41036
	s_waitcnt lgkmcnt(0)
	v_add_u32_e32 v7, v9, v7
	s_or_b64 exec, exec, s[82:83]
	s_and_saveexec_b64 s[82:83], s[48:49]
	s_cbranch_execz .LBB75_68
.LBB75_100:                             ;   in Loop: Header=BB75_47 Depth=1
	ds_read_b32 v9, v4 offset:41040
	s_waitcnt lgkmcnt(0)
	v_add_u32_e32 v7, v9, v7
	s_or_b64 exec, exec, s[82:83]
	s_and_saveexec_b64 s[82:83], s[50:51]
	s_cbranch_execz .LBB75_69
.LBB75_101:                             ;   in Loop: Header=BB75_47 Depth=1
	ds_read_b32 v9, v4 offset:41044
	s_waitcnt lgkmcnt(0)
	v_add_u32_e32 v7, v9, v7
	s_or_b64 exec, exec, s[82:83]
	s_and_saveexec_b64 s[82:83], s[52:53]
	s_cbranch_execz .LBB75_70
.LBB75_102:                             ;   in Loop: Header=BB75_47 Depth=1
	ds_read_b32 v9, v4 offset:41048
	s_waitcnt lgkmcnt(0)
	v_add_u32_e32 v7, v9, v7
	s_or_b64 exec, exec, s[82:83]
	s_and_saveexec_b64 s[82:83], s[54:55]
	s_cbranch_execz .LBB75_71
.LBB75_103:                             ;   in Loop: Header=BB75_47 Depth=1
	ds_read_b32 v9, v4 offset:41052
	s_waitcnt lgkmcnt(0)
	v_add_u32_e32 v7, v9, v7
	s_or_b64 exec, exec, s[82:83]
	s_and_saveexec_b64 s[82:83], s[56:57]
	s_cbranch_execz .LBB75_72
.LBB75_104:                             ;   in Loop: Header=BB75_47 Depth=1
	ds_read_b32 v9, v4 offset:41056
	s_waitcnt lgkmcnt(0)
	v_add_u32_e32 v7, v9, v7
	s_or_b64 exec, exec, s[82:83]
	s_and_saveexec_b64 s[82:83], s[58:59]
	s_cbranch_execz .LBB75_73
.LBB75_105:                             ;   in Loop: Header=BB75_47 Depth=1
	ds_read_b32 v9, v4 offset:41060
	s_waitcnt lgkmcnt(0)
	v_add_u32_e32 v7, v9, v7
	s_or_b64 exec, exec, s[82:83]
	s_and_saveexec_b64 s[82:83], s[60:61]
	s_cbranch_execz .LBB75_74
.LBB75_106:                             ;   in Loop: Header=BB75_47 Depth=1
	ds_read_b32 v9, v4 offset:41064
	s_waitcnt lgkmcnt(0)
	v_add_u32_e32 v7, v9, v7
	s_or_b64 exec, exec, s[82:83]
	s_and_saveexec_b64 s[82:83], s[62:63]
	s_cbranch_execz .LBB75_75
.LBB75_107:                             ;   in Loop: Header=BB75_47 Depth=1
	ds_read_b32 v9, v4 offset:41068
	s_waitcnt lgkmcnt(0)
	v_add_u32_e32 v7, v9, v7
	s_or_b64 exec, exec, s[82:83]
	s_and_saveexec_b64 s[82:83], s[64:65]
	s_cbranch_execz .LBB75_76
.LBB75_108:                             ;   in Loop: Header=BB75_47 Depth=1
	ds_read_b32 v9, v4 offset:41072
	s_waitcnt lgkmcnt(0)
	v_add_u32_e32 v7, v9, v7
	s_or_b64 exec, exec, s[82:83]
	s_and_saveexec_b64 s[82:83], s[66:67]
	s_cbranch_execz .LBB75_77
.LBB75_109:                             ;   in Loop: Header=BB75_47 Depth=1
	ds_read_b32 v9, v4 offset:41076
	s_waitcnt lgkmcnt(0)
	v_add_u32_e32 v7, v9, v7
	s_or_b64 exec, exec, s[82:83]
	s_and_saveexec_b64 s[82:83], s[68:69]
	s_cbranch_execz .LBB75_78
.LBB75_110:                             ;   in Loop: Header=BB75_47 Depth=1
	ds_read_b32 v9, v4 offset:41080
	s_waitcnt lgkmcnt(0)
	v_add_u32_e32 v7, v9, v7
	s_or_b64 exec, exec, s[82:83]
	s_and_saveexec_b64 s[82:83], vcc
	s_cbranch_execz .LBB75_79
.LBB75_111:                             ;   in Loop: Header=BB75_47 Depth=1
	buffer_load_dword v10, off, s[0:3], 0
	buffer_load_dword v11, off, s[0:3], 0 offset:4
	buffer_load_dword v12, off, s[0:3], 0 offset:8
	;; [unrolled: 1-line block ×3, first 2 shown]
	v_add3_u32 v9, v6, -1, v7
	v_lshl_add_u32 v14, v9, 2, 0
	v_lshl_add_u32 v9, v9, 4, 0
	v_add_u32_e32 v9, 0x2000, v9
	ds_write_b32 v14, v8
	s_waitcnt vmcnt(0)
	ds_write2_b64 v9, v[10:11], v[12:13] offset1:1
	s_or_b64 exec, exec, s[82:83]
	s_and_saveexec_b64 s[82:83], s[4:5]
	s_cbranch_execz .LBB75_46
.LBB75_112:                             ;   in Loop: Header=BB75_47 Depth=1
	ds_write_b32 v4, v7 offset:41084
	s_branch .LBB75_46
.LBB75_113:
	s_or_b64 exec, exec, s[72:73]
	s_ashr_i32 s81, s80, 31
	s_lshl_b64 s[4:5], s[80:81], 2
	s_add_u32 s4, s70, s4
	s_addc_u32 s5, s71, s5
	s_load_dwordx2 s[4:5], s[4:5], 0x0
	s_waitcnt lgkmcnt(0)
	s_sub_i32 s18, s5, s4
	v_cmp_gt_i32_e32 vcc, s18, v0
	s_and_saveexec_b64 s[6:7], vcc
	s_cbranch_execz .LBB75_128
; %bb.114:
	s_sub_i32 s10, s4, s74
	s_add_i32 s4, s18, -2
	s_lshr_b32 s5, s4, 1
	s_add_i32 s6, s5, 1
	s_cmp_gt_u32 s18, 1
	s_cselect_b64 s[12:13], -1, 0
	s_and_b32 s19, s18, -2
	s_and_b32 s8, s6, 7
	s_cmp_gt_u32 s4, 13
	s_cselect_b64 s[4:5], -1, 0
	s_and_b32 s20, s6, -8
	s_cmp_lg_u32 s8, 0
	s_cselect_b64 s[6:7], -1, 0
	v_cndmask_b32_e64 v1, 0, 1, s[4:5]
	s_cmp_lg_u32 s18, s19
	v_cmp_ne_u32_e64 s[4:5], 1, v1
	v_cndmask_b32_e64 v1, 0, 1, s[6:7]
	s_mov_b32 s11, 0
	s_cselect_b64 s[14:15], -1, 0
	s_lshl_b32 s21, s8, 3
	s_mov_b64 s[16:17], 0
	v_cmp_ne_u32_e64 s[6:7], 1, v1
	s_movk_i32 s22, 0x2000
	v_mov_b32_e32 v1, s77
	v_mov_b32_e32 v4, s79
	s_branch .LBB75_116
.LBB75_115:                             ;   in Loop: Header=BB75_116 Depth=1
	v_mul_lo_u32 v3, v0, 12
	v_add3_u32 v5, v5, v3, s22
	v_ashrrev_i32_e32 v3, 31, v2
	s_waitcnt lgkmcnt(0)
	v_add_u32_e32 v8, s74, v6
	v_lshlrev_b64 v[6:7], 2, v[2:3]
	v_add_co_u32_e32 v6, vcc, s76, v6
	v_addc_co_u32_e32 v7, vcc, v1, v7, vcc
	global_store_dword v[6:7], v8, off
	v_lshlrev_b64 v[2:3], 4, v[2:3]
	ds_read2_b64 v[6:9], v5 offset1:1
	v_add_co_u32_e32 v2, vcc, s78, v2
	v_addc_co_u32_e32 v3, vcc, v4, v3, vcc
	v_add_u32_e32 v0, 0x400, v0
	v_cmp_le_i32_e32 vcc, s18, v0
	s_or_b64 s[16:17], vcc, s[16:17]
	s_waitcnt lgkmcnt(0)
	global_store_dwordx4 v[2:3], v[6:9], off
	s_andn2_b64 exec, exec, s[16:17]
	s_cbranch_execz .LBB75_128
.LBB75_116:                             ; =>This Loop Header: Depth=1
                                        ;     Child Loop BB75_119 Depth 2
                                        ;     Child Loop BB75_124 Depth 2
	;; [unrolled: 1-line block ×3, first 2 shown]
	v_lshl_add_u32 v5, v0, 2, 0
	ds_read_b32 v6, v5
	s_and_b64 vcc, exec, s[12:13]
	s_cbranch_vccz .LBB75_121
; %bb.117:                              ;   in Loop: Header=BB75_116 Depth=1
	s_and_b64 vcc, exec, s[4:5]
	s_cbranch_vccnz .LBB75_122
; %bb.118:                              ;   in Loop: Header=BB75_116 Depth=1
	s_mov_b32 s24, 0
	v_mov_b32_e32 v2, s10
	v_mov_b32_e32 v3, 0
	s_mov_b32 s25, s20
	s_mov_b32 s23, 0
.LBB75_119:                             ;   Parent Loop BB75_116 Depth=1
                                        ; =>  This Inner Loop Header: Depth=2
	v_mov_b32_e32 v7, s24
	ds_read2_b32 v[8:9], v7 offset1:1
	ds_read2_b32 v[10:11], v7 offset0:2 offset1:3
	ds_read2_b32 v[12:13], v7 offset0:4 offset1:5
	;; [unrolled: 1-line block ×7, first 2 shown]
	s_waitcnt lgkmcnt(7)
	v_cmp_gt_i32_e32 vcc, v6, v9
	s_waitcnt lgkmcnt(5)
	v_cmp_gt_i32_e64 s[8:9], v6, v12
	v_cndmask_b32_e64 v7, 0, 1, vcc
	v_cmp_gt_i32_e32 vcc, v6, v8
	v_cndmask_b32_e64 v9, 0, 1, s[8:9]
	v_cmp_gt_i32_e64 s[8:9], v6, v13
	v_cndmask_b32_e64 v8, 0, 1, vcc
	v_cmp_gt_i32_e32 vcc, v6, v11
	v_cndmask_b32_e64 v11, 0, 1, s[8:9]
	s_waitcnt lgkmcnt(3)
	v_cmp_gt_i32_e64 s[8:9], v6, v17
	v_cndmask_b32_e64 v12, 0, 1, s[8:9]
	v_cmp_gt_i32_e64 s[8:9], v6, v16
	v_cndmask_b32_e64 v13, 0, 1, s[8:9]
	s_waitcnt lgkmcnt(1)
	v_cmp_gt_i32_e64 s[8:9], v6, v20
	v_cndmask_b32_e64 v16, 0, 1, s[8:9]
	v_cmp_gt_i32_e64 s[8:9], v6, v21
	v_cndmask_b32_e64 v17, 0, 1, s[8:9]
	v_cmp_gt_i32_e64 s[8:9], v6, v10
	v_addc_co_u32_e64 v2, s[8:9], v2, v8, s[8:9]
	v_addc_co_u32_e32 v3, vcc, v3, v7, vcc
	v_cmp_gt_i32_e32 vcc, v6, v14
	v_cmp_gt_i32_e64 s[8:9], v6, v15
	v_addc_co_u32_e64 v3, s[8:9], v3, v11, s[8:9]
	v_addc_co_u32_e32 v2, vcc, v2, v9, vcc
	v_cmp_gt_i32_e32 vcc, v6, v19
	v_cmp_gt_i32_e64 s[8:9], v6, v18
	v_addc_co_u32_e64 v2, s[8:9], v2, v13, s[8:9]
	v_addc_co_u32_e32 v3, vcc, v3, v12, vcc
	s_add_i32 s23, s23, 16
	s_add_i32 s24, s24, 64
	s_add_i32 s25, s25, -8
	s_waitcnt lgkmcnt(0)
	v_cmp_gt_i32_e32 vcc, v6, v22
	v_cmp_gt_i32_e64 s[8:9], v6, v23
	s_cmp_lg_u32 s25, 0
	v_addc_co_u32_e64 v3, s[8:9], v3, v17, s[8:9]
	v_addc_co_u32_e32 v2, vcc, v2, v16, vcc
	s_cbranch_scc1 .LBB75_119
; %bb.120:                              ;   in Loop: Header=BB75_116 Depth=1
	s_and_b64 vcc, exec, s[6:7]
	s_cbranch_vccz .LBB75_123
	s_branch .LBB75_125
.LBB75_121:                             ;   in Loop: Header=BB75_116 Depth=1
	v_mov_b32_e32 v2, s10
	s_mov_b32 s23, 0
	s_cbranch_execz .LBB75_115
	s_branch .LBB75_126
.LBB75_122:                             ;   in Loop: Header=BB75_116 Depth=1
	v_pk_mov_b32 v[2:3], s[10:11], s[10:11] op_sel:[0,1]
	s_mov_b32 s23, 0
	s_and_b64 vcc, exec, s[6:7]
	s_cbranch_vccnz .LBB75_125
.LBB75_123:                             ;   in Loop: Header=BB75_116 Depth=1
	s_lshl_b32 s8, s23, 2
	s_add_i32 s8, s8, 0
	s_mov_b32 s9, s21
.LBB75_124:                             ;   Parent Loop BB75_116 Depth=1
                                        ; =>  This Inner Loop Header: Depth=2
	v_mov_b32_e32 v7, s8
	ds_read2_b32 v[8:9], v7 offset1:1
	s_add_i32 s8, s8, 8
	s_add_i32 s9, s9, -8
	s_cmp_lg_u32 s9, 0
	s_waitcnt lgkmcnt(0)
	v_cmp_gt_i32_e32 vcc, v6, v9
	v_addc_co_u32_e32 v3, vcc, 0, v3, vcc
	v_cmp_gt_i32_e32 vcc, v6, v8
	v_addc_co_u32_e32 v2, vcc, 0, v2, vcc
	s_cbranch_scc1 .LBB75_124
.LBB75_125:                             ;   in Loop: Header=BB75_116 Depth=1
	v_add_u32_e32 v2, v2, v3
	s_mov_b32 s23, s19
	s_mov_b64 s[8:9], s[14:15]
	s_and_b64 vcc, exec, s[8:9]
	s_cbranch_vccz .LBB75_115
.LBB75_126:                             ;   in Loop: Header=BB75_116 Depth=1
	s_lshl_b32 s8, s23, 2
	s_add_i32 s8, s8, 0
.LBB75_127:                             ;   Parent Loop BB75_116 Depth=1
                                        ; =>  This Inner Loop Header: Depth=2
	v_mov_b32_e32 v3, s8
	ds_read_b32 v3, v3
	s_add_i32 s23, s23, 1
	s_add_i32 s8, s8, 4
	s_cmp_ge_i32 s23, s18
	s_waitcnt lgkmcnt(0)
	v_cmp_gt_i32_e32 vcc, v6, v3
	v_addc_co_u32_e32 v2, vcc, 0, v2, vcc
	s_cbranch_scc0 .LBB75_127
	s_branch .LBB75_115
.LBB75_128:
	s_endpgm
	.section	.rodata,"a",@progbits
	.p2align	6, 0x0
	.amdhsa_kernel _ZN9rocsparseL26csrgemm_fill_block_per_rowILj1024ELj32ELj2048ELj137ELj32Eii21rocsparse_complex_numIdEEEvT5_PKS3_S5_NS_24const_host_device_scalarIT6_EEPKT4_S5_PKS7_SB_S5_SD_S8_SB_S5_SD_SB_PS3_PS7_21rocsparse_index_base_SG_SG_SG_bbb
		.amdhsa_group_segment_fixed_size 0
		.amdhsa_private_segment_fixed_size 40
		.amdhsa_kernarg_size 172
		.amdhsa_user_sgpr_count 8
		.amdhsa_user_sgpr_private_segment_buffer 1
		.amdhsa_user_sgpr_dispatch_ptr 0
		.amdhsa_user_sgpr_queue_ptr 0
		.amdhsa_user_sgpr_kernarg_segment_ptr 1
		.amdhsa_user_sgpr_dispatch_id 0
		.amdhsa_user_sgpr_flat_scratch_init 1
		.amdhsa_user_sgpr_kernarg_preload_length 0
		.amdhsa_user_sgpr_kernarg_preload_offset 0
		.amdhsa_user_sgpr_private_segment_size 0
		.amdhsa_uses_dynamic_stack 0
		.amdhsa_system_sgpr_private_segment_wavefront_offset 1
		.amdhsa_system_sgpr_workgroup_id_x 1
		.amdhsa_system_sgpr_workgroup_id_y 0
		.amdhsa_system_sgpr_workgroup_id_z 0
		.amdhsa_system_sgpr_workgroup_info 0
		.amdhsa_system_vgpr_workitem_id 0
		.amdhsa_next_free_vgpr 34
		.amdhsa_next_free_sgpr 84
		.amdhsa_accum_offset 36
		.amdhsa_reserve_vcc 1
		.amdhsa_reserve_flat_scratch 1
		.amdhsa_float_round_mode_32 0
		.amdhsa_float_round_mode_16_64 0
		.amdhsa_float_denorm_mode_32 3
		.amdhsa_float_denorm_mode_16_64 3
		.amdhsa_dx10_clamp 1
		.amdhsa_ieee_mode 1
		.amdhsa_fp16_overflow 0
		.amdhsa_tg_split 0
		.amdhsa_exception_fp_ieee_invalid_op 0
		.amdhsa_exception_fp_denorm_src 0
		.amdhsa_exception_fp_ieee_div_zero 0
		.amdhsa_exception_fp_ieee_overflow 0
		.amdhsa_exception_fp_ieee_underflow 0
		.amdhsa_exception_fp_ieee_inexact 0
		.amdhsa_exception_int_div_zero 0
	.end_amdhsa_kernel
	.section	.text._ZN9rocsparseL26csrgemm_fill_block_per_rowILj1024ELj32ELj2048ELj137ELj32Eii21rocsparse_complex_numIdEEEvT5_PKS3_S5_NS_24const_host_device_scalarIT6_EEPKT4_S5_PKS7_SB_S5_SD_S8_SB_S5_SD_SB_PS3_PS7_21rocsparse_index_base_SG_SG_SG_bbb,"axG",@progbits,_ZN9rocsparseL26csrgemm_fill_block_per_rowILj1024ELj32ELj2048ELj137ELj32Eii21rocsparse_complex_numIdEEEvT5_PKS3_S5_NS_24const_host_device_scalarIT6_EEPKT4_S5_PKS7_SB_S5_SD_S8_SB_S5_SD_SB_PS3_PS7_21rocsparse_index_base_SG_SG_SG_bbb,comdat
.Lfunc_end75:
	.size	_ZN9rocsparseL26csrgemm_fill_block_per_rowILj1024ELj32ELj2048ELj137ELj32Eii21rocsparse_complex_numIdEEEvT5_PKS3_S5_NS_24const_host_device_scalarIT6_EEPKT4_S5_PKS7_SB_S5_SD_S8_SB_S5_SD_SB_PS3_PS7_21rocsparse_index_base_SG_SG_SG_bbb, .Lfunc_end75-_ZN9rocsparseL26csrgemm_fill_block_per_rowILj1024ELj32ELj2048ELj137ELj32Eii21rocsparse_complex_numIdEEEvT5_PKS3_S5_NS_24const_host_device_scalarIT6_EEPKT4_S5_PKS7_SB_S5_SD_S8_SB_S5_SD_SB_PS3_PS7_21rocsparse_index_base_SG_SG_SG_bbb
                                        ; -- End function
	.section	.AMDGPU.csdata,"",@progbits
; Kernel info:
; codeLenInByte = 4520
; NumSgprs: 90
; NumVgprs: 34
; NumAgprs: 0
; TotalNumVgprs: 34
; ScratchSize: 40
; MemoryBound: 0
; FloatMode: 240
; IeeeMode: 1
; LDSByteSize: 0 bytes/workgroup (compile time only)
; SGPRBlocks: 11
; VGPRBlocks: 4
; NumSGPRsForWavesPerEU: 90
; NumVGPRsForWavesPerEU: 34
; AccumOffset: 36
; Occupancy: 8
; WaveLimiterHint : 1
; COMPUTE_PGM_RSRC2:SCRATCH_EN: 1
; COMPUTE_PGM_RSRC2:USER_SGPR: 8
; COMPUTE_PGM_RSRC2:TRAP_HANDLER: 0
; COMPUTE_PGM_RSRC2:TGID_X_EN: 1
; COMPUTE_PGM_RSRC2:TGID_Y_EN: 0
; COMPUTE_PGM_RSRC2:TGID_Z_EN: 0
; COMPUTE_PGM_RSRC2:TIDIG_COMP_CNT: 0
; COMPUTE_PGM_RSRC3_GFX90A:ACCUM_OFFSET: 8
; COMPUTE_PGM_RSRC3_GFX90A:TG_SPLIT: 0
	.section	.text._ZN9rocsparseL26csrgemm_fill_block_per_rowILj1024ELj32ELj2048ELj137ELj64Eii21rocsparse_complex_numIdEEEvT5_PKS3_S5_NS_24const_host_device_scalarIT6_EEPKT4_S5_PKS7_SB_S5_SD_S8_SB_S5_SD_SB_PS3_PS7_21rocsparse_index_base_SG_SG_SG_bbb,"axG",@progbits,_ZN9rocsparseL26csrgemm_fill_block_per_rowILj1024ELj32ELj2048ELj137ELj64Eii21rocsparse_complex_numIdEEEvT5_PKS3_S5_NS_24const_host_device_scalarIT6_EEPKT4_S5_PKS7_SB_S5_SD_S8_SB_S5_SD_SB_PS3_PS7_21rocsparse_index_base_SG_SG_SG_bbb,comdat
	.globl	_ZN9rocsparseL26csrgemm_fill_block_per_rowILj1024ELj32ELj2048ELj137ELj64Eii21rocsparse_complex_numIdEEEvT5_PKS3_S5_NS_24const_host_device_scalarIT6_EEPKT4_S5_PKS7_SB_S5_SD_S8_SB_S5_SD_SB_PS3_PS7_21rocsparse_index_base_SG_SG_SG_bbb ; -- Begin function _ZN9rocsparseL26csrgemm_fill_block_per_rowILj1024ELj32ELj2048ELj137ELj64Eii21rocsparse_complex_numIdEEEvT5_PKS3_S5_NS_24const_host_device_scalarIT6_EEPKT4_S5_PKS7_SB_S5_SD_S8_SB_S5_SD_SB_PS3_PS7_21rocsparse_index_base_SG_SG_SG_bbb
	.p2align	8
	.type	_ZN9rocsparseL26csrgemm_fill_block_per_rowILj1024ELj32ELj2048ELj137ELj64Eii21rocsparse_complex_numIdEEEvT5_PKS3_S5_NS_24const_host_device_scalarIT6_EEPKT4_S5_PKS7_SB_S5_SD_S8_SB_S5_SD_SB_PS3_PS7_21rocsparse_index_base_SG_SG_SG_bbb,@function
_ZN9rocsparseL26csrgemm_fill_block_per_rowILj1024ELj32ELj2048ELj137ELj64Eii21rocsparse_complex_numIdEEEvT5_PKS3_S5_NS_24const_host_device_scalarIT6_EEPKT4_S5_PKS7_SB_S5_SD_S8_SB_S5_SD_SB_PS3_PS7_21rocsparse_index_base_SG_SG_SG_bbb: ; @_ZN9rocsparseL26csrgemm_fill_block_per_rowILj1024ELj32ELj2048ELj137ELj64Eii21rocsparse_complex_numIdEEEvT5_PKS3_S5_NS_24const_host_device_scalarIT6_EEPKT4_S5_PKS7_SB_S5_SD_S8_SB_S5_SD_SB_PS3_PS7_21rocsparse_index_base_SG_SG_SG_bbb
; %bb.0:
	s_add_u32 flat_scratch_lo, s6, s9
	s_addc_u32 flat_scratch_hi, s7, 0
	s_load_dwordx4 s[12:15], s[4:5], 0x18
	s_load_dwordx4 s[28:31], s[4:5], 0x58
	s_add_u32 s0, s0, s9
	s_load_dword s9, s[4:5], 0xa8
	s_load_dwordx4 s[44:47], s[4:5], 0x98
	s_addc_u32 s1, s1, 0
	s_waitcnt lgkmcnt(0)
	v_mov_b32_e32 v1, s13
	buffer_store_dword v1, off, s[0:3], 0 offset:20
	s_bitcmp1_b32 s9, 0
	s_cselect_b64 s[54:55], -1, 0
	s_bitcmp1_b32 s9, 16
	v_mov_b32_e32 v1, s12
	s_cselect_b64 s[6:7], -1, 0
	buffer_store_dword v1, off, s[0:3], 0 offset:16
	v_mov_b32_e32 v1, s29
	buffer_store_dword v1, off, s[0:3], 0 offset:28
	v_mov_b32_e32 v1, s28
	s_xor_b64 s[10:11], s[6:7], -1
	buffer_store_dword v1, off, s[0:3], 0 offset:24
	v_pk_mov_b32 v[2:3], 0, 0
	v_cndmask_b32_e64 v1, 0, 1, s[10:11]
	s_bitcmp0_b32 s9, 0
	v_cmp_ne_u32_e64 s[10:11], 1, v1
	v_pk_mov_b32 v[6:7], v[2:3], v[2:3] op_sel:[0,1]
	v_pk_mov_b32 v[8:9], v[2:3], v[2:3] op_sel:[0,1]
	s_cbranch_scc1 .LBB76_3
; %bb.1:
	s_mov_b64 s[16:17], src_private_base
	s_and_b64 s[18:19], s[6:7], exec
	s_cselect_b32 s16, s17, s13
	v_mov_b32_e32 v1, 16
	v_mov_b32_e32 v4, s12
	v_cndmask_b32_e64 v4, v4, v1, s[6:7]
	v_mov_b32_e32 v5, s16
	flat_load_dwordx2 v[6:7], v[4:5]
	s_and_b64 vcc, exec, s[10:11]
	v_pk_mov_b32 v[8:9], s[14:15], s[14:15] op_sel:[0,1]
	s_cbranch_vccnz .LBB76_3
; %bb.2:
	v_pk_mov_b32 v[4:5], s[12:13], s[12:13] op_sel:[0,1]
	flat_load_dwordx2 v[8:9], v[4:5] offset:8
.LBB76_3:
	s_load_dwordx4 s[48:51], s[4:5], 0x88
	s_load_dwordx8 s[36:43], s[4:5], 0x68
	s_load_dwordx4 s[20:23], s[4:5], 0x48
	s_load_dwordx4 s[24:27], s[4:5], 0x8
	s_load_dwordx8 s[12:19], s[4:5], 0x28
	s_bitcmp1_b32 s9, 8
	s_cselect_b64 s[34:35], -1, 0
	s_bfe_u32 s9, s9, 0x10008
	s_mov_b64 s[52:53], 0
	s_cmp_eq_u32 s9, 0
	v_pk_mov_b32 v[4:5], v[2:3], v[2:3] op_sel:[0,1]
	s_cbranch_scc1 .LBB76_6
; %bb.4:
	s_mov_b64 s[56:57], src_private_base
	s_and_b64 s[58:59], s[6:7], exec
	s_cselect_b32 s9, s57, s29
	v_mov_b32_e32 v1, 24
	v_mov_b32_e32 v2, s28
	v_cndmask_b32_e64 v2, v2, v1, s[6:7]
	v_mov_b32_e32 v3, s9
	flat_load_dwordx2 v[4:5], v[2:3]
	s_and_b64 vcc, exec, s[10:11]
	v_pk_mov_b32 v[2:3], s[30:31], s[30:31] op_sel:[0,1]
	s_cbranch_vccnz .LBB76_6
; %bb.5:
	v_pk_mov_b32 v[2:3], s[28:29], s[28:29] op_sel:[0,1]
	flat_load_dwordx2 v[2:3], v[2:3] offset:8
.LBB76_6:
	s_load_dword s33, s[4:5], 0x0
	s_mov_b32 s4, 0
	v_lshl_add_u32 v1, v0, 4, 0
	v_add_u32_e32 v1, 0x2000, v1
	v_or_b32_e32 v23, 0xfffffc00, v0
	v_lshl_add_u32 v24, v0, 2, 0
	s_mov_b32 s5, s4
	s_mov_b32 s6, s4
	;; [unrolled: 1-line block ×3, first 2 shown]
	s_waitcnt lgkmcnt(0)
	v_mov_b32_e32 v14, s33
	v_pk_mov_b32 v[10:11], s[4:5], s[4:5] op_sel:[0,1]
	v_pk_mov_b32 v[12:13], s[6:7], s[6:7] op_sel:[0,1]
	v_mov_b32_e32 v15, v24
	v_mov_b32_e32 v16, v23
	;; [unrolled: 1-line block ×3, first 2 shown]
.LBB76_7:                               ; =>This Inner Loop Header: Depth=1
	v_add_co_u32_e32 v16, vcc, 0x400, v16
	s_xor_b64 s[4:5], vcc, -1
	s_and_b64 s[4:5], exec, s[4:5]
	ds_write_b32 v15, v14
	ds_write2_b64 v17, v[10:11], v[12:13] offset1:1
	v_add_u32_e32 v17, 0x4000, v17
	s_or_b64 s[52:53], s[4:5], s[52:53]
	v_add_u32_e32 v15, 0x1000, v15
	s_andn2_b64 exec, exec, s[52:53]
	s_cbranch_execnz .LBB76_7
; %bb.8:
	s_or_b64 exec, exec, s[52:53]
	s_waitcnt lgkmcnt(0)
	s_barrier
	s_load_dword s4, s[24:25], 0x0
	s_mov_b32 s5, 0
	s_waitcnt lgkmcnt(0)
	s_add_i32 s4, s4, s8
	s_lshl_b64 s[4:5], s[4:5], 2
	s_add_u32 s4, s26, s4
	s_addc_u32 s5, s27, s5
	s_load_dword s52, s[4:5], 0x0
	s_and_b64 vcc, exec, s[54:55]
	s_cbranch_vccz .LBB76_28
; %bb.9:
	s_waitcnt lgkmcnt(0)
	s_ashr_i32 s53, s52, 31
	s_lshl_b64 s[4:5], s[52:53], 2
	s_add_u32 s4, s12, s4
	s_addc_u32 s5, s13, s5
	s_load_dwordx2 s[4:5], s[4:5], 0x0
	v_lshrrev_b32_e32 v10, 5, v0
	v_subrev_u32_e32 v10, s44, v10
	s_waitcnt lgkmcnt(0)
	s_sub_i32 s53, s5, s44
	v_add_u32_e32 v10, s4, v10
	v_cmp_gt_i32_e32 vcc, s53, v10
	s_and_saveexec_b64 s[4:5], vcc
	s_cbranch_execz .LBB76_27
; %bb.10:
	v_and_b32_e32 v11, 31, v0
	v_subrev_u32_e32 v25, s45, v11
	s_mov_b64 s[6:7], 0
	v_mov_b32_e32 v26, s15
	v_mov_b32_e32 v27, s19
	s_movk_i32 s15, 0x89
	s_branch .LBB76_12
.LBB76_11:                              ;   in Loop: Header=BB76_12 Depth=1
	s_or_b64 exec, exec, s[8:9]
	v_add_u32_e32 v10, 32, v10
	v_cmp_le_i32_e32 vcc, s53, v10
	s_or_b64 s[6:7], vcc, s[6:7]
	s_andn2_b64 exec, exec, s[6:7]
	s_cbranch_execz .LBB76_27
.LBB76_12:                              ; =>This Loop Header: Depth=1
                                        ;     Child Loop BB76_15 Depth 2
                                        ;       Child Loop BB76_17 Depth 3
	v_ashrrev_i32_e32 v11, 31, v10
	v_lshlrev_b64 v[12:13], 2, v[10:11]
	v_add_co_u32_e32 v12, vcc, s14, v12
	v_addc_co_u32_e32 v13, vcc, v26, v13, vcc
	global_load_dword v12, v[12:13], off
	s_waitcnt vmcnt(0)
	v_subrev_u32_e32 v12, s44, v12
	v_ashrrev_i32_e32 v13, 31, v12
	v_lshlrev_b64 v[12:13], 2, v[12:13]
	v_add_co_u32_e32 v12, vcc, s18, v12
	v_addc_co_u32_e32 v13, vcc, v27, v13, vcc
	global_load_dwordx2 v[12:13], v[12:13], off
	s_waitcnt vmcnt(0)
	v_subrev_u32_e32 v28, s45, v13
	v_add_u32_e32 v12, v12, v25
	v_cmp_lt_i32_e32 vcc, v12, v28
	s_and_saveexec_b64 s[8:9], vcc
	s_cbranch_execz .LBB76_11
; %bb.13:                               ;   in Loop: Header=BB76_12 Depth=1
	v_lshlrev_b64 v[14:15], 4, v[10:11]
	v_mov_b32_e32 v11, s17
	v_add_co_u32_e32 v14, vcc, s16, v14
	v_addc_co_u32_e32 v15, vcc, v11, v15, vcc
	global_load_dwordx4 v[18:21], v[14:15], off
	s_mov_b64 s[10:11], 0
	s_waitcnt vmcnt(0)
	v_mul_f64 v[14:15], v[20:21], -v[8:9]
	v_mul_f64 v[16:17], v[6:7], v[20:21]
	v_fmac_f64_e32 v[14:15], v[6:7], v[18:19]
	v_fmac_f64_e32 v[16:17], v[8:9], v[18:19]
	s_branch .LBB76_15
.LBB76_14:                              ;   in Loop: Header=BB76_15 Depth=2
	s_or_b64 exec, exec, s[12:13]
	v_add_u32_e32 v12, 32, v12
	v_cmp_ge_i32_e32 vcc, v12, v28
	s_or_b64 s[10:11], vcc, s[10:11]
	s_andn2_b64 exec, exec, s[10:11]
	s_cbranch_execz .LBB76_11
.LBB76_15:                              ;   Parent Loop BB76_12 Depth=1
                                        ; =>  This Loop Header: Depth=2
                                        ;       Child Loop BB76_17 Depth 3
	v_ashrrev_i32_e32 v13, 31, v12
	v_lshlrev_b64 v[18:19], 2, v[12:13]
	v_mov_b32_e32 v11, s21
	v_add_co_u32_e32 v18, vcc, s20, v18
	v_addc_co_u32_e32 v19, vcc, v11, v19, vcc
	global_load_dword v11, v[18:19], off
	v_lshlrev_b64 v[18:19], 4, v[12:13]
	v_mov_b32_e32 v13, s23
	v_add_co_u32_e32 v18, vcc, s22, v18
	v_addc_co_u32_e32 v19, vcc, v13, v19, vcc
	global_load_dwordx4 v[30:33], v[18:19], off
	s_mov_b64 s[12:13], 0
	s_waitcnt vmcnt(1)
	v_subrev_u32_e32 v11, s45, v11
	v_mul_lo_u32 v13, v11, s15
	v_and_b32_e32 v13, 0x7ff, v13
	s_waitcnt vmcnt(0)
	v_mul_f64 v[18:19], v[32:33], -v[16:17]
	v_mul_f64 v[20:21], v[14:15], v[32:33]
	v_fmac_f64_e32 v[18:19], v[14:15], v[30:31]
	v_fmac_f64_e32 v[20:21], v[16:17], v[30:31]
	s_branch .LBB76_17
.LBB76_16:                              ;   in Loop: Header=BB76_17 Depth=3
	s_or_b64 exec, exec, s[24:25]
	s_xor_b64 s[24:25], s[26:27], -1
	s_and_b64 s[24:25], exec, s[24:25]
	s_or_b64 s[12:13], s[24:25], s[12:13]
	s_andn2_b64 exec, exec, s[12:13]
	s_cbranch_execz .LBB76_14
.LBB76_17:                              ;   Parent Loop BB76_12 Depth=1
                                        ;     Parent Loop BB76_15 Depth=2
                                        ; =>    This Inner Loop Header: Depth=3
	v_lshl_add_u32 v22, v13, 2, 0
	ds_read_b32 v29, v22
                                        ; implicit-def: $sgpr26_sgpr27
	s_waitcnt lgkmcnt(0)
	v_cmp_ne_u32_e32 vcc, v29, v11
	s_and_saveexec_b64 s[24:25], vcc
	s_xor_b64 s[24:25], exec, s[24:25]
	s_cbranch_execz .LBB76_25
; %bb.18:                               ;   in Loop: Header=BB76_17 Depth=3
	v_cmp_ne_u32_e32 vcc, s33, v29
                                        ; implicit-def: $sgpr26_sgpr27
	s_and_saveexec_b64 s[28:29], vcc
	s_xor_b64 s[28:29], exec, s[28:29]
; %bb.19:                               ;   in Loop: Header=BB76_17 Depth=3
	v_add_u32_e32 v13, 1, v13
	v_and_b32_e32 v13, 0x7ff, v13
	s_mov_b64 s[26:27], -1
                                        ; implicit-def: $vgpr22
; %bb.20:                               ;   in Loop: Header=BB76_17 Depth=3
	s_andn2_saveexec_b64 s[28:29], s[28:29]
	s_cbranch_execz .LBB76_24
; %bb.21:                               ;   in Loop: Header=BB76_17 Depth=3
	v_mov_b32_e32 v29, s33
	ds_cmpst_rtn_b32 v29, v22, v29, v11
	s_mov_b64 s[54:55], -1
	s_waitcnt lgkmcnt(0)
	v_cmp_eq_u32_e32 vcc, s33, v29
	s_and_saveexec_b64 s[30:31], vcc
	s_cbranch_execz .LBB76_23
; %bb.22:                               ;   in Loop: Header=BB76_17 Depth=3
	v_mad_u64_u32 v[30:31], s[54:55], v13, 12, v[22:23]
	ds_add_f64 v30, v[18:19] offset:8192
	ds_add_f64 v30, v[20:21] offset:8200
	s_xor_b64 s[54:55], exec, -1
.LBB76_23:                              ;   in Loop: Header=BB76_17 Depth=3
	s_or_b64 exec, exec, s[30:31]
	s_andn2_b64 s[26:27], s[26:27], exec
	s_and_b64 s[30:31], s[54:55], exec
	s_or_b64 s[26:27], s[26:27], s[30:31]
.LBB76_24:                              ;   in Loop: Header=BB76_17 Depth=3
	s_or_b64 exec, exec, s[28:29]
	s_and_b64 s[26:27], s[26:27], exec
                                        ; implicit-def: $vgpr22
.LBB76_25:                              ;   in Loop: Header=BB76_17 Depth=3
	s_andn2_saveexec_b64 s[24:25], s[24:25]
	s_cbranch_execz .LBB76_16
; %bb.26:                               ;   in Loop: Header=BB76_17 Depth=3
	v_mad_u64_u32 v[30:31], s[28:29], v13, 12, v[22:23]
	ds_add_f64 v30, v[18:19] offset:8192
	ds_add_f64 v30, v[20:21] offset:8200
	s_andn2_b64 s[26:27], s[26:27], exec
	s_branch .LBB76_16
.LBB76_27:
	s_or_b64 exec, exec, s[4:5]
.LBB76_28:
	s_andn2_b64 vcc, exec, s[34:35]
	s_cbranch_vccnz .LBB76_45
; %bb.29:
	s_waitcnt lgkmcnt(0)
	s_ashr_i32 s53, s52, 31
	s_lshl_b64 s[4:5], s[52:53], 2
	s_add_u32 s4, s36, s4
	s_addc_u32 s5, s37, s5
	s_load_dwordx2 s[4:5], s[4:5], 0x0
	s_waitcnt vmcnt(0)
	v_subrev_u32_e32 v6, s47, v0
	s_waitcnt lgkmcnt(0)
	s_sub_i32 s20, s5, s47
	v_add_u32_e32 v6, s4, v6
	v_cmp_gt_i32_e32 vcc, s20, v6
	s_and_saveexec_b64 s[4:5], vcc
	s_cbranch_execz .LBB76_44
; %bb.30:
	s_mov_b64 s[6:7], 0
	v_mov_b32_e32 v13, s39
	v_mov_b32_e32 v14, s41
	s_movk_i32 s21, 0x89
	s_branch .LBB76_32
.LBB76_31:                              ;   in Loop: Header=BB76_32 Depth=1
	s_or_b64 exec, exec, s[8:9]
	v_add_u32_e32 v6, 0x400, v6
	v_cmp_le_i32_e32 vcc, s20, v6
	s_or_b64 s[6:7], vcc, s[6:7]
	s_andn2_b64 exec, exec, s[6:7]
	s_cbranch_execz .LBB76_44
.LBB76_32:                              ; =>This Loop Header: Depth=1
                                        ;     Child Loop BB76_34 Depth 2
	v_ashrrev_i32_e32 v7, 31, v6
	v_lshlrev_b64 v[8:9], 2, v[6:7]
	v_add_co_u32_e32 v8, vcc, s38, v8
	v_addc_co_u32_e32 v9, vcc, v13, v9, vcc
	global_load_dword v10, v[8:9], off
	v_lshlrev_b64 v[8:9], 4, v[6:7]
	v_add_co_u32_e32 v8, vcc, s40, v8
	v_addc_co_u32_e32 v9, vcc, v14, v9, vcc
	global_load_dwordx4 v[16:19], v[8:9], off
	s_mov_b64 s[8:9], 0
	s_waitcnt vmcnt(1)
	v_subrev_u32_e32 v7, s47, v10
	v_mul_lo_u32 v12, v7, s21
	v_and_b32_e32 v15, 0x7ff, v12
	s_waitcnt vmcnt(0)
	v_mul_f64 v[8:9], v[18:19], -v[2:3]
	v_mul_f64 v[10:11], v[4:5], v[18:19]
	v_fmac_f64_e32 v[8:9], v[4:5], v[16:17]
	v_fmac_f64_e32 v[10:11], v[2:3], v[16:17]
	s_branch .LBB76_34
.LBB76_33:                              ;   in Loop: Header=BB76_34 Depth=2
	s_or_b64 exec, exec, s[10:11]
	s_xor_b64 s[10:11], s[12:13], -1
	s_and_b64 s[10:11], exec, s[10:11]
	s_or_b64 s[8:9], s[10:11], s[8:9]
	s_andn2_b64 exec, exec, s[8:9]
	s_cbranch_execz .LBB76_31
.LBB76_34:                              ;   Parent Loop BB76_32 Depth=1
                                        ; =>  This Inner Loop Header: Depth=2
	v_lshl_add_u32 v12, v15, 2, 0
	ds_read_b32 v16, v12
                                        ; implicit-def: $sgpr12_sgpr13
	s_waitcnt lgkmcnt(0)
	v_cmp_ne_u32_e32 vcc, v16, v7
	s_and_saveexec_b64 s[10:11], vcc
	s_xor_b64 s[10:11], exec, s[10:11]
	s_cbranch_execz .LBB76_42
; %bb.35:                               ;   in Loop: Header=BB76_34 Depth=2
	v_cmp_ne_u32_e32 vcc, s33, v16
                                        ; implicit-def: $sgpr12_sgpr13
	s_and_saveexec_b64 s[14:15], vcc
	s_xor_b64 s[14:15], exec, s[14:15]
; %bb.36:                               ;   in Loop: Header=BB76_34 Depth=2
	v_add_u32_e32 v12, 1, v15
	v_and_b32_e32 v15, 0x7ff, v12
	s_mov_b64 s[12:13], -1
                                        ; implicit-def: $vgpr12
; %bb.37:                               ;   in Loop: Header=BB76_34 Depth=2
	s_andn2_saveexec_b64 s[14:15], s[14:15]
	s_cbranch_execz .LBB76_41
; %bb.38:                               ;   in Loop: Header=BB76_34 Depth=2
	v_mov_b32_e32 v16, s33
	ds_cmpst_rtn_b32 v16, v12, v16, v7
	s_mov_b64 s[18:19], -1
	s_waitcnt lgkmcnt(0)
	v_cmp_eq_u32_e32 vcc, s33, v16
	s_and_saveexec_b64 s[16:17], vcc
	s_cbranch_execz .LBB76_40
; %bb.39:                               ;   in Loop: Header=BB76_34 Depth=2
	v_mad_u64_u32 v[16:17], s[18:19], v15, 12, v[12:13]
	ds_add_f64 v16, v[8:9] offset:8192
	ds_add_f64 v16, v[10:11] offset:8200
	s_xor_b64 s[18:19], exec, -1
.LBB76_40:                              ;   in Loop: Header=BB76_34 Depth=2
	s_or_b64 exec, exec, s[16:17]
	s_andn2_b64 s[12:13], s[12:13], exec
	s_and_b64 s[16:17], s[18:19], exec
	s_or_b64 s[12:13], s[12:13], s[16:17]
.LBB76_41:                              ;   in Loop: Header=BB76_34 Depth=2
	s_or_b64 exec, exec, s[14:15]
	s_and_b64 s[12:13], s[12:13], exec
                                        ; implicit-def: $vgpr12
.LBB76_42:                              ;   in Loop: Header=BB76_34 Depth=2
	s_andn2_saveexec_b64 s[10:11], s[10:11]
	s_cbranch_execz .LBB76_33
; %bb.43:                               ;   in Loop: Header=BB76_34 Depth=2
	v_mad_u64_u32 v[16:17], s[14:15], v15, 12, v[12:13]
	ds_add_f64 v16, v[8:9] offset:8192
	ds_add_f64 v16, v[10:11] offset:8200
	s_andn2_b64 s[12:13], s[12:13], exec
	s_branch .LBB76_33
.LBB76_44:
	s_or_b64 exec, exec, s[4:5]
.LBB76_45:
	s_waitcnt vmcnt(0)
	v_mbcnt_lo_u32_b32 v2, -1, 0
	v_mbcnt_hi_u32_b32 v2, -1, v2
	v_lshrrev_b32_e32 v5, 4, v0
	v_sub_u32_e32 v2, 63, v2
	v_and_b32_e32 v5, 60, v5
	s_movk_i32 s4, 0x3ff
	s_movk_i32 s8, 0x7f
	;; [unrolled: 1-line block ×15, first 2 shown]
	v_mov_b32_e32 v4, 0
	v_lshrrev_b64 v[2:3], v2, -1
	v_add_u32_e32 v5, 0, v5
	v_cmp_eq_u32_e64 s[4:5], s4, v0
	v_cmp_lt_u32_e64 s[6:7], 63, v0
	v_cmp_lt_u32_e64 s[8:9], s8, v0
	;; [unrolled: 1-line block ×15, first 2 shown]
	s_mov_b64 s[38:39], 0
	v_mov_b32_e32 v6, 0
	s_waitcnt lgkmcnt(0)
	s_barrier
	s_branch .LBB76_47
.LBB76_46:                              ;   in Loop: Header=BB76_47 Depth=1
	s_or_b64 exec, exec, s[40:41]
	s_waitcnt lgkmcnt(0)
	s_barrier
	ds_read_b32 v7, v4 offset:41020
	v_add_co_u32_e32 v23, vcc, 0x400, v23
	s_xor_b64 s[40:41], vcc, -1
	s_and_b64 s[40:41], exec, s[40:41]
	v_add_u32_e32 v1, 0x4000, v1
	s_waitcnt lgkmcnt(0)
	v_add_u32_e32 v6, v7, v6
	s_or_b64 s[38:39], s[40:41], s[38:39]
	v_add_u32_e32 v24, 0x1000, v24
	s_andn2_b64 exec, exec, s[38:39]
	s_cbranch_execz .LBB76_81
.LBB76_47:                              ; =>This Inner Loop Header: Depth=1
	ds_read2_b64 v[10:13], v1 offset1:1
	ds_read_b32 v8, v24
	s_waitcnt lgkmcnt(1)
	buffer_store_dword v13, off, s[0:3], 0 offset:12
	buffer_store_dword v12, off, s[0:3], 0 offset:8
	;; [unrolled: 1-line block ×3, first 2 shown]
	buffer_store_dword v10, off, s[0:3], 0
	s_waitcnt lgkmcnt(0)
	v_cmp_gt_i32_e32 vcc, s33, v8
	v_and_b32_e32 v9, vcc_lo, v2
	s_bcnt1_i32_b64 s40, vcc
	v_and_b32_e32 v7, vcc_hi, v3
	v_bcnt_u32_b32 v9, v9, 0
	v_bcnt_u32_b32 v7, v7, v9
	v_mov_b32_e32 v9, s40
	s_barrier
	ds_write_b32 v5, v9 offset:40960
	s_waitcnt lgkmcnt(0)
	s_barrier
	s_and_saveexec_b64 s[40:41], s[6:7]
	s_cbranch_execnz .LBB76_64
; %bb.48:                               ;   in Loop: Header=BB76_47 Depth=1
	s_or_b64 exec, exec, s[40:41]
	s_and_saveexec_b64 s[40:41], s[8:9]
	s_cbranch_execnz .LBB76_65
.LBB76_49:                              ;   in Loop: Header=BB76_47 Depth=1
	s_or_b64 exec, exec, s[40:41]
	s_and_saveexec_b64 s[40:41], s[10:11]
	s_cbranch_execnz .LBB76_66
.LBB76_50:                              ;   in Loop: Header=BB76_47 Depth=1
	s_or_b64 exec, exec, s[40:41]
	s_and_saveexec_b64 s[40:41], s[12:13]
	s_cbranch_execnz .LBB76_67
.LBB76_51:                              ;   in Loop: Header=BB76_47 Depth=1
	s_or_b64 exec, exec, s[40:41]
	s_and_saveexec_b64 s[40:41], s[14:15]
	s_cbranch_execnz .LBB76_68
.LBB76_52:                              ;   in Loop: Header=BB76_47 Depth=1
	s_or_b64 exec, exec, s[40:41]
	s_and_saveexec_b64 s[40:41], s[16:17]
	s_cbranch_execnz .LBB76_69
.LBB76_53:                              ;   in Loop: Header=BB76_47 Depth=1
	s_or_b64 exec, exec, s[40:41]
	s_and_saveexec_b64 s[40:41], s[18:19]
	s_cbranch_execnz .LBB76_70
.LBB76_54:                              ;   in Loop: Header=BB76_47 Depth=1
	s_or_b64 exec, exec, s[40:41]
	s_and_saveexec_b64 s[40:41], s[20:21]
	s_cbranch_execnz .LBB76_71
.LBB76_55:                              ;   in Loop: Header=BB76_47 Depth=1
	s_or_b64 exec, exec, s[40:41]
	s_and_saveexec_b64 s[40:41], s[22:23]
	s_cbranch_execnz .LBB76_72
.LBB76_56:                              ;   in Loop: Header=BB76_47 Depth=1
	s_or_b64 exec, exec, s[40:41]
	s_and_saveexec_b64 s[40:41], s[24:25]
	s_cbranch_execnz .LBB76_73
.LBB76_57:                              ;   in Loop: Header=BB76_47 Depth=1
	s_or_b64 exec, exec, s[40:41]
	s_and_saveexec_b64 s[40:41], s[26:27]
	s_cbranch_execnz .LBB76_74
.LBB76_58:                              ;   in Loop: Header=BB76_47 Depth=1
	s_or_b64 exec, exec, s[40:41]
	s_and_saveexec_b64 s[40:41], s[28:29]
	s_cbranch_execnz .LBB76_75
.LBB76_59:                              ;   in Loop: Header=BB76_47 Depth=1
	s_or_b64 exec, exec, s[40:41]
	s_and_saveexec_b64 s[40:41], s[30:31]
	s_cbranch_execnz .LBB76_76
.LBB76_60:                              ;   in Loop: Header=BB76_47 Depth=1
	s_or_b64 exec, exec, s[40:41]
	s_and_saveexec_b64 s[40:41], s[34:35]
	s_cbranch_execnz .LBB76_77
.LBB76_61:                              ;   in Loop: Header=BB76_47 Depth=1
	s_or_b64 exec, exec, s[40:41]
	s_and_saveexec_b64 s[40:41], s[36:37]
	s_cbranch_execnz .LBB76_78
.LBB76_62:                              ;   in Loop: Header=BB76_47 Depth=1
	s_or_b64 exec, exec, s[40:41]
	s_and_saveexec_b64 s[40:41], vcc
	s_cbranch_execnz .LBB76_79
.LBB76_63:                              ;   in Loop: Header=BB76_47 Depth=1
	s_or_b64 exec, exec, s[40:41]
	s_and_saveexec_b64 s[40:41], s[4:5]
	s_cbranch_execz .LBB76_46
	s_branch .LBB76_80
.LBB76_64:                              ;   in Loop: Header=BB76_47 Depth=1
	ds_read_b32 v9, v4 offset:40960
	s_waitcnt lgkmcnt(0)
	v_add_u32_e32 v7, v9, v7
	s_or_b64 exec, exec, s[40:41]
	s_and_saveexec_b64 s[40:41], s[8:9]
	s_cbranch_execz .LBB76_49
.LBB76_65:                              ;   in Loop: Header=BB76_47 Depth=1
	ds_read_b32 v9, v4 offset:40964
	s_waitcnt lgkmcnt(0)
	v_add_u32_e32 v7, v9, v7
	s_or_b64 exec, exec, s[40:41]
	s_and_saveexec_b64 s[40:41], s[10:11]
	s_cbranch_execz .LBB76_50
.LBB76_66:                              ;   in Loop: Header=BB76_47 Depth=1
	ds_read_b32 v9, v4 offset:40968
	s_waitcnt lgkmcnt(0)
	v_add_u32_e32 v7, v9, v7
	s_or_b64 exec, exec, s[40:41]
	s_and_saveexec_b64 s[40:41], s[12:13]
	s_cbranch_execz .LBB76_51
.LBB76_67:                              ;   in Loop: Header=BB76_47 Depth=1
	ds_read_b32 v9, v4 offset:40972
	s_waitcnt lgkmcnt(0)
	v_add_u32_e32 v7, v9, v7
	s_or_b64 exec, exec, s[40:41]
	s_and_saveexec_b64 s[40:41], s[14:15]
	s_cbranch_execz .LBB76_52
.LBB76_68:                              ;   in Loop: Header=BB76_47 Depth=1
	ds_read_b32 v9, v4 offset:40976
	s_waitcnt lgkmcnt(0)
	v_add_u32_e32 v7, v9, v7
	s_or_b64 exec, exec, s[40:41]
	s_and_saveexec_b64 s[40:41], s[16:17]
	s_cbranch_execz .LBB76_53
.LBB76_69:                              ;   in Loop: Header=BB76_47 Depth=1
	ds_read_b32 v9, v4 offset:40980
	s_waitcnt lgkmcnt(0)
	v_add_u32_e32 v7, v9, v7
	s_or_b64 exec, exec, s[40:41]
	s_and_saveexec_b64 s[40:41], s[18:19]
	s_cbranch_execz .LBB76_54
.LBB76_70:                              ;   in Loop: Header=BB76_47 Depth=1
	ds_read_b32 v9, v4 offset:40984
	s_waitcnt lgkmcnt(0)
	v_add_u32_e32 v7, v9, v7
	s_or_b64 exec, exec, s[40:41]
	s_and_saveexec_b64 s[40:41], s[20:21]
	s_cbranch_execz .LBB76_55
.LBB76_71:                              ;   in Loop: Header=BB76_47 Depth=1
	ds_read_b32 v9, v4 offset:40988
	s_waitcnt lgkmcnt(0)
	v_add_u32_e32 v7, v9, v7
	s_or_b64 exec, exec, s[40:41]
	s_and_saveexec_b64 s[40:41], s[22:23]
	s_cbranch_execz .LBB76_56
.LBB76_72:                              ;   in Loop: Header=BB76_47 Depth=1
	ds_read_b32 v9, v4 offset:40992
	s_waitcnt lgkmcnt(0)
	v_add_u32_e32 v7, v9, v7
	s_or_b64 exec, exec, s[40:41]
	s_and_saveexec_b64 s[40:41], s[24:25]
	s_cbranch_execz .LBB76_57
.LBB76_73:                              ;   in Loop: Header=BB76_47 Depth=1
	ds_read_b32 v9, v4 offset:40996
	s_waitcnt lgkmcnt(0)
	v_add_u32_e32 v7, v9, v7
	s_or_b64 exec, exec, s[40:41]
	s_and_saveexec_b64 s[40:41], s[26:27]
	s_cbranch_execz .LBB76_58
.LBB76_74:                              ;   in Loop: Header=BB76_47 Depth=1
	ds_read_b32 v9, v4 offset:41000
	s_waitcnt lgkmcnt(0)
	v_add_u32_e32 v7, v9, v7
	s_or_b64 exec, exec, s[40:41]
	s_and_saveexec_b64 s[40:41], s[28:29]
	s_cbranch_execz .LBB76_59
.LBB76_75:                              ;   in Loop: Header=BB76_47 Depth=1
	ds_read_b32 v9, v4 offset:41004
	s_waitcnt lgkmcnt(0)
	v_add_u32_e32 v7, v9, v7
	s_or_b64 exec, exec, s[40:41]
	s_and_saveexec_b64 s[40:41], s[30:31]
	s_cbranch_execz .LBB76_60
.LBB76_76:                              ;   in Loop: Header=BB76_47 Depth=1
	ds_read_b32 v9, v4 offset:41008
	s_waitcnt lgkmcnt(0)
	v_add_u32_e32 v7, v9, v7
	s_or_b64 exec, exec, s[40:41]
	s_and_saveexec_b64 s[40:41], s[34:35]
	s_cbranch_execz .LBB76_61
.LBB76_77:                              ;   in Loop: Header=BB76_47 Depth=1
	ds_read_b32 v9, v4 offset:41012
	s_waitcnt lgkmcnt(0)
	v_add_u32_e32 v7, v9, v7
	s_or_b64 exec, exec, s[40:41]
	s_and_saveexec_b64 s[40:41], s[36:37]
	s_cbranch_execz .LBB76_62
.LBB76_78:                              ;   in Loop: Header=BB76_47 Depth=1
	ds_read_b32 v9, v4 offset:41016
	s_waitcnt lgkmcnt(0)
	v_add_u32_e32 v7, v9, v7
	s_or_b64 exec, exec, s[40:41]
	s_and_saveexec_b64 s[40:41], vcc
	s_cbranch_execz .LBB76_63
.LBB76_79:                              ;   in Loop: Header=BB76_47 Depth=1
	buffer_load_dword v10, off, s[0:3], 0
	buffer_load_dword v11, off, s[0:3], 0 offset:4
	buffer_load_dword v12, off, s[0:3], 0 offset:8
	;; [unrolled: 1-line block ×3, first 2 shown]
	v_add3_u32 v9, v6, -1, v7
	v_lshl_add_u32 v14, v9, 2, 0
	v_lshl_add_u32 v9, v9, 4, 0
	v_add_u32_e32 v9, 0x2000, v9
	ds_write_b32 v14, v8
	s_waitcnt vmcnt(0)
	ds_write2_b64 v9, v[10:11], v[12:13] offset1:1
	s_or_b64 exec, exec, s[40:41]
	s_and_saveexec_b64 s[40:41], s[4:5]
	s_cbranch_execz .LBB76_46
.LBB76_80:                              ;   in Loop: Header=BB76_47 Depth=1
	ds_write_b32 v4, v7 offset:41020
	s_branch .LBB76_46
.LBB76_81:
	s_or_b64 exec, exec, s[38:39]
	s_ashr_i32 s53, s52, 31
	s_lshl_b64 s[4:5], s[52:53], 2
	s_add_u32 s4, s42, s4
	s_addc_u32 s5, s43, s5
	s_load_dwordx2 s[4:5], s[4:5], 0x0
	s_waitcnt lgkmcnt(0)
	s_sub_i32 s18, s5, s4
	v_cmp_gt_i32_e32 vcc, s18, v0
	s_and_saveexec_b64 s[6:7], vcc
	s_cbranch_execz .LBB76_96
; %bb.82:
	s_sub_i32 s10, s4, s46
	s_add_i32 s4, s18, -2
	s_lshr_b32 s5, s4, 1
	s_add_i32 s6, s5, 1
	s_cmp_gt_u32 s18, 1
	s_cselect_b64 s[12:13], -1, 0
	s_and_b32 s19, s18, -2
	s_and_b32 s8, s6, 7
	s_cmp_gt_u32 s4, 13
	s_cselect_b64 s[4:5], -1, 0
	s_and_b32 s20, s6, -8
	s_cmp_lg_u32 s8, 0
	s_cselect_b64 s[6:7], -1, 0
	v_cndmask_b32_e64 v1, 0, 1, s[4:5]
	s_cmp_lg_u32 s18, s19
	v_cmp_ne_u32_e64 s[4:5], 1, v1
	v_cndmask_b32_e64 v1, 0, 1, s[6:7]
	s_mov_b32 s11, 0
	s_cselect_b64 s[14:15], -1, 0
	s_lshl_b32 s21, s8, 3
	s_mov_b64 s[16:17], 0
	v_cmp_ne_u32_e64 s[6:7], 1, v1
	s_movk_i32 s22, 0x2000
	v_mov_b32_e32 v1, s49
	v_mov_b32_e32 v4, s51
	s_branch .LBB76_84
.LBB76_83:                              ;   in Loop: Header=BB76_84 Depth=1
	v_mul_lo_u32 v3, v0, 12
	v_add3_u32 v5, v5, v3, s22
	v_ashrrev_i32_e32 v3, 31, v2
	s_waitcnt lgkmcnt(0)
	v_add_u32_e32 v8, s46, v6
	v_lshlrev_b64 v[6:7], 2, v[2:3]
	v_add_co_u32_e32 v6, vcc, s48, v6
	v_addc_co_u32_e32 v7, vcc, v1, v7, vcc
	global_store_dword v[6:7], v8, off
	v_lshlrev_b64 v[2:3], 4, v[2:3]
	ds_read2_b64 v[6:9], v5 offset1:1
	v_add_co_u32_e32 v2, vcc, s50, v2
	v_addc_co_u32_e32 v3, vcc, v4, v3, vcc
	v_add_u32_e32 v0, 0x400, v0
	v_cmp_le_i32_e32 vcc, s18, v0
	s_or_b64 s[16:17], vcc, s[16:17]
	s_waitcnt lgkmcnt(0)
	global_store_dwordx4 v[2:3], v[6:9], off
	s_andn2_b64 exec, exec, s[16:17]
	s_cbranch_execz .LBB76_96
.LBB76_84:                              ; =>This Loop Header: Depth=1
                                        ;     Child Loop BB76_87 Depth 2
                                        ;     Child Loop BB76_92 Depth 2
	;; [unrolled: 1-line block ×3, first 2 shown]
	v_lshl_add_u32 v5, v0, 2, 0
	ds_read_b32 v6, v5
	s_and_b64 vcc, exec, s[12:13]
	s_cbranch_vccz .LBB76_89
; %bb.85:                               ;   in Loop: Header=BB76_84 Depth=1
	s_and_b64 vcc, exec, s[4:5]
	s_cbranch_vccnz .LBB76_90
; %bb.86:                               ;   in Loop: Header=BB76_84 Depth=1
	s_mov_b32 s24, 0
	v_mov_b32_e32 v2, s10
	v_mov_b32_e32 v3, 0
	s_mov_b32 s25, s20
	s_mov_b32 s23, 0
.LBB76_87:                              ;   Parent Loop BB76_84 Depth=1
                                        ; =>  This Inner Loop Header: Depth=2
	v_mov_b32_e32 v7, s24
	ds_read2_b32 v[8:9], v7 offset1:1
	ds_read2_b32 v[10:11], v7 offset0:2 offset1:3
	ds_read2_b32 v[12:13], v7 offset0:4 offset1:5
	;; [unrolled: 1-line block ×7, first 2 shown]
	s_waitcnt lgkmcnt(7)
	v_cmp_gt_i32_e32 vcc, v6, v9
	s_waitcnt lgkmcnt(5)
	v_cmp_gt_i32_e64 s[8:9], v6, v12
	v_cndmask_b32_e64 v7, 0, 1, vcc
	v_cmp_gt_i32_e32 vcc, v6, v8
	v_cndmask_b32_e64 v9, 0, 1, s[8:9]
	v_cmp_gt_i32_e64 s[8:9], v6, v13
	v_cndmask_b32_e64 v8, 0, 1, vcc
	v_cmp_gt_i32_e32 vcc, v6, v11
	v_cndmask_b32_e64 v11, 0, 1, s[8:9]
	s_waitcnt lgkmcnt(3)
	v_cmp_gt_i32_e64 s[8:9], v6, v17
	v_cndmask_b32_e64 v12, 0, 1, s[8:9]
	v_cmp_gt_i32_e64 s[8:9], v6, v16
	v_cndmask_b32_e64 v13, 0, 1, s[8:9]
	s_waitcnt lgkmcnt(1)
	v_cmp_gt_i32_e64 s[8:9], v6, v20
	v_cndmask_b32_e64 v16, 0, 1, s[8:9]
	v_cmp_gt_i32_e64 s[8:9], v6, v21
	v_cndmask_b32_e64 v17, 0, 1, s[8:9]
	v_cmp_gt_i32_e64 s[8:9], v6, v10
	v_addc_co_u32_e64 v2, s[8:9], v2, v8, s[8:9]
	v_addc_co_u32_e32 v3, vcc, v3, v7, vcc
	v_cmp_gt_i32_e32 vcc, v6, v14
	v_cmp_gt_i32_e64 s[8:9], v6, v15
	v_addc_co_u32_e64 v3, s[8:9], v3, v11, s[8:9]
	v_addc_co_u32_e32 v2, vcc, v2, v9, vcc
	v_cmp_gt_i32_e32 vcc, v6, v19
	v_cmp_gt_i32_e64 s[8:9], v6, v18
	v_addc_co_u32_e64 v2, s[8:9], v2, v13, s[8:9]
	v_addc_co_u32_e32 v3, vcc, v3, v12, vcc
	s_add_i32 s23, s23, 16
	s_add_i32 s24, s24, 64
	s_add_i32 s25, s25, -8
	s_waitcnt lgkmcnt(0)
	v_cmp_gt_i32_e32 vcc, v6, v22
	v_cmp_gt_i32_e64 s[8:9], v6, v23
	s_cmp_lg_u32 s25, 0
	v_addc_co_u32_e64 v3, s[8:9], v3, v17, s[8:9]
	v_addc_co_u32_e32 v2, vcc, v2, v16, vcc
	s_cbranch_scc1 .LBB76_87
; %bb.88:                               ;   in Loop: Header=BB76_84 Depth=1
	s_and_b64 vcc, exec, s[6:7]
	s_cbranch_vccz .LBB76_91
	s_branch .LBB76_93
.LBB76_89:                              ;   in Loop: Header=BB76_84 Depth=1
	v_mov_b32_e32 v2, s10
	s_mov_b32 s23, 0
	s_cbranch_execz .LBB76_83
	s_branch .LBB76_94
.LBB76_90:                              ;   in Loop: Header=BB76_84 Depth=1
	v_pk_mov_b32 v[2:3], s[10:11], s[10:11] op_sel:[0,1]
	s_mov_b32 s23, 0
	s_and_b64 vcc, exec, s[6:7]
	s_cbranch_vccnz .LBB76_93
.LBB76_91:                              ;   in Loop: Header=BB76_84 Depth=1
	s_lshl_b32 s8, s23, 2
	s_add_i32 s8, s8, 0
	s_mov_b32 s9, s21
.LBB76_92:                              ;   Parent Loop BB76_84 Depth=1
                                        ; =>  This Inner Loop Header: Depth=2
	v_mov_b32_e32 v7, s8
	ds_read2_b32 v[8:9], v7 offset1:1
	s_add_i32 s8, s8, 8
	s_add_i32 s9, s9, -8
	s_cmp_lg_u32 s9, 0
	s_waitcnt lgkmcnt(0)
	v_cmp_gt_i32_e32 vcc, v6, v9
	v_addc_co_u32_e32 v3, vcc, 0, v3, vcc
	v_cmp_gt_i32_e32 vcc, v6, v8
	v_addc_co_u32_e32 v2, vcc, 0, v2, vcc
	s_cbranch_scc1 .LBB76_92
.LBB76_93:                              ;   in Loop: Header=BB76_84 Depth=1
	v_add_u32_e32 v2, v2, v3
	s_mov_b32 s23, s19
	s_mov_b64 s[8:9], s[14:15]
	s_and_b64 vcc, exec, s[8:9]
	s_cbranch_vccz .LBB76_83
.LBB76_94:                              ;   in Loop: Header=BB76_84 Depth=1
	s_lshl_b32 s8, s23, 2
	s_add_i32 s8, s8, 0
.LBB76_95:                              ;   Parent Loop BB76_84 Depth=1
                                        ; =>  This Inner Loop Header: Depth=2
	v_mov_b32_e32 v3, s8
	ds_read_b32 v3, v3
	s_add_i32 s23, s23, 1
	s_add_i32 s8, s8, 4
	s_cmp_ge_i32 s23, s18
	s_waitcnt lgkmcnt(0)
	v_cmp_gt_i32_e32 vcc, v6, v3
	v_addc_co_u32_e32 v2, vcc, 0, v2, vcc
	s_cbranch_scc0 .LBB76_95
	s_branch .LBB76_83
.LBB76_96:
	s_endpgm
	.section	.rodata,"a",@progbits
	.p2align	6, 0x0
	.amdhsa_kernel _ZN9rocsparseL26csrgemm_fill_block_per_rowILj1024ELj32ELj2048ELj137ELj64Eii21rocsparse_complex_numIdEEEvT5_PKS3_S5_NS_24const_host_device_scalarIT6_EEPKT4_S5_PKS7_SB_S5_SD_S8_SB_S5_SD_SB_PS3_PS7_21rocsparse_index_base_SG_SG_SG_bbb
		.amdhsa_group_segment_fixed_size 0
		.amdhsa_private_segment_fixed_size 40
		.amdhsa_kernarg_size 172
		.amdhsa_user_sgpr_count 8
		.amdhsa_user_sgpr_private_segment_buffer 1
		.amdhsa_user_sgpr_dispatch_ptr 0
		.amdhsa_user_sgpr_queue_ptr 0
		.amdhsa_user_sgpr_kernarg_segment_ptr 1
		.amdhsa_user_sgpr_dispatch_id 0
		.amdhsa_user_sgpr_flat_scratch_init 1
		.amdhsa_user_sgpr_kernarg_preload_length 0
		.amdhsa_user_sgpr_kernarg_preload_offset 0
		.amdhsa_user_sgpr_private_segment_size 0
		.amdhsa_uses_dynamic_stack 0
		.amdhsa_system_sgpr_private_segment_wavefront_offset 1
		.amdhsa_system_sgpr_workgroup_id_x 1
		.amdhsa_system_sgpr_workgroup_id_y 0
		.amdhsa_system_sgpr_workgroup_id_z 0
		.amdhsa_system_sgpr_workgroup_info 0
		.amdhsa_system_vgpr_workitem_id 0
		.amdhsa_next_free_vgpr 34
		.amdhsa_next_free_sgpr 60
		.amdhsa_accum_offset 36
		.amdhsa_reserve_vcc 1
		.amdhsa_reserve_flat_scratch 1
		.amdhsa_float_round_mode_32 0
		.amdhsa_float_round_mode_16_64 0
		.amdhsa_float_denorm_mode_32 3
		.amdhsa_float_denorm_mode_16_64 3
		.amdhsa_dx10_clamp 1
		.amdhsa_ieee_mode 1
		.amdhsa_fp16_overflow 0
		.amdhsa_tg_split 0
		.amdhsa_exception_fp_ieee_invalid_op 0
		.amdhsa_exception_fp_denorm_src 0
		.amdhsa_exception_fp_ieee_div_zero 0
		.amdhsa_exception_fp_ieee_overflow 0
		.amdhsa_exception_fp_ieee_underflow 0
		.amdhsa_exception_fp_ieee_inexact 0
		.amdhsa_exception_int_div_zero 0
	.end_amdhsa_kernel
	.section	.text._ZN9rocsparseL26csrgemm_fill_block_per_rowILj1024ELj32ELj2048ELj137ELj64Eii21rocsparse_complex_numIdEEEvT5_PKS3_S5_NS_24const_host_device_scalarIT6_EEPKT4_S5_PKS7_SB_S5_SD_S8_SB_S5_SD_SB_PS3_PS7_21rocsparse_index_base_SG_SG_SG_bbb,"axG",@progbits,_ZN9rocsparseL26csrgemm_fill_block_per_rowILj1024ELj32ELj2048ELj137ELj64Eii21rocsparse_complex_numIdEEEvT5_PKS3_S5_NS_24const_host_device_scalarIT6_EEPKT4_S5_PKS7_SB_S5_SD_S8_SB_S5_SD_SB_PS3_PS7_21rocsparse_index_base_SG_SG_SG_bbb,comdat
.Lfunc_end76:
	.size	_ZN9rocsparseL26csrgemm_fill_block_per_rowILj1024ELj32ELj2048ELj137ELj64Eii21rocsparse_complex_numIdEEEvT5_PKS3_S5_NS_24const_host_device_scalarIT6_EEPKT4_S5_PKS7_SB_S5_SD_S8_SB_S5_SD_SB_PS3_PS7_21rocsparse_index_base_SG_SG_SG_bbb, .Lfunc_end76-_ZN9rocsparseL26csrgemm_fill_block_per_rowILj1024ELj32ELj2048ELj137ELj64Eii21rocsparse_complex_numIdEEEvT5_PKS3_S5_NS_24const_host_device_scalarIT6_EEPKT4_S5_PKS7_SB_S5_SD_S8_SB_S5_SD_SB_PS3_PS7_21rocsparse_index_base_SG_SG_SG_bbb
                                        ; -- End function
	.section	.AMDGPU.csdata,"",@progbits
; Kernel info:
; codeLenInByte = 3696
; NumSgprs: 66
; NumVgprs: 34
; NumAgprs: 0
; TotalNumVgprs: 34
; ScratchSize: 40
; MemoryBound: 0
; FloatMode: 240
; IeeeMode: 1
; LDSByteSize: 0 bytes/workgroup (compile time only)
; SGPRBlocks: 8
; VGPRBlocks: 4
; NumSGPRsForWavesPerEU: 66
; NumVGPRsForWavesPerEU: 34
; AccumOffset: 36
; Occupancy: 8
; WaveLimiterHint : 1
; COMPUTE_PGM_RSRC2:SCRATCH_EN: 1
; COMPUTE_PGM_RSRC2:USER_SGPR: 8
; COMPUTE_PGM_RSRC2:TRAP_HANDLER: 0
; COMPUTE_PGM_RSRC2:TGID_X_EN: 1
; COMPUTE_PGM_RSRC2:TGID_Y_EN: 0
; COMPUTE_PGM_RSRC2:TGID_Z_EN: 0
; COMPUTE_PGM_RSRC2:TIDIG_COMP_CNT: 0
; COMPUTE_PGM_RSRC3_GFX90A:ACCUM_OFFSET: 8
; COMPUTE_PGM_RSRC3_GFX90A:TG_SPLIT: 0
	.section	.text._ZN9rocsparseL26csrgemm_fill_block_per_rowILj1024ELj64ELj4096ELj137ELj32Eii21rocsparse_complex_numIdEEEvT5_PKS3_S5_NS_24const_host_device_scalarIT6_EEPKT4_S5_PKS7_SB_S5_SD_S8_SB_S5_SD_SB_PS3_PS7_21rocsparse_index_base_SG_SG_SG_bbb,"axG",@progbits,_ZN9rocsparseL26csrgemm_fill_block_per_rowILj1024ELj64ELj4096ELj137ELj32Eii21rocsparse_complex_numIdEEEvT5_PKS3_S5_NS_24const_host_device_scalarIT6_EEPKT4_S5_PKS7_SB_S5_SD_S8_SB_S5_SD_SB_PS3_PS7_21rocsparse_index_base_SG_SG_SG_bbb,comdat
	.globl	_ZN9rocsparseL26csrgemm_fill_block_per_rowILj1024ELj64ELj4096ELj137ELj32Eii21rocsparse_complex_numIdEEEvT5_PKS3_S5_NS_24const_host_device_scalarIT6_EEPKT4_S5_PKS7_SB_S5_SD_S8_SB_S5_SD_SB_PS3_PS7_21rocsparse_index_base_SG_SG_SG_bbb ; -- Begin function _ZN9rocsparseL26csrgemm_fill_block_per_rowILj1024ELj64ELj4096ELj137ELj32Eii21rocsparse_complex_numIdEEEvT5_PKS3_S5_NS_24const_host_device_scalarIT6_EEPKT4_S5_PKS7_SB_S5_SD_S8_SB_S5_SD_SB_PS3_PS7_21rocsparse_index_base_SG_SG_SG_bbb
	.p2align	8
	.type	_ZN9rocsparseL26csrgemm_fill_block_per_rowILj1024ELj64ELj4096ELj137ELj32Eii21rocsparse_complex_numIdEEEvT5_PKS3_S5_NS_24const_host_device_scalarIT6_EEPKT4_S5_PKS7_SB_S5_SD_S8_SB_S5_SD_SB_PS3_PS7_21rocsparse_index_base_SG_SG_SG_bbb,@function
_ZN9rocsparseL26csrgemm_fill_block_per_rowILj1024ELj64ELj4096ELj137ELj32Eii21rocsparse_complex_numIdEEEvT5_PKS3_S5_NS_24const_host_device_scalarIT6_EEPKT4_S5_PKS7_SB_S5_SD_S8_SB_S5_SD_SB_PS3_PS7_21rocsparse_index_base_SG_SG_SG_bbb: ; @_ZN9rocsparseL26csrgemm_fill_block_per_rowILj1024ELj64ELj4096ELj137ELj32Eii21rocsparse_complex_numIdEEEvT5_PKS3_S5_NS_24const_host_device_scalarIT6_EEPKT4_S5_PKS7_SB_S5_SD_S8_SB_S5_SD_SB_PS3_PS7_21rocsparse_index_base_SG_SG_SG_bbb
; %bb.0:
	s_add_u32 flat_scratch_lo, s6, s9
	s_addc_u32 flat_scratch_hi, s7, 0
	s_load_dwordx4 s[12:15], s[4:5], 0x18
	s_load_dwordx4 s[28:31], s[4:5], 0x58
	s_add_u32 s0, s0, s9
	s_load_dword s9, s[4:5], 0xa8
	s_load_dwordx4 s[72:75], s[4:5], 0x98
	s_addc_u32 s1, s1, 0
	s_waitcnt lgkmcnt(0)
	v_mov_b32_e32 v1, s13
	buffer_store_dword v1, off, s[0:3], 0 offset:20
	s_bitcmp1_b32 s9, 0
	s_cselect_b64 s[36:37], -1, 0
	s_bitcmp1_b32 s9, 16
	v_mov_b32_e32 v1, s12
	s_cselect_b64 s[6:7], -1, 0
	buffer_store_dword v1, off, s[0:3], 0 offset:16
	v_mov_b32_e32 v1, s29
	buffer_store_dword v1, off, s[0:3], 0 offset:28
	v_mov_b32_e32 v1, s28
	s_xor_b64 s[10:11], s[6:7], -1
	buffer_store_dword v1, off, s[0:3], 0 offset:24
	v_pk_mov_b32 v[2:3], 0, 0
	v_cndmask_b32_e64 v1, 0, 1, s[10:11]
	s_bitcmp0_b32 s9, 0
	v_cmp_ne_u32_e64 s[10:11], 1, v1
	v_pk_mov_b32 v[6:7], v[2:3], v[2:3] op_sel:[0,1]
	v_pk_mov_b32 v[8:9], v[2:3], v[2:3] op_sel:[0,1]
	s_cbranch_scc1 .LBB77_3
; %bb.1:
	s_mov_b64 s[16:17], src_private_base
	s_and_b64 s[18:19], s[6:7], exec
	s_cselect_b32 s16, s17, s13
	v_mov_b32_e32 v1, 16
	v_mov_b32_e32 v4, s12
	v_cndmask_b32_e64 v4, v4, v1, s[6:7]
	v_mov_b32_e32 v5, s16
	flat_load_dwordx2 v[6:7], v[4:5]
	s_and_b64 vcc, exec, s[10:11]
	v_pk_mov_b32 v[8:9], s[14:15], s[14:15] op_sel:[0,1]
	s_cbranch_vccnz .LBB77_3
; %bb.2:
	v_pk_mov_b32 v[4:5], s[12:13], s[12:13] op_sel:[0,1]
	flat_load_dwordx2 v[8:9], v[4:5] offset:8
.LBB77_3:
	s_load_dwordx4 s[12:15], s[4:5], 0x88
                                        ; implicit-def: $vgpr34 : SGPR spill to VGPR lane
	s_bitcmp1_b32 s9, 8
	s_cselect_b64 s[34:35], -1, 0
	s_bfe_u32 s9, s9, 0x10008
	s_mov_b64 s[38:39], 0
	s_waitcnt lgkmcnt(0)
	v_writelane_b32 v34, s12, 0
	v_writelane_b32 v34, s13, 1
	;; [unrolled: 1-line block ×4, first 2 shown]
	s_load_dwordx8 s[12:19], s[4:5], 0x68
	s_cmp_eq_u32 s9, 0
	v_pk_mov_b32 v[4:5], v[2:3], v[2:3] op_sel:[0,1]
	s_waitcnt lgkmcnt(0)
	v_writelane_b32 v34, s12, 4
	v_writelane_b32 v34, s13, 5
	;; [unrolled: 1-line block ×8, first 2 shown]
	s_load_dwordx4 s[20:23], s[4:5], 0x48
	s_load_dwordx4 s[24:27], s[4:5], 0x8
	s_load_dwordx8 s[12:19], s[4:5], 0x28
	s_cbranch_scc1 .LBB77_6
; %bb.4:
	s_mov_b64 s[40:41], src_private_base
	s_and_b64 s[42:43], s[6:7], exec
	s_cselect_b32 s9, s41, s29
	v_mov_b32_e32 v1, 24
	v_mov_b32_e32 v2, s28
	v_cndmask_b32_e64 v2, v2, v1, s[6:7]
	v_mov_b32_e32 v3, s9
	flat_load_dwordx2 v[4:5], v[2:3]
	s_and_b64 vcc, exec, s[10:11]
	v_pk_mov_b32 v[2:3], s[30:31], s[30:31] op_sel:[0,1]
	s_cbranch_vccnz .LBB77_6
; %bb.5:
	v_pk_mov_b32 v[2:3], s[28:29], s[28:29] op_sel:[0,1]
	flat_load_dwordx2 v[2:3], v[2:3] offset:8
.LBB77_6:
	s_load_dword s33, s[4:5], 0x0
	s_mov_b32 s4, 0
	v_lshl_add_u32 v1, v0, 4, 0
	v_add_u32_e32 v1, 0x4000, v1
	v_or_b32_e32 v23, 0xfffffc00, v0
	v_lshl_add_u32 v24, v0, 2, 0
	s_mov_b32 s5, s4
	s_mov_b32 s6, s4
	;; [unrolled: 1-line block ×3, first 2 shown]
	s_waitcnt lgkmcnt(0)
	v_mov_b32_e32 v14, s33
	v_pk_mov_b32 v[10:11], s[4:5], s[4:5] op_sel:[0,1]
	v_pk_mov_b32 v[12:13], s[6:7], s[6:7] op_sel:[0,1]
	s_movk_i32 s4, 0xbff
	v_mov_b32_e32 v15, v24
	v_mov_b32_e32 v16, v23
	;; [unrolled: 1-line block ×3, first 2 shown]
.LBB77_7:                               ; =>This Inner Loop Header: Depth=1
	v_add_u32_e32 v16, 0x400, v16
	v_cmp_lt_u32_e32 vcc, s4, v16
	ds_write_b32 v15, v14
	ds_write2_b64 v17, v[10:11], v[12:13] offset1:1
	v_add_u32_e32 v17, 0x4000, v17
	s_or_b64 s[38:39], vcc, s[38:39]
	v_add_u32_e32 v15, 0x1000, v15
	s_andn2_b64 exec, exec, s[38:39]
	s_cbranch_execnz .LBB77_7
; %bb.8:
	s_or_b64 exec, exec, s[38:39]
	s_waitcnt lgkmcnt(0)
	s_barrier
	s_load_dword s4, s[24:25], 0x0
	s_mov_b32 s5, 0
	s_waitcnt lgkmcnt(0)
	s_add_i32 s4, s4, s8
	s_lshl_b64 s[4:5], s[4:5], 2
	s_add_u32 s4, s26, s4
	s_addc_u32 s5, s27, s5
	s_load_dword s4, s[4:5], 0x0
	s_and_b64 vcc, exec, s[36:37]
	s_waitcnt lgkmcnt(0)
	v_writelane_b32 v34, s4, 12
	v_writelane_b32 v34, s5, 13
	s_cbranch_vccz .LBB77_28
; %bb.9:
	v_readlane_b32 s4, v34, 12
	v_readlane_b32 s5, v34, 13
	s_mov_b32 s6, s4
	s_ashr_i32 s7, s4, 31
	v_writelane_b32 v34, s4, 12
	v_writelane_b32 v34, s5, 13
	s_lshl_b64 s[4:5], s[6:7], 2
	s_add_u32 s4, s12, s4
	s_addc_u32 s5, s13, s5
	s_load_dwordx2 s[4:5], s[4:5], 0x0
	v_lshrrev_b32_e32 v10, 6, v0
	v_subrev_u32_e32 v10, s72, v10
	s_waitcnt lgkmcnt(0)
	s_sub_i32 s38, s5, s72
	v_add_u32_e32 v10, s4, v10
	v_cmp_gt_i32_e32 vcc, s38, v10
	s_and_saveexec_b64 s[4:5], vcc
	s_cbranch_execz .LBB77_27
; %bb.10:
	v_and_b32_e32 v11, 63, v0
	v_subrev_u32_e32 v25, s73, v11
	s_mov_b64 s[6:7], 0
	v_mov_b32_e32 v26, s15
	v_mov_b32_e32 v27, s19
	s_movk_i32 s15, 0x89
	s_branch .LBB77_12
.LBB77_11:                              ;   in Loop: Header=BB77_12 Depth=1
	s_or_b64 exec, exec, s[8:9]
	v_add_u32_e32 v10, 16, v10
	v_cmp_le_i32_e32 vcc, s38, v10
	s_or_b64 s[6:7], vcc, s[6:7]
	s_andn2_b64 exec, exec, s[6:7]
	s_cbranch_execz .LBB77_27
.LBB77_12:                              ; =>This Loop Header: Depth=1
                                        ;     Child Loop BB77_15 Depth 2
                                        ;       Child Loop BB77_17 Depth 3
	v_ashrrev_i32_e32 v11, 31, v10
	v_lshlrev_b64 v[12:13], 2, v[10:11]
	v_add_co_u32_e32 v12, vcc, s14, v12
	v_addc_co_u32_e32 v13, vcc, v26, v13, vcc
	global_load_dword v12, v[12:13], off
	s_waitcnt vmcnt(0)
	v_subrev_u32_e32 v12, s72, v12
	v_ashrrev_i32_e32 v13, 31, v12
	v_lshlrev_b64 v[12:13], 2, v[12:13]
	v_add_co_u32_e32 v12, vcc, s18, v12
	v_addc_co_u32_e32 v13, vcc, v27, v13, vcc
	global_load_dwordx2 v[12:13], v[12:13], off
	s_waitcnt vmcnt(0)
	v_subrev_u32_e32 v28, s73, v13
	v_add_u32_e32 v12, v12, v25
	v_cmp_lt_i32_e32 vcc, v12, v28
	s_and_saveexec_b64 s[8:9], vcc
	s_cbranch_execz .LBB77_11
; %bb.13:                               ;   in Loop: Header=BB77_12 Depth=1
	v_lshlrev_b64 v[14:15], 4, v[10:11]
	v_mov_b32_e32 v11, s17
	v_add_co_u32_e32 v14, vcc, s16, v14
	v_addc_co_u32_e32 v15, vcc, v11, v15, vcc
	global_load_dwordx4 v[18:21], v[14:15], off
	s_mov_b64 s[10:11], 0
	s_waitcnt vmcnt(0)
	v_mul_f64 v[14:15], v[20:21], -v[8:9]
	v_mul_f64 v[16:17], v[6:7], v[20:21]
	v_fmac_f64_e32 v[14:15], v[6:7], v[18:19]
	v_fmac_f64_e32 v[16:17], v[8:9], v[18:19]
	s_branch .LBB77_15
.LBB77_14:                              ;   in Loop: Header=BB77_15 Depth=2
	s_or_b64 exec, exec, s[12:13]
	v_add_u32_e32 v12, 64, v12
	v_cmp_ge_i32_e32 vcc, v12, v28
	s_or_b64 s[10:11], vcc, s[10:11]
	s_andn2_b64 exec, exec, s[10:11]
	s_cbranch_execz .LBB77_11
.LBB77_15:                              ;   Parent Loop BB77_12 Depth=1
                                        ; =>  This Loop Header: Depth=2
                                        ;       Child Loop BB77_17 Depth 3
	v_ashrrev_i32_e32 v13, 31, v12
	v_lshlrev_b64 v[18:19], 2, v[12:13]
	v_mov_b32_e32 v11, s21
	v_add_co_u32_e32 v18, vcc, s20, v18
	v_addc_co_u32_e32 v19, vcc, v11, v19, vcc
	global_load_dword v11, v[18:19], off
	v_lshlrev_b64 v[18:19], 4, v[12:13]
	v_mov_b32_e32 v13, s23
	v_add_co_u32_e32 v18, vcc, s22, v18
	v_addc_co_u32_e32 v19, vcc, v13, v19, vcc
	global_load_dwordx4 v[30:33], v[18:19], off
	s_mov_b64 s[12:13], 0
	s_waitcnt vmcnt(1)
	v_subrev_u32_e32 v11, s73, v11
	v_mul_lo_u32 v13, v11, s15
	v_and_b32_e32 v13, 0xfff, v13
	s_waitcnt vmcnt(0)
	v_mul_f64 v[18:19], v[32:33], -v[16:17]
	v_mul_f64 v[20:21], v[14:15], v[32:33]
	v_fmac_f64_e32 v[18:19], v[14:15], v[30:31]
	v_fmac_f64_e32 v[20:21], v[16:17], v[30:31]
	s_branch .LBB77_17
.LBB77_16:                              ;   in Loop: Header=BB77_17 Depth=3
	s_or_b64 exec, exec, s[24:25]
	s_xor_b64 s[24:25], s[26:27], -1
	s_and_b64 s[24:25], exec, s[24:25]
	s_or_b64 s[12:13], s[24:25], s[12:13]
	s_andn2_b64 exec, exec, s[12:13]
	s_cbranch_execz .LBB77_14
.LBB77_17:                              ;   Parent Loop BB77_12 Depth=1
                                        ;     Parent Loop BB77_15 Depth=2
                                        ; =>    This Inner Loop Header: Depth=3
	v_lshl_add_u32 v22, v13, 2, 0
	ds_read_b32 v29, v22
                                        ; implicit-def: $sgpr26_sgpr27
	s_waitcnt lgkmcnt(0)
	v_cmp_ne_u32_e32 vcc, v29, v11
	s_and_saveexec_b64 s[24:25], vcc
	s_xor_b64 s[24:25], exec, s[24:25]
	s_cbranch_execz .LBB77_25
; %bb.18:                               ;   in Loop: Header=BB77_17 Depth=3
	v_cmp_ne_u32_e32 vcc, s33, v29
                                        ; implicit-def: $sgpr26_sgpr27
	s_and_saveexec_b64 s[28:29], vcc
	s_xor_b64 s[28:29], exec, s[28:29]
; %bb.19:                               ;   in Loop: Header=BB77_17 Depth=3
	v_add_u32_e32 v13, 1, v13
	v_and_b32_e32 v13, 0xfff, v13
	s_mov_b64 s[26:27], -1
                                        ; implicit-def: $vgpr22
; %bb.20:                               ;   in Loop: Header=BB77_17 Depth=3
	s_andn2_saveexec_b64 s[28:29], s[28:29]
	s_cbranch_execz .LBB77_24
; %bb.21:                               ;   in Loop: Header=BB77_17 Depth=3
	v_mov_b32_e32 v29, s33
	ds_cmpst_rtn_b32 v29, v22, v29, v11
	s_mov_b64 s[36:37], -1
	s_waitcnt lgkmcnt(0)
	v_cmp_eq_u32_e32 vcc, s33, v29
	s_and_saveexec_b64 s[30:31], vcc
	s_cbranch_execz .LBB77_23
; %bb.22:                               ;   in Loop: Header=BB77_17 Depth=3
	v_mad_u64_u32 v[30:31], s[36:37], v13, 12, v[22:23]
	ds_add_f64 v30, v[18:19] offset:16384
	ds_add_f64 v30, v[20:21] offset:16392
	s_xor_b64 s[36:37], exec, -1
.LBB77_23:                              ;   in Loop: Header=BB77_17 Depth=3
	s_or_b64 exec, exec, s[30:31]
	s_andn2_b64 s[26:27], s[26:27], exec
	s_and_b64 s[30:31], s[36:37], exec
	s_or_b64 s[26:27], s[26:27], s[30:31]
.LBB77_24:                              ;   in Loop: Header=BB77_17 Depth=3
	s_or_b64 exec, exec, s[28:29]
	s_and_b64 s[26:27], s[26:27], exec
                                        ; implicit-def: $vgpr22
.LBB77_25:                              ;   in Loop: Header=BB77_17 Depth=3
	s_andn2_saveexec_b64 s[24:25], s[24:25]
	s_cbranch_execz .LBB77_16
; %bb.26:                               ;   in Loop: Header=BB77_17 Depth=3
	v_mad_u64_u32 v[30:31], s[28:29], v13, 12, v[22:23]
	ds_add_f64 v30, v[18:19] offset:16384
	ds_add_f64 v30, v[20:21] offset:16392
	s_andn2_b64 s[26:27], s[26:27], exec
	s_branch .LBB77_16
.LBB77_27:
	s_or_b64 exec, exec, s[4:5]
.LBB77_28:
	s_andn2_b64 vcc, exec, s[34:35]
	s_cbranch_vccnz .LBB77_45
; %bb.29:
	v_readlane_b32 s4, v34, 12
	v_readlane_b32 s5, v34, 13
	s_mov_b32 s6, s4
	s_ashr_i32 s7, s4, 31
	v_writelane_b32 v34, s4, 12
	v_writelane_b32 v34, s5, 13
	s_lshl_b64 s[4:5], s[6:7], 2
	v_readlane_b32 s8, v34, 4
	v_readlane_b32 s9, v34, 5
	s_add_u32 s4, s8, s4
	s_addc_u32 s5, s9, s5
	s_load_dwordx2 s[4:5], s[4:5], 0x0
	s_waitcnt vmcnt(0)
	v_subrev_u32_e32 v6, s75, v0
	v_readlane_b32 s10, v34, 6
	v_readlane_b32 s11, v34, 7
	;; [unrolled: 1-line block ×3, first 2 shown]
	s_waitcnt lgkmcnt(0)
	s_sub_i32 s20, s5, s75
	v_add_u32_e32 v6, s4, v6
	v_cmp_gt_i32_e32 vcc, s20, v6
	v_readlane_b32 s13, v34, 9
	v_readlane_b32 s14, v34, 10
	v_readlane_b32 s15, v34, 11
	s_and_saveexec_b64 s[4:5], vcc
	s_cbranch_execz .LBB77_44
; %bb.30:
	v_readlane_b32 s8, v34, 4
	v_readlane_b32 s11, v34, 7
	;; [unrolled: 1-line block ×3, first 2 shown]
	s_mov_b64 s[6:7], 0
	v_mov_b32_e32 v13, s11
	v_mov_b32_e32 v14, s13
	s_movk_i32 s21, 0x89
	v_readlane_b32 s9, v34, 5
	v_readlane_b32 s10, v34, 6
	;; [unrolled: 1-line block ×5, first 2 shown]
	s_branch .LBB77_32
.LBB77_31:                              ;   in Loop: Header=BB77_32 Depth=1
	s_or_b64 exec, exec, s[8:9]
	v_add_u32_e32 v6, 0x400, v6
	v_cmp_le_i32_e32 vcc, s20, v6
	s_or_b64 s[6:7], vcc, s[6:7]
	s_andn2_b64 exec, exec, s[6:7]
	s_cbranch_execz .LBB77_44
.LBB77_32:                              ; =>This Loop Header: Depth=1
                                        ;     Child Loop BB77_34 Depth 2
	v_ashrrev_i32_e32 v7, 31, v6
	v_readlane_b32 s8, v34, 4
	v_lshlrev_b64 v[8:9], 2, v[6:7]
	v_readlane_b32 s10, v34, 6
	v_add_co_u32_e32 v8, vcc, s10, v8
	v_addc_co_u32_e32 v9, vcc, v13, v9, vcc
	v_readlane_b32 s12, v34, 8
	global_load_dword v10, v[8:9], off
	v_lshlrev_b64 v[8:9], 4, v[6:7]
	v_add_co_u32_e32 v8, vcc, s12, v8
	v_addc_co_u32_e32 v9, vcc, v14, v9, vcc
	global_load_dwordx4 v[16:19], v[8:9], off
	v_readlane_b32 s9, v34, 5
	s_mov_b64 s[8:9], 0
	v_readlane_b32 s11, v34, 7
	v_readlane_b32 s13, v34, 9
	;; [unrolled: 1-line block ×4, first 2 shown]
	s_waitcnt vmcnt(1)
	v_subrev_u32_e32 v7, s75, v10
	v_mul_lo_u32 v12, v7, s21
	v_and_b32_e32 v15, 0xfff, v12
	s_waitcnt vmcnt(0)
	v_mul_f64 v[8:9], v[18:19], -v[2:3]
	v_mul_f64 v[10:11], v[4:5], v[18:19]
	v_fmac_f64_e32 v[8:9], v[4:5], v[16:17]
	v_fmac_f64_e32 v[10:11], v[2:3], v[16:17]
	s_branch .LBB77_34
.LBB77_33:                              ;   in Loop: Header=BB77_34 Depth=2
	s_or_b64 exec, exec, s[10:11]
	s_xor_b64 s[10:11], s[12:13], -1
	s_and_b64 s[10:11], exec, s[10:11]
	s_or_b64 s[8:9], s[10:11], s[8:9]
	s_andn2_b64 exec, exec, s[8:9]
	s_cbranch_execz .LBB77_31
.LBB77_34:                              ;   Parent Loop BB77_32 Depth=1
                                        ; =>  This Inner Loop Header: Depth=2
	v_lshl_add_u32 v12, v15, 2, 0
	ds_read_b32 v16, v12
                                        ; implicit-def: $sgpr12_sgpr13
	s_waitcnt lgkmcnt(0)
	v_cmp_ne_u32_e32 vcc, v16, v7
	s_and_saveexec_b64 s[10:11], vcc
	s_xor_b64 s[10:11], exec, s[10:11]
	s_cbranch_execz .LBB77_42
; %bb.35:                               ;   in Loop: Header=BB77_34 Depth=2
	v_cmp_ne_u32_e32 vcc, s33, v16
                                        ; implicit-def: $sgpr12_sgpr13
	s_and_saveexec_b64 s[14:15], vcc
	s_xor_b64 s[14:15], exec, s[14:15]
; %bb.36:                               ;   in Loop: Header=BB77_34 Depth=2
	v_add_u32_e32 v12, 1, v15
	v_and_b32_e32 v15, 0xfff, v12
	s_mov_b64 s[12:13], -1
                                        ; implicit-def: $vgpr12
; %bb.37:                               ;   in Loop: Header=BB77_34 Depth=2
	s_andn2_saveexec_b64 s[14:15], s[14:15]
	s_cbranch_execz .LBB77_41
; %bb.38:                               ;   in Loop: Header=BB77_34 Depth=2
	v_mov_b32_e32 v16, s33
	ds_cmpst_rtn_b32 v16, v12, v16, v7
	s_mov_b64 s[18:19], -1
	s_waitcnt lgkmcnt(0)
	v_cmp_eq_u32_e32 vcc, s33, v16
	s_and_saveexec_b64 s[16:17], vcc
	s_cbranch_execz .LBB77_40
; %bb.39:                               ;   in Loop: Header=BB77_34 Depth=2
	v_mad_u64_u32 v[16:17], s[18:19], v15, 12, v[12:13]
	ds_add_f64 v16, v[8:9] offset:16384
	ds_add_f64 v16, v[10:11] offset:16392
	s_xor_b64 s[18:19], exec, -1
.LBB77_40:                              ;   in Loop: Header=BB77_34 Depth=2
	s_or_b64 exec, exec, s[16:17]
	s_andn2_b64 s[12:13], s[12:13], exec
	s_and_b64 s[16:17], s[18:19], exec
	s_or_b64 s[12:13], s[12:13], s[16:17]
.LBB77_41:                              ;   in Loop: Header=BB77_34 Depth=2
	s_or_b64 exec, exec, s[14:15]
	s_and_b64 s[12:13], s[12:13], exec
                                        ; implicit-def: $vgpr12
.LBB77_42:                              ;   in Loop: Header=BB77_34 Depth=2
	s_andn2_saveexec_b64 s[10:11], s[10:11]
	s_cbranch_execz .LBB77_33
; %bb.43:                               ;   in Loop: Header=BB77_34 Depth=2
	v_mad_u64_u32 v[16:17], s[14:15], v15, 12, v[12:13]
	ds_add_f64 v16, v[8:9] offset:16384
	ds_add_f64 v16, v[10:11] offset:16392
	s_andn2_b64 s[12:13], s[12:13], exec
	s_branch .LBB77_33
.LBB77_44:
	s_or_b64 exec, exec, s[4:5]
.LBB77_45:
	s_add_i32 s4, 0, 0x14000
	v_writelane_b32 v34, s4, 14
	s_add_i32 s64, 0, 0x14004
	v_writelane_b32 v34, s64, 15
	;; [unrolled: 2-line block ×5, first 2 shown]
	s_add_i32 s64, 0, 0x14014
	s_waitcnt vmcnt(0)
	v_lshrrev_b32_e32 v5, 3, v0
	v_writelane_b32 v34, s64, 19
	s_add_i32 s64, 0, 0x14018
	v_mbcnt_lo_u32_b32 v2, -1, 0
	v_and_b32_e32 v5, 0x7c, v5
	v_writelane_b32 v34, s64, 20
	s_add_i32 s64, 0, 0x1401c
	v_mbcnt_hi_u32_b32 v2, -1, v2
	v_add_u32_e32 v5, s4, v5
	s_movk_i32 s4, 0x3ff
	v_writelane_b32 v34, s64, 21
	s_add_i32 s64, 0, 0x14020
	v_sub_u32_e32 v2, 63, v2
	v_cmp_eq_u32_e32 vcc, s4, v0
	s_movk_i32 s4, 0x5f
	s_movk_i32 s6, 0x7f
	s_movk_i32 s8, 0x9f
	s_movk_i32 s10, 0xbf
	s_movk_i32 s12, 0xdf
	s_movk_i32 s14, 0xff
	s_movk_i32 s16, 0x11f
	s_movk_i32 s18, 0x13f
	s_movk_i32 s20, 0x15f
	s_movk_i32 s22, 0x17f
	s_movk_i32 s24, 0x19f
	s_movk_i32 s26, 0x1bf
	s_movk_i32 s28, 0x1df
	s_movk_i32 s30, 0x1ff
	s_movk_i32 s34, 0x21f
	s_movk_i32 s36, 0x23f
	s_movk_i32 s38, 0x25f
	s_movk_i32 s40, 0x27f
	s_movk_i32 s42, 0x29f
	s_movk_i32 s44, 0x2bf
	s_movk_i32 s46, 0x2df
	s_movk_i32 s48, 0x2ff
	s_movk_i32 s50, 0x31f
	s_movk_i32 s52, 0x33f
	s_movk_i32 s54, 0x35f
	s_movk_i32 s56, 0x37f
	s_movk_i32 s58, 0x39f
	s_movk_i32 s60, 0x3bf
	s_movk_i32 s62, 0x3df
	v_writelane_b32 v34, s64, 22
	s_add_i32 s64, 0, 0x14024
	v_mov_b32_e32 v4, 0
	v_lshrrev_b64 v[2:3], v2, -1
	v_cmp_lt_u32_e64 s[4:5], s4, v0
	v_cmp_lt_u32_e64 s[6:7], s6, v0
	;; [unrolled: 1-line block ×29, first 2 shown]
	v_writelane_b32 v34, s64, 23
	s_add_i32 s92, 0, 0x14028
	s_add_i32 s93, 0, 0x1402c
	;; [unrolled: 1-line block ×22, first 2 shown]
	s_movk_i32 s89, 0xbff
	v_cmp_lt_u32_e64 s[64:65], 31, v0
	v_cmp_lt_u32_e64 s[66:67], 63, v0
	s_mov_b64 s[72:73], 0
	s_waitcnt lgkmcnt(0)
	s_barrier
	s_branch .LBB77_47
.LBB77_46:                              ;   in Loop: Header=BB77_47 Depth=1
	s_or_b64 exec, exec, s[68:69]
	v_mov_b32_e32 v6, s88
	s_waitcnt lgkmcnt(0)
	s_barrier
	ds_read_b32 v6, v6
	v_add_u32_e32 v23, 0x400, v23
	v_cmp_lt_u32_e64 s[68:69], s89, v23
	v_add_u32_e32 v1, 0x4000, v1
	s_or_b64 s[72:73], s[68:69], s[72:73]
	s_waitcnt lgkmcnt(0)
	v_add_u32_e32 v4, v6, v4
	v_add_u32_e32 v24, 0x1000, v24
	s_andn2_b64 exec, exec, s[72:73]
	s_cbranch_execz .LBB77_113
.LBB77_47:                              ; =>This Inner Loop Header: Depth=1
	ds_read2_b64 v[8:11], v1 offset1:1
	ds_read_b32 v7, v24
	s_waitcnt lgkmcnt(1)
	buffer_store_dword v11, off, s[0:3], 0 offset:12
	buffer_store_dword v10, off, s[0:3], 0 offset:8
	;; [unrolled: 1-line block ×3, first 2 shown]
	buffer_store_dword v8, off, s[0:3], 0
	s_waitcnt lgkmcnt(0)
	v_cmp_gt_i32_e64 s[68:69], s33, v7
	v_and_b32_e32 v8, s68, v2
	s_bcnt1_i32_b64 s82, s[68:69]
	v_and_b32_e32 v6, s69, v3
	v_bcnt_u32_b32 v8, v8, 0
	v_bcnt_u32_b32 v6, v6, v8
	v_mov_b32_e32 v8, s82
	s_barrier
	ds_write_b32 v5, v8
	s_waitcnt lgkmcnt(0)
	s_barrier
	s_and_saveexec_b64 s[82:83], s[64:65]
	s_cbranch_execnz .LBB77_80
; %bb.48:                               ;   in Loop: Header=BB77_47 Depth=1
	s_or_b64 exec, exec, s[82:83]
	s_and_saveexec_b64 s[82:83], s[66:67]
	s_cbranch_execnz .LBB77_81
.LBB77_49:                              ;   in Loop: Header=BB77_47 Depth=1
	s_or_b64 exec, exec, s[82:83]
	s_and_saveexec_b64 s[82:83], s[4:5]
	s_cbranch_execnz .LBB77_82
.LBB77_50:                              ;   in Loop: Header=BB77_47 Depth=1
	s_or_b64 exec, exec, s[82:83]
	s_and_saveexec_b64 s[82:83], s[6:7]
	s_cbranch_execnz .LBB77_83
.LBB77_51:                              ;   in Loop: Header=BB77_47 Depth=1
	s_or_b64 exec, exec, s[82:83]
	s_and_saveexec_b64 s[82:83], s[8:9]
	s_cbranch_execnz .LBB77_84
.LBB77_52:                              ;   in Loop: Header=BB77_47 Depth=1
	s_or_b64 exec, exec, s[82:83]
	s_and_saveexec_b64 s[82:83], s[10:11]
	s_cbranch_execnz .LBB77_85
.LBB77_53:                              ;   in Loop: Header=BB77_47 Depth=1
	s_or_b64 exec, exec, s[82:83]
	s_and_saveexec_b64 s[82:83], s[12:13]
	s_cbranch_execnz .LBB77_86
.LBB77_54:                              ;   in Loop: Header=BB77_47 Depth=1
	s_or_b64 exec, exec, s[82:83]
	s_and_saveexec_b64 s[82:83], s[14:15]
	s_cbranch_execnz .LBB77_87
.LBB77_55:                              ;   in Loop: Header=BB77_47 Depth=1
	s_or_b64 exec, exec, s[82:83]
	s_and_saveexec_b64 s[82:83], s[16:17]
	s_cbranch_execnz .LBB77_88
.LBB77_56:                              ;   in Loop: Header=BB77_47 Depth=1
	s_or_b64 exec, exec, s[82:83]
	s_and_saveexec_b64 s[82:83], s[18:19]
	s_cbranch_execnz .LBB77_89
.LBB77_57:                              ;   in Loop: Header=BB77_47 Depth=1
	s_or_b64 exec, exec, s[82:83]
	s_and_saveexec_b64 s[82:83], s[20:21]
	s_cbranch_execnz .LBB77_90
.LBB77_58:                              ;   in Loop: Header=BB77_47 Depth=1
	s_or_b64 exec, exec, s[82:83]
	s_and_saveexec_b64 s[82:83], s[22:23]
	s_cbranch_execnz .LBB77_91
.LBB77_59:                              ;   in Loop: Header=BB77_47 Depth=1
	s_or_b64 exec, exec, s[82:83]
	s_and_saveexec_b64 s[82:83], s[24:25]
	s_cbranch_execnz .LBB77_92
.LBB77_60:                              ;   in Loop: Header=BB77_47 Depth=1
	s_or_b64 exec, exec, s[82:83]
	s_and_saveexec_b64 s[82:83], s[26:27]
	s_cbranch_execnz .LBB77_93
.LBB77_61:                              ;   in Loop: Header=BB77_47 Depth=1
	s_or_b64 exec, exec, s[82:83]
	s_and_saveexec_b64 s[82:83], s[28:29]
	s_cbranch_execnz .LBB77_94
.LBB77_62:                              ;   in Loop: Header=BB77_47 Depth=1
	s_or_b64 exec, exec, s[82:83]
	s_and_saveexec_b64 s[82:83], s[30:31]
	s_cbranch_execnz .LBB77_95
.LBB77_63:                              ;   in Loop: Header=BB77_47 Depth=1
	s_or_b64 exec, exec, s[82:83]
	s_and_saveexec_b64 s[82:83], s[34:35]
	s_cbranch_execnz .LBB77_96
.LBB77_64:                              ;   in Loop: Header=BB77_47 Depth=1
	s_or_b64 exec, exec, s[82:83]
	s_and_saveexec_b64 s[82:83], s[36:37]
	s_cbranch_execnz .LBB77_97
.LBB77_65:                              ;   in Loop: Header=BB77_47 Depth=1
	s_or_b64 exec, exec, s[82:83]
	s_and_saveexec_b64 s[82:83], s[38:39]
	s_cbranch_execnz .LBB77_98
.LBB77_66:                              ;   in Loop: Header=BB77_47 Depth=1
	s_or_b64 exec, exec, s[82:83]
	s_and_saveexec_b64 s[82:83], s[40:41]
	s_cbranch_execnz .LBB77_99
.LBB77_67:                              ;   in Loop: Header=BB77_47 Depth=1
	s_or_b64 exec, exec, s[82:83]
	s_and_saveexec_b64 s[82:83], s[42:43]
	s_cbranch_execnz .LBB77_100
.LBB77_68:                              ;   in Loop: Header=BB77_47 Depth=1
	s_or_b64 exec, exec, s[82:83]
	s_and_saveexec_b64 s[82:83], s[44:45]
	s_cbranch_execnz .LBB77_101
.LBB77_69:                              ;   in Loop: Header=BB77_47 Depth=1
	s_or_b64 exec, exec, s[82:83]
	s_and_saveexec_b64 s[82:83], s[46:47]
	s_cbranch_execnz .LBB77_102
.LBB77_70:                              ;   in Loop: Header=BB77_47 Depth=1
	s_or_b64 exec, exec, s[82:83]
	s_and_saveexec_b64 s[82:83], s[48:49]
	s_cbranch_execnz .LBB77_103
.LBB77_71:                              ;   in Loop: Header=BB77_47 Depth=1
	s_or_b64 exec, exec, s[82:83]
	s_and_saveexec_b64 s[82:83], s[50:51]
	s_cbranch_execnz .LBB77_104
.LBB77_72:                              ;   in Loop: Header=BB77_47 Depth=1
	s_or_b64 exec, exec, s[82:83]
	s_and_saveexec_b64 s[82:83], s[52:53]
	s_cbranch_execnz .LBB77_105
.LBB77_73:                              ;   in Loop: Header=BB77_47 Depth=1
	s_or_b64 exec, exec, s[82:83]
	s_and_saveexec_b64 s[82:83], s[54:55]
	s_cbranch_execnz .LBB77_106
.LBB77_74:                              ;   in Loop: Header=BB77_47 Depth=1
	s_or_b64 exec, exec, s[82:83]
	s_and_saveexec_b64 s[82:83], s[56:57]
	s_cbranch_execnz .LBB77_107
.LBB77_75:                              ;   in Loop: Header=BB77_47 Depth=1
	s_or_b64 exec, exec, s[82:83]
	s_and_saveexec_b64 s[82:83], s[58:59]
	s_cbranch_execnz .LBB77_108
.LBB77_76:                              ;   in Loop: Header=BB77_47 Depth=1
	s_or_b64 exec, exec, s[82:83]
	s_and_saveexec_b64 s[82:83], s[60:61]
	s_cbranch_execnz .LBB77_109
.LBB77_77:                              ;   in Loop: Header=BB77_47 Depth=1
	s_or_b64 exec, exec, s[82:83]
	s_and_saveexec_b64 s[82:83], s[62:63]
	s_cbranch_execnz .LBB77_110
.LBB77_78:                              ;   in Loop: Header=BB77_47 Depth=1
	s_or_b64 exec, exec, s[82:83]
	s_and_saveexec_b64 s[82:83], s[68:69]
	s_cbranch_execnz .LBB77_111
.LBB77_79:                              ;   in Loop: Header=BB77_47 Depth=1
	s_or_b64 exec, exec, s[82:83]
	s_and_saveexec_b64 s[68:69], vcc
	s_cbranch_execz .LBB77_46
	s_branch .LBB77_112
.LBB77_80:                              ;   in Loop: Header=BB77_47 Depth=1
	v_readlane_b32 s90, v34, 14
	v_mov_b32_e32 v8, s90
	ds_read_b32 v8, v8
	s_waitcnt lgkmcnt(0)
	v_add_u32_e32 v6, v8, v6
	s_or_b64 exec, exec, s[82:83]
	s_and_saveexec_b64 s[82:83], s[66:67]
	s_cbranch_execz .LBB77_49
.LBB77_81:                              ;   in Loop: Header=BB77_47 Depth=1
	v_readlane_b32 s90, v34, 15
	v_mov_b32_e32 v8, s90
	ds_read_b32 v8, v8
	s_waitcnt lgkmcnt(0)
	v_add_u32_e32 v6, v8, v6
	s_or_b64 exec, exec, s[82:83]
	s_and_saveexec_b64 s[82:83], s[4:5]
	s_cbranch_execz .LBB77_50
.LBB77_82:                              ;   in Loop: Header=BB77_47 Depth=1
	v_readlane_b32 s90, v34, 16
	v_mov_b32_e32 v8, s90
	ds_read_b32 v8, v8
	s_waitcnt lgkmcnt(0)
	v_add_u32_e32 v6, v8, v6
	s_or_b64 exec, exec, s[82:83]
	s_and_saveexec_b64 s[82:83], s[6:7]
	s_cbranch_execz .LBB77_51
.LBB77_83:                              ;   in Loop: Header=BB77_47 Depth=1
	v_readlane_b32 s90, v34, 17
	v_mov_b32_e32 v8, s90
	ds_read_b32 v8, v8
	s_waitcnt lgkmcnt(0)
	v_add_u32_e32 v6, v8, v6
	s_or_b64 exec, exec, s[82:83]
	s_and_saveexec_b64 s[82:83], s[8:9]
	s_cbranch_execz .LBB77_52
.LBB77_84:                              ;   in Loop: Header=BB77_47 Depth=1
	v_readlane_b32 s90, v34, 18
	v_mov_b32_e32 v8, s90
	ds_read_b32 v8, v8
	s_waitcnt lgkmcnt(0)
	v_add_u32_e32 v6, v8, v6
	s_or_b64 exec, exec, s[82:83]
	s_and_saveexec_b64 s[82:83], s[10:11]
	s_cbranch_execz .LBB77_53
.LBB77_85:                              ;   in Loop: Header=BB77_47 Depth=1
	v_readlane_b32 s90, v34, 19
	v_mov_b32_e32 v8, s90
	ds_read_b32 v8, v8
	s_waitcnt lgkmcnt(0)
	v_add_u32_e32 v6, v8, v6
	s_or_b64 exec, exec, s[82:83]
	s_and_saveexec_b64 s[82:83], s[12:13]
	s_cbranch_execz .LBB77_54
.LBB77_86:                              ;   in Loop: Header=BB77_47 Depth=1
	v_readlane_b32 s90, v34, 20
	v_mov_b32_e32 v8, s90
	ds_read_b32 v8, v8
	s_waitcnt lgkmcnt(0)
	v_add_u32_e32 v6, v8, v6
	s_or_b64 exec, exec, s[82:83]
	s_and_saveexec_b64 s[82:83], s[14:15]
	s_cbranch_execz .LBB77_55
.LBB77_87:                              ;   in Loop: Header=BB77_47 Depth=1
	v_readlane_b32 s90, v34, 21
	v_mov_b32_e32 v8, s90
	ds_read_b32 v8, v8
	s_waitcnt lgkmcnt(0)
	v_add_u32_e32 v6, v8, v6
	s_or_b64 exec, exec, s[82:83]
	s_and_saveexec_b64 s[82:83], s[16:17]
	s_cbranch_execz .LBB77_56
.LBB77_88:                              ;   in Loop: Header=BB77_47 Depth=1
	v_readlane_b32 s90, v34, 22
	v_mov_b32_e32 v8, s90
	ds_read_b32 v8, v8
	s_waitcnt lgkmcnt(0)
	v_add_u32_e32 v6, v8, v6
	s_or_b64 exec, exec, s[82:83]
	s_and_saveexec_b64 s[82:83], s[18:19]
	s_cbranch_execz .LBB77_57
.LBB77_89:                              ;   in Loop: Header=BB77_47 Depth=1
	v_readlane_b32 s90, v34, 23
	v_mov_b32_e32 v8, s90
	ds_read_b32 v8, v8
	s_waitcnt lgkmcnt(0)
	v_add_u32_e32 v6, v8, v6
	s_or_b64 exec, exec, s[82:83]
	s_and_saveexec_b64 s[82:83], s[20:21]
	s_cbranch_execz .LBB77_58
.LBB77_90:                              ;   in Loop: Header=BB77_47 Depth=1
	v_mov_b32_e32 v8, s92
	ds_read_b32 v8, v8
	s_waitcnt lgkmcnt(0)
	v_add_u32_e32 v6, v8, v6
	s_or_b64 exec, exec, s[82:83]
	s_and_saveexec_b64 s[82:83], s[22:23]
	s_cbranch_execz .LBB77_59
.LBB77_91:                              ;   in Loop: Header=BB77_47 Depth=1
	v_mov_b32_e32 v8, s93
	ds_read_b32 v8, v8
	s_waitcnt lgkmcnt(0)
	v_add_u32_e32 v6, v8, v6
	s_or_b64 exec, exec, s[82:83]
	s_and_saveexec_b64 s[82:83], s[24:25]
	s_cbranch_execz .LBB77_60
.LBB77_92:                              ;   in Loop: Header=BB77_47 Depth=1
	v_mov_b32_e32 v8, s94
	ds_read_b32 v8, v8
	s_waitcnt lgkmcnt(0)
	v_add_u32_e32 v6, v8, v6
	s_or_b64 exec, exec, s[82:83]
	s_and_saveexec_b64 s[82:83], s[26:27]
	s_cbranch_execz .LBB77_61
.LBB77_93:                              ;   in Loop: Header=BB77_47 Depth=1
	v_mov_b32_e32 v8, s95
	ds_read_b32 v8, v8
	s_waitcnt lgkmcnt(0)
	v_add_u32_e32 v6, v8, v6
	s_or_b64 exec, exec, s[82:83]
	s_and_saveexec_b64 s[82:83], s[28:29]
	s_cbranch_execz .LBB77_62
.LBB77_94:                              ;   in Loop: Header=BB77_47 Depth=1
	v_mov_b32_e32 v8, s96
	ds_read_b32 v8, v8
	s_waitcnt lgkmcnt(0)
	v_add_u32_e32 v6, v8, v6
	s_or_b64 exec, exec, s[82:83]
	s_and_saveexec_b64 s[82:83], s[30:31]
	s_cbranch_execz .LBB77_63
.LBB77_95:                              ;   in Loop: Header=BB77_47 Depth=1
	v_mov_b32_e32 v8, s97
	ds_read_b32 v8, v8
	s_waitcnt lgkmcnt(0)
	v_add_u32_e32 v6, v8, v6
	s_or_b64 exec, exec, s[82:83]
	s_and_saveexec_b64 s[82:83], s[34:35]
	s_cbranch_execz .LBB77_64
.LBB77_96:                              ;   in Loop: Header=BB77_47 Depth=1
	v_mov_b32_e32 v8, s98
	ds_read_b32 v8, v8
	s_waitcnt lgkmcnt(0)
	v_add_u32_e32 v6, v8, v6
	s_or_b64 exec, exec, s[82:83]
	s_and_saveexec_b64 s[82:83], s[36:37]
	s_cbranch_execz .LBB77_65
.LBB77_97:                              ;   in Loop: Header=BB77_47 Depth=1
	v_mov_b32_e32 v8, s99
	ds_read_b32 v8, v8
	s_waitcnt lgkmcnt(0)
	v_add_u32_e32 v6, v8, v6
	s_or_b64 exec, exec, s[82:83]
	s_and_saveexec_b64 s[82:83], s[38:39]
	s_cbranch_execz .LBB77_66
.LBB77_98:                              ;   in Loop: Header=BB77_47 Depth=1
	v_mov_b32_e32 v8, s80
	ds_read_b32 v8, v8
	s_waitcnt lgkmcnt(0)
	v_add_u32_e32 v6, v8, v6
	s_or_b64 exec, exec, s[82:83]
	s_and_saveexec_b64 s[82:83], s[40:41]
	s_cbranch_execz .LBB77_67
.LBB77_99:                              ;   in Loop: Header=BB77_47 Depth=1
	v_mov_b32_e32 v8, s70
	ds_read_b32 v8, v8
	s_waitcnt lgkmcnt(0)
	v_add_u32_e32 v6, v8, v6
	s_or_b64 exec, exec, s[82:83]
	s_and_saveexec_b64 s[82:83], s[42:43]
	s_cbranch_execz .LBB77_68
.LBB77_100:                             ;   in Loop: Header=BB77_47 Depth=1
	v_mov_b32_e32 v8, s71
	ds_read_b32 v8, v8
	s_waitcnt lgkmcnt(0)
	v_add_u32_e32 v6, v8, v6
	s_or_b64 exec, exec, s[82:83]
	s_and_saveexec_b64 s[82:83], s[44:45]
	s_cbranch_execz .LBB77_69
.LBB77_101:                             ;   in Loop: Header=BB77_47 Depth=1
	v_mov_b32_e32 v8, s76
	ds_read_b32 v8, v8
	s_waitcnt lgkmcnt(0)
	v_add_u32_e32 v6, v8, v6
	s_or_b64 exec, exec, s[82:83]
	s_and_saveexec_b64 s[82:83], s[46:47]
	s_cbranch_execz .LBB77_70
.LBB77_102:                             ;   in Loop: Header=BB77_47 Depth=1
	v_mov_b32_e32 v8, s77
	ds_read_b32 v8, v8
	s_waitcnt lgkmcnt(0)
	v_add_u32_e32 v6, v8, v6
	s_or_b64 exec, exec, s[82:83]
	s_and_saveexec_b64 s[82:83], s[48:49]
	s_cbranch_execz .LBB77_71
.LBB77_103:                             ;   in Loop: Header=BB77_47 Depth=1
	v_mov_b32_e32 v8, s78
	ds_read_b32 v8, v8
	s_waitcnt lgkmcnt(0)
	v_add_u32_e32 v6, v8, v6
	s_or_b64 exec, exec, s[82:83]
	s_and_saveexec_b64 s[82:83], s[50:51]
	s_cbranch_execz .LBB77_72
.LBB77_104:                             ;   in Loop: Header=BB77_47 Depth=1
	v_mov_b32_e32 v8, s79
	ds_read_b32 v8, v8
	s_waitcnt lgkmcnt(0)
	v_add_u32_e32 v6, v8, v6
	s_or_b64 exec, exec, s[82:83]
	s_and_saveexec_b64 s[82:83], s[52:53]
	s_cbranch_execz .LBB77_73
.LBB77_105:                             ;   in Loop: Header=BB77_47 Depth=1
	v_mov_b32_e32 v8, s75
	ds_read_b32 v8, v8
	s_waitcnt lgkmcnt(0)
	v_add_u32_e32 v6, v8, v6
	s_or_b64 exec, exec, s[82:83]
	s_and_saveexec_b64 s[82:83], s[54:55]
	s_cbranch_execz .LBB77_74
.LBB77_106:                             ;   in Loop: Header=BB77_47 Depth=1
	v_mov_b32_e32 v8, s81
	ds_read_b32 v8, v8
	s_waitcnt lgkmcnt(0)
	v_add_u32_e32 v6, v8, v6
	s_or_b64 exec, exec, s[82:83]
	s_and_saveexec_b64 s[82:83], s[56:57]
	s_cbranch_execz .LBB77_75
.LBB77_107:                             ;   in Loop: Header=BB77_47 Depth=1
	v_mov_b32_e32 v8, s84
	ds_read_b32 v8, v8
	s_waitcnt lgkmcnt(0)
	v_add_u32_e32 v6, v8, v6
	s_or_b64 exec, exec, s[82:83]
	s_and_saveexec_b64 s[82:83], s[58:59]
	s_cbranch_execz .LBB77_76
.LBB77_108:                             ;   in Loop: Header=BB77_47 Depth=1
	v_mov_b32_e32 v8, s85
	ds_read_b32 v8, v8
	s_waitcnt lgkmcnt(0)
	v_add_u32_e32 v6, v8, v6
	s_or_b64 exec, exec, s[82:83]
	s_and_saveexec_b64 s[82:83], s[60:61]
	s_cbranch_execz .LBB77_77
.LBB77_109:                             ;   in Loop: Header=BB77_47 Depth=1
	v_mov_b32_e32 v8, s86
	ds_read_b32 v8, v8
	s_waitcnt lgkmcnt(0)
	v_add_u32_e32 v6, v8, v6
	s_or_b64 exec, exec, s[82:83]
	s_and_saveexec_b64 s[82:83], s[62:63]
	s_cbranch_execz .LBB77_78
.LBB77_110:                             ;   in Loop: Header=BB77_47 Depth=1
	v_mov_b32_e32 v8, s87
	ds_read_b32 v8, v8
	s_waitcnt lgkmcnt(0)
	v_add_u32_e32 v6, v8, v6
	s_or_b64 exec, exec, s[82:83]
	s_and_saveexec_b64 s[82:83], s[68:69]
	s_cbranch_execz .LBB77_79
.LBB77_111:                             ;   in Loop: Header=BB77_47 Depth=1
	buffer_load_dword v8, off, s[0:3], 0
	buffer_load_dword v9, off, s[0:3], 0 offset:4
	buffer_load_dword v10, off, s[0:3], 0 offset:8
	;; [unrolled: 1-line block ×3, first 2 shown]
	v_add3_u32 v12, v4, -1, v6
	v_lshl_add_u32 v13, v12, 2, 0
	v_lshl_add_u32 v12, v12, 4, 0
	v_add_u32_e32 v12, 0x4000, v12
	ds_write_b32 v13, v7
	s_waitcnt vmcnt(0)
	ds_write2_b64 v12, v[8:9], v[10:11] offset1:1
	s_or_b64 exec, exec, s[82:83]
	s_and_saveexec_b64 s[68:69], vcc
	s_cbranch_execz .LBB77_46
.LBB77_112:                             ;   in Loop: Header=BB77_47 Depth=1
	v_mov_b32_e32 v7, s88
	ds_write_b32 v7, v6
	s_branch .LBB77_46
.LBB77_113:
	s_or_b64 exec, exec, s[72:73]
	v_readlane_b32 s4, v34, 12
	v_readlane_b32 s5, v34, 13
	;; [unrolled: 1-line block ×3, first 2 shown]
	s_ashr_i32 s5, s4, 31
	v_readlane_b32 s10, v34, 6
	v_readlane_b32 s11, v34, 7
	;; [unrolled: 1-line block ×4, first 2 shown]
	s_lshl_b64 s[4:5], s[4:5], 2
	s_mov_b64 s[10:11], s[14:15]
	s_add_u32 s4, s10, s4
	s_addc_u32 s5, s11, s5
	s_load_dwordx2 s[4:5], s[4:5], 0x0
	v_readlane_b32 s9, v34, 5
	v_readlane_b32 s12, v34, 8
	;; [unrolled: 1-line block ×3, first 2 shown]
	s_waitcnt lgkmcnt(0)
	s_sub_i32 s18, s5, s4
	v_cmp_gt_i32_e32 vcc, s18, v0
	s_and_saveexec_b64 s[6:7], vcc
	s_cbranch_execz .LBB77_128
; %bb.114:
	s_sub_i32 s10, s4, s74
	s_add_i32 s4, s18, -2
	s_lshr_b32 s5, s4, 1
	s_add_i32 s6, s5, 1
	s_cmp_gt_u32 s18, 1
	s_cselect_b64 s[12:13], -1, 0
	s_and_b32 s19, s18, -2
	s_and_b32 s8, s6, 7
	s_cmp_gt_u32 s4, 13
	s_cselect_b64 s[4:5], -1, 0
	s_and_b32 s20, s6, -8
	s_cmp_lg_u32 s8, 0
	s_cselect_b64 s[6:7], -1, 0
	v_cndmask_b32_e64 v1, 0, 1, s[4:5]
	v_readlane_b32 s24, v34, 0
	s_cmp_lg_u32 s18, s19
	v_cmp_ne_u32_e64 s[4:5], 1, v1
	v_cndmask_b32_e64 v1, 0, 1, s[6:7]
	v_readlane_b32 s25, v34, 1
	v_readlane_b32 s27, v34, 3
	s_mov_b32 s11, 0
	s_cselect_b64 s[14:15], -1, 0
	s_lshl_b32 s21, s8, 3
	s_mov_b64 s[16:17], 0
	v_cmp_ne_u32_e64 s[6:7], 1, v1
	s_movk_i32 s22, 0x4000
	v_mov_b32_e32 v1, s25
	v_mov_b32_e32 v4, s27
	v_readlane_b32 s26, v34, 2
	s_branch .LBB77_116
.LBB77_115:                             ;   in Loop: Header=BB77_116 Depth=1
	v_mul_lo_u32 v3, v0, 12
	v_add3_u32 v5, v5, v3, s22
	v_ashrrev_i32_e32 v3, 31, v2
	s_waitcnt lgkmcnt(0)
	v_add_u32_e32 v8, s74, v6
	v_lshlrev_b64 v[6:7], 2, v[2:3]
	v_readlane_b32 s24, v34, 0
	v_add_co_u32_e32 v6, vcc, s24, v6
	v_addc_co_u32_e32 v7, vcc, v1, v7, vcc
	v_readlane_b32 s26, v34, 2
	global_store_dword v[6:7], v8, off
	v_lshlrev_b64 v[2:3], 4, v[2:3]
	ds_read2_b64 v[6:9], v5 offset1:1
	v_add_co_u32_e32 v2, vcc, s26, v2
	v_addc_co_u32_e32 v3, vcc, v4, v3, vcc
	v_add_u32_e32 v0, 0x400, v0
	v_cmp_le_i32_e32 vcc, s18, v0
	s_or_b64 s[16:17], vcc, s[16:17]
	v_readlane_b32 s25, v34, 1
	v_readlane_b32 s27, v34, 3
	s_waitcnt lgkmcnt(0)
	global_store_dwordx4 v[2:3], v[6:9], off
	s_andn2_b64 exec, exec, s[16:17]
	s_cbranch_execz .LBB77_128
.LBB77_116:                             ; =>This Loop Header: Depth=1
                                        ;     Child Loop BB77_119 Depth 2
                                        ;     Child Loop BB77_124 Depth 2
	;; [unrolled: 1-line block ×3, first 2 shown]
	v_lshl_add_u32 v5, v0, 2, 0
	ds_read_b32 v6, v5
	s_and_b64 vcc, exec, s[12:13]
	s_cbranch_vccz .LBB77_121
; %bb.117:                              ;   in Loop: Header=BB77_116 Depth=1
	s_and_b64 vcc, exec, s[4:5]
	s_cbranch_vccnz .LBB77_122
; %bb.118:                              ;   in Loop: Header=BB77_116 Depth=1
	s_mov_b32 s24, 0
	v_mov_b32_e32 v2, s10
	v_mov_b32_e32 v3, 0
	s_mov_b32 s25, s20
	s_mov_b32 s23, 0
.LBB77_119:                             ;   Parent Loop BB77_116 Depth=1
                                        ; =>  This Inner Loop Header: Depth=2
	v_mov_b32_e32 v7, s24
	ds_read2_b32 v[8:9], v7 offset1:1
	ds_read2_b32 v[10:11], v7 offset0:2 offset1:3
	ds_read2_b32 v[12:13], v7 offset0:4 offset1:5
	;; [unrolled: 1-line block ×7, first 2 shown]
	s_waitcnt lgkmcnt(7)
	v_cmp_gt_i32_e32 vcc, v6, v9
	s_waitcnt lgkmcnt(5)
	v_cmp_gt_i32_e64 s[8:9], v6, v12
	v_cndmask_b32_e64 v7, 0, 1, vcc
	v_cmp_gt_i32_e32 vcc, v6, v8
	v_cndmask_b32_e64 v9, 0, 1, s[8:9]
	v_cmp_gt_i32_e64 s[8:9], v6, v13
	v_cndmask_b32_e64 v8, 0, 1, vcc
	v_cmp_gt_i32_e32 vcc, v6, v11
	v_cndmask_b32_e64 v11, 0, 1, s[8:9]
	s_waitcnt lgkmcnt(3)
	v_cmp_gt_i32_e64 s[8:9], v6, v17
	v_cndmask_b32_e64 v12, 0, 1, s[8:9]
	v_cmp_gt_i32_e64 s[8:9], v6, v16
	v_cndmask_b32_e64 v13, 0, 1, s[8:9]
	s_waitcnt lgkmcnt(1)
	v_cmp_gt_i32_e64 s[8:9], v6, v20
	v_cndmask_b32_e64 v16, 0, 1, s[8:9]
	v_cmp_gt_i32_e64 s[8:9], v6, v21
	v_cndmask_b32_e64 v17, 0, 1, s[8:9]
	v_cmp_gt_i32_e64 s[8:9], v6, v10
	v_addc_co_u32_e64 v2, s[8:9], v2, v8, s[8:9]
	v_addc_co_u32_e32 v3, vcc, v3, v7, vcc
	v_cmp_gt_i32_e32 vcc, v6, v14
	v_cmp_gt_i32_e64 s[8:9], v6, v15
	v_addc_co_u32_e64 v3, s[8:9], v3, v11, s[8:9]
	v_addc_co_u32_e32 v2, vcc, v2, v9, vcc
	v_cmp_gt_i32_e32 vcc, v6, v19
	v_cmp_gt_i32_e64 s[8:9], v6, v18
	v_addc_co_u32_e64 v2, s[8:9], v2, v13, s[8:9]
	v_addc_co_u32_e32 v3, vcc, v3, v12, vcc
	s_add_i32 s23, s23, 16
	s_add_i32 s24, s24, 64
	s_add_i32 s25, s25, -8
	s_waitcnt lgkmcnt(0)
	v_cmp_gt_i32_e32 vcc, v6, v22
	v_cmp_gt_i32_e64 s[8:9], v6, v23
	s_cmp_lg_u32 s25, 0
	v_addc_co_u32_e64 v3, s[8:9], v3, v17, s[8:9]
	v_addc_co_u32_e32 v2, vcc, v2, v16, vcc
	s_cbranch_scc1 .LBB77_119
; %bb.120:                              ;   in Loop: Header=BB77_116 Depth=1
	s_and_b64 vcc, exec, s[6:7]
	s_cbranch_vccz .LBB77_123
	s_branch .LBB77_125
.LBB77_121:                             ;   in Loop: Header=BB77_116 Depth=1
	v_mov_b32_e32 v2, s10
	s_mov_b32 s23, 0
	s_cbranch_execz .LBB77_115
	s_branch .LBB77_126
.LBB77_122:                             ;   in Loop: Header=BB77_116 Depth=1
	v_pk_mov_b32 v[2:3], s[10:11], s[10:11] op_sel:[0,1]
	s_mov_b32 s23, 0
	s_and_b64 vcc, exec, s[6:7]
	s_cbranch_vccnz .LBB77_125
.LBB77_123:                             ;   in Loop: Header=BB77_116 Depth=1
	s_lshl_b32 s8, s23, 2
	s_add_i32 s8, s8, 0
	s_mov_b32 s9, s21
.LBB77_124:                             ;   Parent Loop BB77_116 Depth=1
                                        ; =>  This Inner Loop Header: Depth=2
	v_mov_b32_e32 v7, s8
	ds_read2_b32 v[8:9], v7 offset1:1
	s_add_i32 s8, s8, 8
	s_add_i32 s9, s9, -8
	s_cmp_lg_u32 s9, 0
	s_waitcnt lgkmcnt(0)
	v_cmp_gt_i32_e32 vcc, v6, v9
	v_addc_co_u32_e32 v3, vcc, 0, v3, vcc
	v_cmp_gt_i32_e32 vcc, v6, v8
	v_addc_co_u32_e32 v2, vcc, 0, v2, vcc
	s_cbranch_scc1 .LBB77_124
.LBB77_125:                             ;   in Loop: Header=BB77_116 Depth=1
	v_add_u32_e32 v2, v2, v3
	s_mov_b32 s23, s19
	s_mov_b64 s[8:9], s[14:15]
	s_and_b64 vcc, exec, s[8:9]
	s_cbranch_vccz .LBB77_115
.LBB77_126:                             ;   in Loop: Header=BB77_116 Depth=1
	s_lshl_b32 s8, s23, 2
	s_add_i32 s8, s8, 0
.LBB77_127:                             ;   Parent Loop BB77_116 Depth=1
                                        ; =>  This Inner Loop Header: Depth=2
	v_mov_b32_e32 v3, s8
	ds_read_b32 v3, v3
	s_add_i32 s23, s23, 1
	s_add_i32 s8, s8, 4
	s_cmp_ge_i32 s23, s18
	s_waitcnt lgkmcnt(0)
	v_cmp_gt_i32_e32 vcc, v6, v3
	v_addc_co_u32_e32 v2, vcc, 0, v2, vcc
	s_cbranch_scc0 .LBB77_127
	s_branch .LBB77_115
.LBB77_128:
	s_endpgm
	.section	.rodata,"a",@progbits
	.p2align	6, 0x0
	.amdhsa_kernel _ZN9rocsparseL26csrgemm_fill_block_per_rowILj1024ELj64ELj4096ELj137ELj32Eii21rocsparse_complex_numIdEEEvT5_PKS3_S5_NS_24const_host_device_scalarIT6_EEPKT4_S5_PKS7_SB_S5_SD_S8_SB_S5_SD_SB_PS3_PS7_21rocsparse_index_base_SG_SG_SG_bbb
		.amdhsa_group_segment_fixed_size 0
		.amdhsa_private_segment_fixed_size 40
		.amdhsa_kernarg_size 172
		.amdhsa_user_sgpr_count 8
		.amdhsa_user_sgpr_private_segment_buffer 1
		.amdhsa_user_sgpr_dispatch_ptr 0
		.amdhsa_user_sgpr_queue_ptr 0
		.amdhsa_user_sgpr_kernarg_segment_ptr 1
		.amdhsa_user_sgpr_dispatch_id 0
		.amdhsa_user_sgpr_flat_scratch_init 1
		.amdhsa_user_sgpr_kernarg_preload_length 0
		.amdhsa_user_sgpr_kernarg_preload_offset 0
		.amdhsa_user_sgpr_private_segment_size 0
		.amdhsa_uses_dynamic_stack 0
		.amdhsa_system_sgpr_private_segment_wavefront_offset 1
		.amdhsa_system_sgpr_workgroup_id_x 1
		.amdhsa_system_sgpr_workgroup_id_y 0
		.amdhsa_system_sgpr_workgroup_id_z 0
		.amdhsa_system_sgpr_workgroup_info 0
		.amdhsa_system_vgpr_workitem_id 0
		.amdhsa_next_free_vgpr 35
		.amdhsa_next_free_sgpr 100
		.amdhsa_accum_offset 36
		.amdhsa_reserve_vcc 1
		.amdhsa_reserve_flat_scratch 1
		.amdhsa_float_round_mode_32 0
		.amdhsa_float_round_mode_16_64 0
		.amdhsa_float_denorm_mode_32 3
		.amdhsa_float_denorm_mode_16_64 3
		.amdhsa_dx10_clamp 1
		.amdhsa_ieee_mode 1
		.amdhsa_fp16_overflow 0
		.amdhsa_tg_split 0
		.amdhsa_exception_fp_ieee_invalid_op 0
		.amdhsa_exception_fp_denorm_src 0
		.amdhsa_exception_fp_ieee_div_zero 0
		.amdhsa_exception_fp_ieee_overflow 0
		.amdhsa_exception_fp_ieee_underflow 0
		.amdhsa_exception_fp_ieee_inexact 0
		.amdhsa_exception_int_div_zero 0
	.end_amdhsa_kernel
	.section	.text._ZN9rocsparseL26csrgemm_fill_block_per_rowILj1024ELj64ELj4096ELj137ELj32Eii21rocsparse_complex_numIdEEEvT5_PKS3_S5_NS_24const_host_device_scalarIT6_EEPKT4_S5_PKS7_SB_S5_SD_S8_SB_S5_SD_SB_PS3_PS7_21rocsparse_index_base_SG_SG_SG_bbb,"axG",@progbits,_ZN9rocsparseL26csrgemm_fill_block_per_rowILj1024ELj64ELj4096ELj137ELj32Eii21rocsparse_complex_numIdEEEvT5_PKS3_S5_NS_24const_host_device_scalarIT6_EEPKT4_S5_PKS7_SB_S5_SD_S8_SB_S5_SD_SB_PS3_PS7_21rocsparse_index_base_SG_SG_SG_bbb,comdat
.Lfunc_end77:
	.size	_ZN9rocsparseL26csrgemm_fill_block_per_rowILj1024ELj64ELj4096ELj137ELj32Eii21rocsparse_complex_numIdEEEvT5_PKS3_S5_NS_24const_host_device_scalarIT6_EEPKT4_S5_PKS7_SB_S5_SD_S8_SB_S5_SD_SB_PS3_PS7_21rocsparse_index_base_SG_SG_SG_bbb, .Lfunc_end77-_ZN9rocsparseL26csrgemm_fill_block_per_rowILj1024ELj64ELj4096ELj137ELj32Eii21rocsparse_complex_numIdEEEvT5_PKS3_S5_NS_24const_host_device_scalarIT6_EEPKT4_S5_PKS7_SB_S5_SD_S8_SB_S5_SD_SB_PS3_PS7_21rocsparse_index_base_SG_SG_SG_bbb
                                        ; -- End function
	.section	.AMDGPU.csdata,"",@progbits
; Kernel info:
; codeLenInByte = 5604
; NumSgprs: 106
; NumVgprs: 35
; NumAgprs: 0
; TotalNumVgprs: 35
; ScratchSize: 40
; MemoryBound: 0
; FloatMode: 240
; IeeeMode: 1
; LDSByteSize: 0 bytes/workgroup (compile time only)
; SGPRBlocks: 13
; VGPRBlocks: 4
; NumSGPRsForWavesPerEU: 106
; NumVGPRsForWavesPerEU: 35
; AccumOffset: 36
; Occupancy: 7
; WaveLimiterHint : 1
; COMPUTE_PGM_RSRC2:SCRATCH_EN: 1
; COMPUTE_PGM_RSRC2:USER_SGPR: 8
; COMPUTE_PGM_RSRC2:TRAP_HANDLER: 0
; COMPUTE_PGM_RSRC2:TGID_X_EN: 1
; COMPUTE_PGM_RSRC2:TGID_Y_EN: 0
; COMPUTE_PGM_RSRC2:TGID_Z_EN: 0
; COMPUTE_PGM_RSRC2:TIDIG_COMP_CNT: 0
; COMPUTE_PGM_RSRC3_GFX90A:ACCUM_OFFSET: 8
; COMPUTE_PGM_RSRC3_GFX90A:TG_SPLIT: 0
	.section	.text._ZN9rocsparseL26csrgemm_fill_block_per_rowILj1024ELj64ELj4096ELj137ELj64Eii21rocsparse_complex_numIdEEEvT5_PKS3_S5_NS_24const_host_device_scalarIT6_EEPKT4_S5_PKS7_SB_S5_SD_S8_SB_S5_SD_SB_PS3_PS7_21rocsparse_index_base_SG_SG_SG_bbb,"axG",@progbits,_ZN9rocsparseL26csrgemm_fill_block_per_rowILj1024ELj64ELj4096ELj137ELj64Eii21rocsparse_complex_numIdEEEvT5_PKS3_S5_NS_24const_host_device_scalarIT6_EEPKT4_S5_PKS7_SB_S5_SD_S8_SB_S5_SD_SB_PS3_PS7_21rocsparse_index_base_SG_SG_SG_bbb,comdat
	.globl	_ZN9rocsparseL26csrgemm_fill_block_per_rowILj1024ELj64ELj4096ELj137ELj64Eii21rocsparse_complex_numIdEEEvT5_PKS3_S5_NS_24const_host_device_scalarIT6_EEPKT4_S5_PKS7_SB_S5_SD_S8_SB_S5_SD_SB_PS3_PS7_21rocsparse_index_base_SG_SG_SG_bbb ; -- Begin function _ZN9rocsparseL26csrgemm_fill_block_per_rowILj1024ELj64ELj4096ELj137ELj64Eii21rocsparse_complex_numIdEEEvT5_PKS3_S5_NS_24const_host_device_scalarIT6_EEPKT4_S5_PKS7_SB_S5_SD_S8_SB_S5_SD_SB_PS3_PS7_21rocsparse_index_base_SG_SG_SG_bbb
	.p2align	8
	.type	_ZN9rocsparseL26csrgemm_fill_block_per_rowILj1024ELj64ELj4096ELj137ELj64Eii21rocsparse_complex_numIdEEEvT5_PKS3_S5_NS_24const_host_device_scalarIT6_EEPKT4_S5_PKS7_SB_S5_SD_S8_SB_S5_SD_SB_PS3_PS7_21rocsparse_index_base_SG_SG_SG_bbb,@function
_ZN9rocsparseL26csrgemm_fill_block_per_rowILj1024ELj64ELj4096ELj137ELj64Eii21rocsparse_complex_numIdEEEvT5_PKS3_S5_NS_24const_host_device_scalarIT6_EEPKT4_S5_PKS7_SB_S5_SD_S8_SB_S5_SD_SB_PS3_PS7_21rocsparse_index_base_SG_SG_SG_bbb: ; @_ZN9rocsparseL26csrgemm_fill_block_per_rowILj1024ELj64ELj4096ELj137ELj64Eii21rocsparse_complex_numIdEEEvT5_PKS3_S5_NS_24const_host_device_scalarIT6_EEPKT4_S5_PKS7_SB_S5_SD_S8_SB_S5_SD_SB_PS3_PS7_21rocsparse_index_base_SG_SG_SG_bbb
; %bb.0:
	s_add_u32 flat_scratch_lo, s6, s9
	s_addc_u32 flat_scratch_hi, s7, 0
	s_load_dwordx4 s[12:15], s[4:5], 0x18
	s_load_dwordx4 s[28:31], s[4:5], 0x58
	s_add_u32 s0, s0, s9
	s_load_dword s9, s[4:5], 0xa8
	s_load_dwordx4 s[44:47], s[4:5], 0x98
	s_addc_u32 s1, s1, 0
	s_waitcnt lgkmcnt(0)
	v_mov_b32_e32 v1, s13
	buffer_store_dword v1, off, s[0:3], 0 offset:20
	s_bitcmp1_b32 s9, 0
	s_cselect_b64 s[54:55], -1, 0
	s_bitcmp1_b32 s9, 16
	v_mov_b32_e32 v1, s12
	s_cselect_b64 s[6:7], -1, 0
	buffer_store_dword v1, off, s[0:3], 0 offset:16
	v_mov_b32_e32 v1, s29
	buffer_store_dword v1, off, s[0:3], 0 offset:28
	v_mov_b32_e32 v1, s28
	s_xor_b64 s[10:11], s[6:7], -1
	buffer_store_dword v1, off, s[0:3], 0 offset:24
	v_pk_mov_b32 v[2:3], 0, 0
	v_cndmask_b32_e64 v1, 0, 1, s[10:11]
	s_bitcmp0_b32 s9, 0
	v_cmp_ne_u32_e64 s[10:11], 1, v1
	v_pk_mov_b32 v[6:7], v[2:3], v[2:3] op_sel:[0,1]
	v_pk_mov_b32 v[8:9], v[2:3], v[2:3] op_sel:[0,1]
	s_cbranch_scc1 .LBB78_3
; %bb.1:
	s_mov_b64 s[16:17], src_private_base
	s_and_b64 s[18:19], s[6:7], exec
	s_cselect_b32 s16, s17, s13
	v_mov_b32_e32 v1, 16
	v_mov_b32_e32 v4, s12
	v_cndmask_b32_e64 v4, v4, v1, s[6:7]
	v_mov_b32_e32 v5, s16
	flat_load_dwordx2 v[6:7], v[4:5]
	s_and_b64 vcc, exec, s[10:11]
	v_pk_mov_b32 v[8:9], s[14:15], s[14:15] op_sel:[0,1]
	s_cbranch_vccnz .LBB78_3
; %bb.2:
	v_pk_mov_b32 v[4:5], s[12:13], s[12:13] op_sel:[0,1]
	flat_load_dwordx2 v[8:9], v[4:5] offset:8
.LBB78_3:
	s_load_dwordx4 s[48:51], s[4:5], 0x88
	s_load_dwordx8 s[36:43], s[4:5], 0x68
	s_load_dwordx4 s[20:23], s[4:5], 0x48
	s_load_dwordx4 s[24:27], s[4:5], 0x8
	s_load_dwordx8 s[12:19], s[4:5], 0x28
	s_bitcmp1_b32 s9, 8
	s_cselect_b64 s[34:35], -1, 0
	s_bfe_u32 s9, s9, 0x10008
	s_mov_b64 s[52:53], 0
	s_cmp_eq_u32 s9, 0
	v_pk_mov_b32 v[4:5], v[2:3], v[2:3] op_sel:[0,1]
	s_cbranch_scc1 .LBB78_6
; %bb.4:
	s_mov_b64 s[56:57], src_private_base
	s_and_b64 s[58:59], s[6:7], exec
	s_cselect_b32 s9, s57, s29
	v_mov_b32_e32 v1, 24
	v_mov_b32_e32 v2, s28
	v_cndmask_b32_e64 v2, v2, v1, s[6:7]
	v_mov_b32_e32 v3, s9
	flat_load_dwordx2 v[4:5], v[2:3]
	s_and_b64 vcc, exec, s[10:11]
	v_pk_mov_b32 v[2:3], s[30:31], s[30:31] op_sel:[0,1]
	s_cbranch_vccnz .LBB78_6
; %bb.5:
	v_pk_mov_b32 v[2:3], s[28:29], s[28:29] op_sel:[0,1]
	flat_load_dwordx2 v[2:3], v[2:3] offset:8
.LBB78_6:
	s_load_dword s33, s[4:5], 0x0
	s_mov_b32 s4, 0
	v_lshl_add_u32 v1, v0, 4, 0
	v_add_u32_e32 v1, 0x4000, v1
	v_or_b32_e32 v23, 0xfffffc00, v0
	v_lshl_add_u32 v24, v0, 2, 0
	s_mov_b32 s5, s4
	s_mov_b32 s6, s4
	;; [unrolled: 1-line block ×3, first 2 shown]
	s_waitcnt lgkmcnt(0)
	v_mov_b32_e32 v14, s33
	v_pk_mov_b32 v[10:11], s[4:5], s[4:5] op_sel:[0,1]
	v_pk_mov_b32 v[12:13], s[6:7], s[6:7] op_sel:[0,1]
	s_movk_i32 s4, 0xbff
	v_mov_b32_e32 v15, v24
	v_mov_b32_e32 v16, v23
	v_mov_b32_e32 v17, v1
.LBB78_7:                               ; =>This Inner Loop Header: Depth=1
	v_add_u32_e32 v16, 0x400, v16
	v_cmp_lt_u32_e32 vcc, s4, v16
	ds_write_b32 v15, v14
	ds_write2_b64 v17, v[10:11], v[12:13] offset1:1
	v_add_u32_e32 v17, 0x4000, v17
	s_or_b64 s[52:53], vcc, s[52:53]
	v_add_u32_e32 v15, 0x1000, v15
	s_andn2_b64 exec, exec, s[52:53]
	s_cbranch_execnz .LBB78_7
; %bb.8:
	s_or_b64 exec, exec, s[52:53]
	s_waitcnt lgkmcnt(0)
	s_barrier
	s_load_dword s4, s[24:25], 0x0
	s_mov_b32 s5, 0
	v_lshrrev_b32_e32 v25, 6, v0
	s_waitcnt lgkmcnt(0)
	s_add_i32 s4, s4, s8
	s_lshl_b64 s[4:5], s[4:5], 2
	s_add_u32 s4, s26, s4
	s_addc_u32 s5, s27, s5
	s_load_dword s52, s[4:5], 0x0
	s_and_b64 vcc, exec, s[54:55]
	s_cbranch_vccz .LBB78_28
; %bb.9:
	s_waitcnt lgkmcnt(0)
	s_ashr_i32 s53, s52, 31
	s_lshl_b64 s[4:5], s[52:53], 2
	s_add_u32 s4, s12, s4
	s_addc_u32 s5, s13, s5
	s_load_dwordx2 s[4:5], s[4:5], 0x0
	v_subrev_u32_e32 v10, s44, v25
	s_waitcnt lgkmcnt(0)
	s_sub_i32 s53, s5, s44
	v_add_u32_e32 v10, s4, v10
	v_cmp_gt_i32_e32 vcc, s53, v10
	s_and_saveexec_b64 s[4:5], vcc
	s_cbranch_execz .LBB78_27
; %bb.10:
	v_and_b32_e32 v11, 63, v0
	v_subrev_u32_e32 v26, s45, v11
	s_mov_b64 s[6:7], 0
	v_mov_b32_e32 v27, s15
	v_mov_b32_e32 v28, s19
	s_movk_i32 s15, 0x89
	s_branch .LBB78_12
.LBB78_11:                              ;   in Loop: Header=BB78_12 Depth=1
	s_or_b64 exec, exec, s[8:9]
	v_add_u32_e32 v10, 16, v10
	v_cmp_le_i32_e32 vcc, s53, v10
	s_or_b64 s[6:7], vcc, s[6:7]
	s_andn2_b64 exec, exec, s[6:7]
	s_cbranch_execz .LBB78_27
.LBB78_12:                              ; =>This Loop Header: Depth=1
                                        ;     Child Loop BB78_15 Depth 2
                                        ;       Child Loop BB78_17 Depth 3
	v_ashrrev_i32_e32 v11, 31, v10
	v_lshlrev_b64 v[12:13], 2, v[10:11]
	v_add_co_u32_e32 v12, vcc, s14, v12
	v_addc_co_u32_e32 v13, vcc, v27, v13, vcc
	global_load_dword v12, v[12:13], off
	s_waitcnt vmcnt(0)
	v_subrev_u32_e32 v12, s44, v12
	v_ashrrev_i32_e32 v13, 31, v12
	v_lshlrev_b64 v[12:13], 2, v[12:13]
	v_add_co_u32_e32 v12, vcc, s18, v12
	v_addc_co_u32_e32 v13, vcc, v28, v13, vcc
	global_load_dwordx2 v[12:13], v[12:13], off
	s_waitcnt vmcnt(0)
	v_subrev_u32_e32 v29, s45, v13
	v_add_u32_e32 v12, v12, v26
	v_cmp_lt_i32_e32 vcc, v12, v29
	s_and_saveexec_b64 s[8:9], vcc
	s_cbranch_execz .LBB78_11
; %bb.13:                               ;   in Loop: Header=BB78_12 Depth=1
	v_lshlrev_b64 v[14:15], 4, v[10:11]
	v_mov_b32_e32 v11, s17
	v_add_co_u32_e32 v14, vcc, s16, v14
	v_addc_co_u32_e32 v15, vcc, v11, v15, vcc
	global_load_dwordx4 v[18:21], v[14:15], off
	s_mov_b64 s[10:11], 0
	s_waitcnt vmcnt(0)
	v_mul_f64 v[14:15], v[20:21], -v[8:9]
	v_mul_f64 v[16:17], v[6:7], v[20:21]
	v_fmac_f64_e32 v[14:15], v[6:7], v[18:19]
	v_fmac_f64_e32 v[16:17], v[8:9], v[18:19]
	s_branch .LBB78_15
.LBB78_14:                              ;   in Loop: Header=BB78_15 Depth=2
	s_or_b64 exec, exec, s[12:13]
	v_add_u32_e32 v12, 64, v12
	v_cmp_ge_i32_e32 vcc, v12, v29
	s_or_b64 s[10:11], vcc, s[10:11]
	s_andn2_b64 exec, exec, s[10:11]
	s_cbranch_execz .LBB78_11
.LBB78_15:                              ;   Parent Loop BB78_12 Depth=1
                                        ; =>  This Loop Header: Depth=2
                                        ;       Child Loop BB78_17 Depth 3
	v_ashrrev_i32_e32 v13, 31, v12
	v_lshlrev_b64 v[18:19], 2, v[12:13]
	v_mov_b32_e32 v11, s21
	v_add_co_u32_e32 v18, vcc, s20, v18
	v_addc_co_u32_e32 v19, vcc, v11, v19, vcc
	global_load_dword v11, v[18:19], off
	v_lshlrev_b64 v[18:19], 4, v[12:13]
	v_mov_b32_e32 v13, s23
	v_add_co_u32_e32 v18, vcc, s22, v18
	v_addc_co_u32_e32 v19, vcc, v13, v19, vcc
	global_load_dwordx4 v[30:33], v[18:19], off
	s_mov_b64 s[12:13], 0
	s_waitcnt vmcnt(1)
	v_subrev_u32_e32 v11, s45, v11
	v_mul_lo_u32 v13, v11, s15
	v_and_b32_e32 v13, 0xfff, v13
	s_waitcnt vmcnt(0)
	v_mul_f64 v[18:19], v[32:33], -v[16:17]
	v_mul_f64 v[20:21], v[14:15], v[32:33]
	v_fmac_f64_e32 v[18:19], v[14:15], v[30:31]
	v_fmac_f64_e32 v[20:21], v[16:17], v[30:31]
	s_branch .LBB78_17
.LBB78_16:                              ;   in Loop: Header=BB78_17 Depth=3
	s_or_b64 exec, exec, s[24:25]
	s_xor_b64 s[24:25], s[26:27], -1
	s_and_b64 s[24:25], exec, s[24:25]
	s_or_b64 s[12:13], s[24:25], s[12:13]
	s_andn2_b64 exec, exec, s[12:13]
	s_cbranch_execz .LBB78_14
.LBB78_17:                              ;   Parent Loop BB78_12 Depth=1
                                        ;     Parent Loop BB78_15 Depth=2
                                        ; =>    This Inner Loop Header: Depth=3
	v_lshl_add_u32 v22, v13, 2, 0
	ds_read_b32 v30, v22
                                        ; implicit-def: $sgpr26_sgpr27
	s_waitcnt lgkmcnt(0)
	v_cmp_ne_u32_e32 vcc, v30, v11
	s_and_saveexec_b64 s[24:25], vcc
	s_xor_b64 s[24:25], exec, s[24:25]
	s_cbranch_execz .LBB78_25
; %bb.18:                               ;   in Loop: Header=BB78_17 Depth=3
	v_cmp_ne_u32_e32 vcc, s33, v30
                                        ; implicit-def: $sgpr26_sgpr27
	s_and_saveexec_b64 s[28:29], vcc
	s_xor_b64 s[28:29], exec, s[28:29]
; %bb.19:                               ;   in Loop: Header=BB78_17 Depth=3
	v_add_u32_e32 v13, 1, v13
	v_and_b32_e32 v13, 0xfff, v13
	s_mov_b64 s[26:27], -1
                                        ; implicit-def: $vgpr22
; %bb.20:                               ;   in Loop: Header=BB78_17 Depth=3
	s_andn2_saveexec_b64 s[28:29], s[28:29]
	s_cbranch_execz .LBB78_24
; %bb.21:                               ;   in Loop: Header=BB78_17 Depth=3
	v_mov_b32_e32 v30, s33
	ds_cmpst_rtn_b32 v30, v22, v30, v11
	s_mov_b64 s[54:55], -1
	s_waitcnt lgkmcnt(0)
	v_cmp_eq_u32_e32 vcc, s33, v30
	s_and_saveexec_b64 s[30:31], vcc
	s_cbranch_execz .LBB78_23
; %bb.22:                               ;   in Loop: Header=BB78_17 Depth=3
	v_mad_u64_u32 v[30:31], s[54:55], v13, 12, v[22:23]
	ds_add_f64 v30, v[18:19] offset:16384
	ds_add_f64 v30, v[20:21] offset:16392
	s_xor_b64 s[54:55], exec, -1
.LBB78_23:                              ;   in Loop: Header=BB78_17 Depth=3
	s_or_b64 exec, exec, s[30:31]
	s_andn2_b64 s[26:27], s[26:27], exec
	s_and_b64 s[30:31], s[54:55], exec
	s_or_b64 s[26:27], s[26:27], s[30:31]
.LBB78_24:                              ;   in Loop: Header=BB78_17 Depth=3
	s_or_b64 exec, exec, s[28:29]
	s_and_b64 s[26:27], s[26:27], exec
                                        ; implicit-def: $vgpr22
.LBB78_25:                              ;   in Loop: Header=BB78_17 Depth=3
	s_andn2_saveexec_b64 s[24:25], s[24:25]
	s_cbranch_execz .LBB78_16
; %bb.26:                               ;   in Loop: Header=BB78_17 Depth=3
	v_mad_u64_u32 v[30:31], s[28:29], v13, 12, v[22:23]
	ds_add_f64 v30, v[18:19] offset:16384
	ds_add_f64 v30, v[20:21] offset:16392
	s_andn2_b64 s[26:27], s[26:27], exec
	s_branch .LBB78_16
.LBB78_27:
	s_or_b64 exec, exec, s[4:5]
.LBB78_28:
	s_andn2_b64 vcc, exec, s[34:35]
	s_cbranch_vccnz .LBB78_45
; %bb.29:
	s_waitcnt lgkmcnt(0)
	s_ashr_i32 s53, s52, 31
	s_lshl_b64 s[4:5], s[52:53], 2
	s_add_u32 s4, s36, s4
	s_addc_u32 s5, s37, s5
	s_load_dwordx2 s[4:5], s[4:5], 0x0
	s_waitcnt vmcnt(0)
	v_subrev_u32_e32 v6, s47, v0
	s_waitcnt lgkmcnt(0)
	s_sub_i32 s20, s5, s47
	v_add_u32_e32 v6, s4, v6
	v_cmp_gt_i32_e32 vcc, s20, v6
	s_and_saveexec_b64 s[4:5], vcc
	s_cbranch_execz .LBB78_44
; %bb.30:
	s_mov_b64 s[6:7], 0
	v_mov_b32_e32 v13, s39
	v_mov_b32_e32 v14, s41
	s_movk_i32 s21, 0x89
	s_branch .LBB78_32
.LBB78_31:                              ;   in Loop: Header=BB78_32 Depth=1
	s_or_b64 exec, exec, s[8:9]
	v_add_u32_e32 v6, 0x400, v6
	v_cmp_le_i32_e32 vcc, s20, v6
	s_or_b64 s[6:7], vcc, s[6:7]
	s_andn2_b64 exec, exec, s[6:7]
	s_cbranch_execz .LBB78_44
.LBB78_32:                              ; =>This Loop Header: Depth=1
                                        ;     Child Loop BB78_34 Depth 2
	v_ashrrev_i32_e32 v7, 31, v6
	v_lshlrev_b64 v[8:9], 2, v[6:7]
	v_add_co_u32_e32 v8, vcc, s38, v8
	v_addc_co_u32_e32 v9, vcc, v13, v9, vcc
	global_load_dword v10, v[8:9], off
	v_lshlrev_b64 v[8:9], 4, v[6:7]
	v_add_co_u32_e32 v8, vcc, s40, v8
	v_addc_co_u32_e32 v9, vcc, v14, v9, vcc
	global_load_dwordx4 v[16:19], v[8:9], off
	s_mov_b64 s[8:9], 0
	s_waitcnt vmcnt(1)
	v_subrev_u32_e32 v7, s47, v10
	v_mul_lo_u32 v12, v7, s21
	v_and_b32_e32 v15, 0xfff, v12
	s_waitcnt vmcnt(0)
	v_mul_f64 v[8:9], v[18:19], -v[2:3]
	v_mul_f64 v[10:11], v[4:5], v[18:19]
	v_fmac_f64_e32 v[8:9], v[4:5], v[16:17]
	v_fmac_f64_e32 v[10:11], v[2:3], v[16:17]
	s_branch .LBB78_34
.LBB78_33:                              ;   in Loop: Header=BB78_34 Depth=2
	s_or_b64 exec, exec, s[10:11]
	s_xor_b64 s[10:11], s[12:13], -1
	s_and_b64 s[10:11], exec, s[10:11]
	s_or_b64 s[8:9], s[10:11], s[8:9]
	s_andn2_b64 exec, exec, s[8:9]
	s_cbranch_execz .LBB78_31
.LBB78_34:                              ;   Parent Loop BB78_32 Depth=1
                                        ; =>  This Inner Loop Header: Depth=2
	v_lshl_add_u32 v12, v15, 2, 0
	ds_read_b32 v16, v12
                                        ; implicit-def: $sgpr12_sgpr13
	s_waitcnt lgkmcnt(0)
	v_cmp_ne_u32_e32 vcc, v16, v7
	s_and_saveexec_b64 s[10:11], vcc
	s_xor_b64 s[10:11], exec, s[10:11]
	s_cbranch_execz .LBB78_42
; %bb.35:                               ;   in Loop: Header=BB78_34 Depth=2
	v_cmp_ne_u32_e32 vcc, s33, v16
                                        ; implicit-def: $sgpr12_sgpr13
	s_and_saveexec_b64 s[14:15], vcc
	s_xor_b64 s[14:15], exec, s[14:15]
; %bb.36:                               ;   in Loop: Header=BB78_34 Depth=2
	v_add_u32_e32 v12, 1, v15
	v_and_b32_e32 v15, 0xfff, v12
	s_mov_b64 s[12:13], -1
                                        ; implicit-def: $vgpr12
; %bb.37:                               ;   in Loop: Header=BB78_34 Depth=2
	s_andn2_saveexec_b64 s[14:15], s[14:15]
	s_cbranch_execz .LBB78_41
; %bb.38:                               ;   in Loop: Header=BB78_34 Depth=2
	v_mov_b32_e32 v16, s33
	ds_cmpst_rtn_b32 v16, v12, v16, v7
	s_mov_b64 s[18:19], -1
	s_waitcnt lgkmcnt(0)
	v_cmp_eq_u32_e32 vcc, s33, v16
	s_and_saveexec_b64 s[16:17], vcc
	s_cbranch_execz .LBB78_40
; %bb.39:                               ;   in Loop: Header=BB78_34 Depth=2
	v_mad_u64_u32 v[16:17], s[18:19], v15, 12, v[12:13]
	ds_add_f64 v16, v[8:9] offset:16384
	ds_add_f64 v16, v[10:11] offset:16392
	s_xor_b64 s[18:19], exec, -1
.LBB78_40:                              ;   in Loop: Header=BB78_34 Depth=2
	s_or_b64 exec, exec, s[16:17]
	s_andn2_b64 s[12:13], s[12:13], exec
	s_and_b64 s[16:17], s[18:19], exec
	s_or_b64 s[12:13], s[12:13], s[16:17]
.LBB78_41:                              ;   in Loop: Header=BB78_34 Depth=2
	s_or_b64 exec, exec, s[14:15]
	s_and_b64 s[12:13], s[12:13], exec
                                        ; implicit-def: $vgpr12
.LBB78_42:                              ;   in Loop: Header=BB78_34 Depth=2
	s_andn2_saveexec_b64 s[10:11], s[10:11]
	s_cbranch_execz .LBB78_33
; %bb.43:                               ;   in Loop: Header=BB78_34 Depth=2
	v_mad_u64_u32 v[16:17], s[14:15], v15, 12, v[12:13]
	ds_add_f64 v16, v[8:9] offset:16384
	ds_add_f64 v16, v[10:11] offset:16392
	s_andn2_b64 s[12:13], s[12:13], exec
	s_branch .LBB78_33
.LBB78_44:
	s_or_b64 exec, exec, s[4:5]
.LBB78_45:
	s_waitcnt vmcnt(0)
	v_mbcnt_lo_u32_b32 v2, -1, 0
	v_mbcnt_hi_u32_b32 v2, -1, v2
	v_sub_u32_e32 v2, 63, v2
	s_add_i32 s44, 0, 0x14000
	s_movk_i32 s4, 0x3ff
	s_movk_i32 s6, 0x7f
	;; [unrolled: 1-line block ×15, first 2 shown]
	s_add_i32 s65, 0, 0x1403c
	v_mov_b32_e32 v4, 0
	v_lshrrev_b64 v[2:3], v2, -1
	v_lshl_add_u32 v5, v25, 2, s44
	v_cmp_eq_u32_e32 vcc, s4, v0
	v_cmp_lt_u32_e64 s[4:5], 63, v0
	v_cmp_lt_u32_e64 s[6:7], s6, v0
	;; [unrolled: 1-line block ×15, first 2 shown]
	s_mov_b64 s[38:39], 0
	s_add_i32 s45, 0, 0x14004
	s_add_i32 s47, 0, 0x14008
	;; [unrolled: 1-line block ×14, first 2 shown]
	v_mov_b32_e32 v6, s65
	s_movk_i32 s66, 0xbff
	s_waitcnt lgkmcnt(0)
	s_barrier
	s_branch .LBB78_47
.LBB78_46:                              ;   in Loop: Header=BB78_47 Depth=1
	s_or_b64 exec, exec, s[36:37]
	s_waitcnt lgkmcnt(0)
	s_barrier
	ds_read_b32 v7, v6
	v_add_u32_e32 v23, 0x400, v23
	v_cmp_lt_u32_e64 s[36:37], s66, v23
	v_add_u32_e32 v1, 0x4000, v1
	s_or_b64 s[38:39], s[36:37], s[38:39]
	s_waitcnt lgkmcnt(0)
	v_add_u32_e32 v4, v7, v4
	v_add_u32_e32 v24, 0x1000, v24
	s_andn2_b64 exec, exec, s[38:39]
	s_cbranch_execz .LBB78_81
.LBB78_47:                              ; =>This Inner Loop Header: Depth=1
	ds_read2_b64 v[10:13], v1 offset1:1
	ds_read_b32 v8, v24
	s_waitcnt lgkmcnt(1)
	buffer_store_dword v13, off, s[0:3], 0 offset:12
	buffer_store_dword v12, off, s[0:3], 0 offset:8
	;; [unrolled: 1-line block ×3, first 2 shown]
	buffer_store_dword v10, off, s[0:3], 0
	s_waitcnt lgkmcnt(0)
	v_cmp_gt_i32_e64 s[36:37], s33, v8
	v_and_b32_e32 v9, s36, v2
	s_bcnt1_i32_b64 s40, s[36:37]
	v_and_b32_e32 v7, s37, v3
	v_bcnt_u32_b32 v9, v9, 0
	v_bcnt_u32_b32 v7, v7, v9
	v_mov_b32_e32 v9, s40
	s_barrier
	ds_write_b32 v5, v9
	s_waitcnt lgkmcnt(0)
	s_barrier
	s_and_saveexec_b64 s[40:41], s[4:5]
	s_cbranch_execnz .LBB78_64
; %bb.48:                               ;   in Loop: Header=BB78_47 Depth=1
	s_or_b64 exec, exec, s[40:41]
	s_and_saveexec_b64 s[40:41], s[6:7]
	s_cbranch_execnz .LBB78_65
.LBB78_49:                              ;   in Loop: Header=BB78_47 Depth=1
	s_or_b64 exec, exec, s[40:41]
	s_and_saveexec_b64 s[40:41], s[8:9]
	s_cbranch_execnz .LBB78_66
.LBB78_50:                              ;   in Loop: Header=BB78_47 Depth=1
	s_or_b64 exec, exec, s[40:41]
	s_and_saveexec_b64 s[40:41], s[10:11]
	s_cbranch_execnz .LBB78_67
.LBB78_51:                              ;   in Loop: Header=BB78_47 Depth=1
	s_or_b64 exec, exec, s[40:41]
	s_and_saveexec_b64 s[40:41], s[12:13]
	s_cbranch_execnz .LBB78_68
.LBB78_52:                              ;   in Loop: Header=BB78_47 Depth=1
	s_or_b64 exec, exec, s[40:41]
	s_and_saveexec_b64 s[40:41], s[14:15]
	s_cbranch_execnz .LBB78_69
.LBB78_53:                              ;   in Loop: Header=BB78_47 Depth=1
	s_or_b64 exec, exec, s[40:41]
	s_and_saveexec_b64 s[40:41], s[16:17]
	s_cbranch_execnz .LBB78_70
.LBB78_54:                              ;   in Loop: Header=BB78_47 Depth=1
	s_or_b64 exec, exec, s[40:41]
	s_and_saveexec_b64 s[40:41], s[18:19]
	s_cbranch_execnz .LBB78_71
.LBB78_55:                              ;   in Loop: Header=BB78_47 Depth=1
	s_or_b64 exec, exec, s[40:41]
	s_and_saveexec_b64 s[40:41], s[20:21]
	s_cbranch_execnz .LBB78_72
.LBB78_56:                              ;   in Loop: Header=BB78_47 Depth=1
	s_or_b64 exec, exec, s[40:41]
	s_and_saveexec_b64 s[40:41], s[22:23]
	s_cbranch_execnz .LBB78_73
.LBB78_57:                              ;   in Loop: Header=BB78_47 Depth=1
	s_or_b64 exec, exec, s[40:41]
	s_and_saveexec_b64 s[40:41], s[24:25]
	s_cbranch_execnz .LBB78_74
.LBB78_58:                              ;   in Loop: Header=BB78_47 Depth=1
	s_or_b64 exec, exec, s[40:41]
	s_and_saveexec_b64 s[40:41], s[26:27]
	s_cbranch_execnz .LBB78_75
.LBB78_59:                              ;   in Loop: Header=BB78_47 Depth=1
	s_or_b64 exec, exec, s[40:41]
	s_and_saveexec_b64 s[40:41], s[28:29]
	s_cbranch_execnz .LBB78_76
.LBB78_60:                              ;   in Loop: Header=BB78_47 Depth=1
	s_or_b64 exec, exec, s[40:41]
	s_and_saveexec_b64 s[40:41], s[30:31]
	s_cbranch_execnz .LBB78_77
.LBB78_61:                              ;   in Loop: Header=BB78_47 Depth=1
	s_or_b64 exec, exec, s[40:41]
	s_and_saveexec_b64 s[40:41], s[34:35]
	s_cbranch_execnz .LBB78_78
.LBB78_62:                              ;   in Loop: Header=BB78_47 Depth=1
	s_or_b64 exec, exec, s[40:41]
	s_and_saveexec_b64 s[40:41], s[36:37]
	s_cbranch_execnz .LBB78_79
.LBB78_63:                              ;   in Loop: Header=BB78_47 Depth=1
	s_or_b64 exec, exec, s[40:41]
	s_and_saveexec_b64 s[36:37], vcc
	s_cbranch_execz .LBB78_46
	s_branch .LBB78_80
.LBB78_64:                              ;   in Loop: Header=BB78_47 Depth=1
	v_mov_b32_e32 v9, s44
	ds_read_b32 v9, v9
	s_waitcnt lgkmcnt(0)
	v_add_u32_e32 v7, v9, v7
	s_or_b64 exec, exec, s[40:41]
	s_and_saveexec_b64 s[40:41], s[6:7]
	s_cbranch_execz .LBB78_49
.LBB78_65:                              ;   in Loop: Header=BB78_47 Depth=1
	v_mov_b32_e32 v9, s45
	ds_read_b32 v9, v9
	s_waitcnt lgkmcnt(0)
	v_add_u32_e32 v7, v9, v7
	s_or_b64 exec, exec, s[40:41]
	s_and_saveexec_b64 s[40:41], s[8:9]
	s_cbranch_execz .LBB78_50
.LBB78_66:                              ;   in Loop: Header=BB78_47 Depth=1
	v_mov_b32_e32 v9, s47
	ds_read_b32 v9, v9
	s_waitcnt lgkmcnt(0)
	v_add_u32_e32 v7, v9, v7
	s_or_b64 exec, exec, s[40:41]
	s_and_saveexec_b64 s[40:41], s[10:11]
	s_cbranch_execz .LBB78_51
.LBB78_67:                              ;   in Loop: Header=BB78_47 Depth=1
	v_mov_b32_e32 v9, s53
	ds_read_b32 v9, v9
	s_waitcnt lgkmcnt(0)
	v_add_u32_e32 v7, v9, v7
	s_or_b64 exec, exec, s[40:41]
	s_and_saveexec_b64 s[40:41], s[12:13]
	s_cbranch_execz .LBB78_52
.LBB78_68:                              ;   in Loop: Header=BB78_47 Depth=1
	v_mov_b32_e32 v9, s54
	ds_read_b32 v9, v9
	s_waitcnt lgkmcnt(0)
	v_add_u32_e32 v7, v9, v7
	s_or_b64 exec, exec, s[40:41]
	s_and_saveexec_b64 s[40:41], s[14:15]
	s_cbranch_execz .LBB78_53
.LBB78_69:                              ;   in Loop: Header=BB78_47 Depth=1
	v_mov_b32_e32 v9, s55
	ds_read_b32 v9, v9
	s_waitcnt lgkmcnt(0)
	v_add_u32_e32 v7, v9, v7
	s_or_b64 exec, exec, s[40:41]
	s_and_saveexec_b64 s[40:41], s[16:17]
	s_cbranch_execz .LBB78_54
.LBB78_70:                              ;   in Loop: Header=BB78_47 Depth=1
	v_mov_b32_e32 v9, s56
	ds_read_b32 v9, v9
	s_waitcnt lgkmcnt(0)
	v_add_u32_e32 v7, v9, v7
	s_or_b64 exec, exec, s[40:41]
	s_and_saveexec_b64 s[40:41], s[18:19]
	s_cbranch_execz .LBB78_55
.LBB78_71:                              ;   in Loop: Header=BB78_47 Depth=1
	v_mov_b32_e32 v9, s57
	ds_read_b32 v9, v9
	s_waitcnt lgkmcnt(0)
	v_add_u32_e32 v7, v9, v7
	s_or_b64 exec, exec, s[40:41]
	s_and_saveexec_b64 s[40:41], s[20:21]
	s_cbranch_execz .LBB78_56
.LBB78_72:                              ;   in Loop: Header=BB78_47 Depth=1
	v_mov_b32_e32 v9, s58
	ds_read_b32 v9, v9
	s_waitcnt lgkmcnt(0)
	v_add_u32_e32 v7, v9, v7
	s_or_b64 exec, exec, s[40:41]
	s_and_saveexec_b64 s[40:41], s[22:23]
	s_cbranch_execz .LBB78_57
.LBB78_73:                              ;   in Loop: Header=BB78_47 Depth=1
	v_mov_b32_e32 v9, s59
	ds_read_b32 v9, v9
	s_waitcnt lgkmcnt(0)
	v_add_u32_e32 v7, v9, v7
	s_or_b64 exec, exec, s[40:41]
	s_and_saveexec_b64 s[40:41], s[24:25]
	s_cbranch_execz .LBB78_58
.LBB78_74:                              ;   in Loop: Header=BB78_47 Depth=1
	v_mov_b32_e32 v9, s60
	ds_read_b32 v9, v9
	s_waitcnt lgkmcnt(0)
	v_add_u32_e32 v7, v9, v7
	s_or_b64 exec, exec, s[40:41]
	s_and_saveexec_b64 s[40:41], s[26:27]
	s_cbranch_execz .LBB78_59
.LBB78_75:                              ;   in Loop: Header=BB78_47 Depth=1
	v_mov_b32_e32 v9, s61
	ds_read_b32 v9, v9
	s_waitcnt lgkmcnt(0)
	v_add_u32_e32 v7, v9, v7
	s_or_b64 exec, exec, s[40:41]
	s_and_saveexec_b64 s[40:41], s[28:29]
	s_cbranch_execz .LBB78_60
.LBB78_76:                              ;   in Loop: Header=BB78_47 Depth=1
	v_mov_b32_e32 v9, s62
	ds_read_b32 v9, v9
	s_waitcnt lgkmcnt(0)
	v_add_u32_e32 v7, v9, v7
	s_or_b64 exec, exec, s[40:41]
	s_and_saveexec_b64 s[40:41], s[30:31]
	s_cbranch_execz .LBB78_61
.LBB78_77:                              ;   in Loop: Header=BB78_47 Depth=1
	v_mov_b32_e32 v9, s63
	ds_read_b32 v9, v9
	s_waitcnt lgkmcnt(0)
	v_add_u32_e32 v7, v9, v7
	s_or_b64 exec, exec, s[40:41]
	s_and_saveexec_b64 s[40:41], s[34:35]
	s_cbranch_execz .LBB78_62
.LBB78_78:                              ;   in Loop: Header=BB78_47 Depth=1
	v_mov_b32_e32 v9, s64
	ds_read_b32 v9, v9
	s_waitcnt lgkmcnt(0)
	v_add_u32_e32 v7, v9, v7
	s_or_b64 exec, exec, s[40:41]
	s_and_saveexec_b64 s[40:41], s[36:37]
	s_cbranch_execz .LBB78_63
.LBB78_79:                              ;   in Loop: Header=BB78_47 Depth=1
	buffer_load_dword v10, off, s[0:3], 0
	buffer_load_dword v11, off, s[0:3], 0 offset:4
	buffer_load_dword v12, off, s[0:3], 0 offset:8
	;; [unrolled: 1-line block ×3, first 2 shown]
	v_add3_u32 v9, v4, -1, v7
	v_lshl_add_u32 v14, v9, 2, 0
	v_lshl_add_u32 v9, v9, 4, 0
	v_add_u32_e32 v9, 0x4000, v9
	ds_write_b32 v14, v8
	s_waitcnt vmcnt(0)
	ds_write2_b64 v9, v[10:11], v[12:13] offset1:1
	s_or_b64 exec, exec, s[40:41]
	s_and_saveexec_b64 s[36:37], vcc
	s_cbranch_execz .LBB78_46
.LBB78_80:                              ;   in Loop: Header=BB78_47 Depth=1
	v_mov_b32_e32 v8, s65
	ds_write_b32 v8, v7
	s_branch .LBB78_46
.LBB78_81:
	s_or_b64 exec, exec, s[38:39]
	s_ashr_i32 s53, s52, 31
	s_lshl_b64 s[4:5], s[52:53], 2
	s_add_u32 s4, s42, s4
	s_addc_u32 s5, s43, s5
	s_load_dwordx2 s[4:5], s[4:5], 0x0
	s_waitcnt lgkmcnt(0)
	s_sub_i32 s18, s5, s4
	v_cmp_gt_i32_e32 vcc, s18, v0
	s_and_saveexec_b64 s[6:7], vcc
	s_cbranch_execz .LBB78_96
; %bb.82:
	s_sub_i32 s10, s4, s46
	s_add_i32 s4, s18, -2
	s_lshr_b32 s5, s4, 1
	s_add_i32 s6, s5, 1
	s_cmp_gt_u32 s18, 1
	s_cselect_b64 s[12:13], -1, 0
	s_and_b32 s19, s18, -2
	s_and_b32 s8, s6, 7
	s_cmp_gt_u32 s4, 13
	s_cselect_b64 s[4:5], -1, 0
	s_and_b32 s20, s6, -8
	s_cmp_lg_u32 s8, 0
	s_cselect_b64 s[6:7], -1, 0
	v_cndmask_b32_e64 v1, 0, 1, s[4:5]
	s_cmp_lg_u32 s18, s19
	v_cmp_ne_u32_e64 s[4:5], 1, v1
	v_cndmask_b32_e64 v1, 0, 1, s[6:7]
	s_mov_b32 s11, 0
	s_cselect_b64 s[14:15], -1, 0
	s_lshl_b32 s21, s8, 3
	s_mov_b64 s[16:17], 0
	v_cmp_ne_u32_e64 s[6:7], 1, v1
	s_movk_i32 s22, 0x4000
	v_mov_b32_e32 v1, s49
	v_mov_b32_e32 v4, s51
	s_branch .LBB78_84
.LBB78_83:                              ;   in Loop: Header=BB78_84 Depth=1
	v_mul_lo_u32 v3, v0, 12
	v_add3_u32 v5, v5, v3, s22
	v_ashrrev_i32_e32 v3, 31, v2
	s_waitcnt lgkmcnt(0)
	v_add_u32_e32 v8, s46, v6
	v_lshlrev_b64 v[6:7], 2, v[2:3]
	v_add_co_u32_e32 v6, vcc, s48, v6
	v_addc_co_u32_e32 v7, vcc, v1, v7, vcc
	global_store_dword v[6:7], v8, off
	v_lshlrev_b64 v[2:3], 4, v[2:3]
	ds_read2_b64 v[6:9], v5 offset1:1
	v_add_co_u32_e32 v2, vcc, s50, v2
	v_addc_co_u32_e32 v3, vcc, v4, v3, vcc
	v_add_u32_e32 v0, 0x400, v0
	v_cmp_le_i32_e32 vcc, s18, v0
	s_or_b64 s[16:17], vcc, s[16:17]
	s_waitcnt lgkmcnt(0)
	global_store_dwordx4 v[2:3], v[6:9], off
	s_andn2_b64 exec, exec, s[16:17]
	s_cbranch_execz .LBB78_96
.LBB78_84:                              ; =>This Loop Header: Depth=1
                                        ;     Child Loop BB78_87 Depth 2
                                        ;     Child Loop BB78_92 Depth 2
	;; [unrolled: 1-line block ×3, first 2 shown]
	v_lshl_add_u32 v5, v0, 2, 0
	ds_read_b32 v6, v5
	s_and_b64 vcc, exec, s[12:13]
	s_cbranch_vccz .LBB78_89
; %bb.85:                               ;   in Loop: Header=BB78_84 Depth=1
	s_and_b64 vcc, exec, s[4:5]
	s_cbranch_vccnz .LBB78_90
; %bb.86:                               ;   in Loop: Header=BB78_84 Depth=1
	s_mov_b32 s24, 0
	v_mov_b32_e32 v2, s10
	v_mov_b32_e32 v3, 0
	s_mov_b32 s25, s20
	s_mov_b32 s23, 0
.LBB78_87:                              ;   Parent Loop BB78_84 Depth=1
                                        ; =>  This Inner Loop Header: Depth=2
	v_mov_b32_e32 v7, s24
	ds_read2_b32 v[8:9], v7 offset1:1
	ds_read2_b32 v[10:11], v7 offset0:2 offset1:3
	ds_read2_b32 v[12:13], v7 offset0:4 offset1:5
	;; [unrolled: 1-line block ×7, first 2 shown]
	s_waitcnt lgkmcnt(7)
	v_cmp_gt_i32_e32 vcc, v6, v9
	s_waitcnt lgkmcnt(5)
	v_cmp_gt_i32_e64 s[8:9], v6, v12
	v_cndmask_b32_e64 v7, 0, 1, vcc
	v_cmp_gt_i32_e32 vcc, v6, v8
	v_cndmask_b32_e64 v9, 0, 1, s[8:9]
	v_cmp_gt_i32_e64 s[8:9], v6, v13
	v_cndmask_b32_e64 v8, 0, 1, vcc
	v_cmp_gt_i32_e32 vcc, v6, v11
	v_cndmask_b32_e64 v11, 0, 1, s[8:9]
	s_waitcnt lgkmcnt(3)
	v_cmp_gt_i32_e64 s[8:9], v6, v17
	v_cndmask_b32_e64 v12, 0, 1, s[8:9]
	v_cmp_gt_i32_e64 s[8:9], v6, v16
	v_cndmask_b32_e64 v13, 0, 1, s[8:9]
	s_waitcnt lgkmcnt(1)
	v_cmp_gt_i32_e64 s[8:9], v6, v20
	v_cndmask_b32_e64 v16, 0, 1, s[8:9]
	v_cmp_gt_i32_e64 s[8:9], v6, v21
	v_cndmask_b32_e64 v17, 0, 1, s[8:9]
	v_cmp_gt_i32_e64 s[8:9], v6, v10
	v_addc_co_u32_e64 v2, s[8:9], v2, v8, s[8:9]
	v_addc_co_u32_e32 v3, vcc, v3, v7, vcc
	v_cmp_gt_i32_e32 vcc, v6, v14
	v_cmp_gt_i32_e64 s[8:9], v6, v15
	v_addc_co_u32_e64 v3, s[8:9], v3, v11, s[8:9]
	v_addc_co_u32_e32 v2, vcc, v2, v9, vcc
	v_cmp_gt_i32_e32 vcc, v6, v19
	v_cmp_gt_i32_e64 s[8:9], v6, v18
	v_addc_co_u32_e64 v2, s[8:9], v2, v13, s[8:9]
	v_addc_co_u32_e32 v3, vcc, v3, v12, vcc
	s_add_i32 s23, s23, 16
	s_add_i32 s24, s24, 64
	s_add_i32 s25, s25, -8
	s_waitcnt lgkmcnt(0)
	v_cmp_gt_i32_e32 vcc, v6, v22
	v_cmp_gt_i32_e64 s[8:9], v6, v23
	s_cmp_lg_u32 s25, 0
	v_addc_co_u32_e64 v3, s[8:9], v3, v17, s[8:9]
	v_addc_co_u32_e32 v2, vcc, v2, v16, vcc
	s_cbranch_scc1 .LBB78_87
; %bb.88:                               ;   in Loop: Header=BB78_84 Depth=1
	s_and_b64 vcc, exec, s[6:7]
	s_cbranch_vccz .LBB78_91
	s_branch .LBB78_93
.LBB78_89:                              ;   in Loop: Header=BB78_84 Depth=1
	v_mov_b32_e32 v2, s10
	s_mov_b32 s23, 0
	s_cbranch_execz .LBB78_83
	s_branch .LBB78_94
.LBB78_90:                              ;   in Loop: Header=BB78_84 Depth=1
	v_pk_mov_b32 v[2:3], s[10:11], s[10:11] op_sel:[0,1]
	s_mov_b32 s23, 0
	s_and_b64 vcc, exec, s[6:7]
	s_cbranch_vccnz .LBB78_93
.LBB78_91:                              ;   in Loop: Header=BB78_84 Depth=1
	s_lshl_b32 s8, s23, 2
	s_add_i32 s8, s8, 0
	s_mov_b32 s9, s21
.LBB78_92:                              ;   Parent Loop BB78_84 Depth=1
                                        ; =>  This Inner Loop Header: Depth=2
	v_mov_b32_e32 v7, s8
	ds_read2_b32 v[8:9], v7 offset1:1
	s_add_i32 s8, s8, 8
	s_add_i32 s9, s9, -8
	s_cmp_lg_u32 s9, 0
	s_waitcnt lgkmcnt(0)
	v_cmp_gt_i32_e32 vcc, v6, v9
	v_addc_co_u32_e32 v3, vcc, 0, v3, vcc
	v_cmp_gt_i32_e32 vcc, v6, v8
	v_addc_co_u32_e32 v2, vcc, 0, v2, vcc
	s_cbranch_scc1 .LBB78_92
.LBB78_93:                              ;   in Loop: Header=BB78_84 Depth=1
	v_add_u32_e32 v2, v2, v3
	s_mov_b32 s23, s19
	s_mov_b64 s[8:9], s[14:15]
	s_and_b64 vcc, exec, s[8:9]
	s_cbranch_vccz .LBB78_83
.LBB78_94:                              ;   in Loop: Header=BB78_84 Depth=1
	s_lshl_b32 s8, s23, 2
	s_add_i32 s8, s8, 0
.LBB78_95:                              ;   Parent Loop BB78_84 Depth=1
                                        ; =>  This Inner Loop Header: Depth=2
	v_mov_b32_e32 v3, s8
	ds_read_b32 v3, v3
	s_add_i32 s23, s23, 1
	s_add_i32 s8, s8, 4
	s_cmp_ge_i32 s23, s18
	s_waitcnt lgkmcnt(0)
	v_cmp_gt_i32_e32 vcc, v6, v3
	v_addc_co_u32_e32 v2, vcc, 0, v2, vcc
	s_cbranch_scc0 .LBB78_95
	s_branch .LBB78_83
.LBB78_96:
	s_endpgm
	.section	.rodata,"a",@progbits
	.p2align	6, 0x0
	.amdhsa_kernel _ZN9rocsparseL26csrgemm_fill_block_per_rowILj1024ELj64ELj4096ELj137ELj64Eii21rocsparse_complex_numIdEEEvT5_PKS3_S5_NS_24const_host_device_scalarIT6_EEPKT4_S5_PKS7_SB_S5_SD_S8_SB_S5_SD_SB_PS3_PS7_21rocsparse_index_base_SG_SG_SG_bbb
		.amdhsa_group_segment_fixed_size 0
		.amdhsa_private_segment_fixed_size 40
		.amdhsa_kernarg_size 172
		.amdhsa_user_sgpr_count 8
		.amdhsa_user_sgpr_private_segment_buffer 1
		.amdhsa_user_sgpr_dispatch_ptr 0
		.amdhsa_user_sgpr_queue_ptr 0
		.amdhsa_user_sgpr_kernarg_segment_ptr 1
		.amdhsa_user_sgpr_dispatch_id 0
		.amdhsa_user_sgpr_flat_scratch_init 1
		.amdhsa_user_sgpr_kernarg_preload_length 0
		.amdhsa_user_sgpr_kernarg_preload_offset 0
		.amdhsa_user_sgpr_private_segment_size 0
		.amdhsa_uses_dynamic_stack 0
		.amdhsa_system_sgpr_private_segment_wavefront_offset 1
		.amdhsa_system_sgpr_workgroup_id_x 1
		.amdhsa_system_sgpr_workgroup_id_y 0
		.amdhsa_system_sgpr_workgroup_id_z 0
		.amdhsa_system_sgpr_workgroup_info 0
		.amdhsa_system_vgpr_workitem_id 0
		.amdhsa_next_free_vgpr 34
		.amdhsa_next_free_sgpr 67
		.amdhsa_accum_offset 36
		.amdhsa_reserve_vcc 1
		.amdhsa_reserve_flat_scratch 1
		.amdhsa_float_round_mode_32 0
		.amdhsa_float_round_mode_16_64 0
		.amdhsa_float_denorm_mode_32 3
		.amdhsa_float_denorm_mode_16_64 3
		.amdhsa_dx10_clamp 1
		.amdhsa_ieee_mode 1
		.amdhsa_fp16_overflow 0
		.amdhsa_tg_split 0
		.amdhsa_exception_fp_ieee_invalid_op 0
		.amdhsa_exception_fp_denorm_src 0
		.amdhsa_exception_fp_ieee_div_zero 0
		.amdhsa_exception_fp_ieee_overflow 0
		.amdhsa_exception_fp_ieee_underflow 0
		.amdhsa_exception_fp_ieee_inexact 0
		.amdhsa_exception_int_div_zero 0
	.end_amdhsa_kernel
	.section	.text._ZN9rocsparseL26csrgemm_fill_block_per_rowILj1024ELj64ELj4096ELj137ELj64Eii21rocsparse_complex_numIdEEEvT5_PKS3_S5_NS_24const_host_device_scalarIT6_EEPKT4_S5_PKS7_SB_S5_SD_S8_SB_S5_SD_SB_PS3_PS7_21rocsparse_index_base_SG_SG_SG_bbb,"axG",@progbits,_ZN9rocsparseL26csrgemm_fill_block_per_rowILj1024ELj64ELj4096ELj137ELj64Eii21rocsparse_complex_numIdEEEvT5_PKS3_S5_NS_24const_host_device_scalarIT6_EEPKT4_S5_PKS7_SB_S5_SD_S8_SB_S5_SD_SB_PS3_PS7_21rocsparse_index_base_SG_SG_SG_bbb,comdat
.Lfunc_end78:
	.size	_ZN9rocsparseL26csrgemm_fill_block_per_rowILj1024ELj64ELj4096ELj137ELj64Eii21rocsparse_complex_numIdEEEvT5_PKS3_S5_NS_24const_host_device_scalarIT6_EEPKT4_S5_PKS7_SB_S5_SD_S8_SB_S5_SD_SB_PS3_PS7_21rocsparse_index_base_SG_SG_SG_bbb, .Lfunc_end78-_ZN9rocsparseL26csrgemm_fill_block_per_rowILj1024ELj64ELj4096ELj137ELj64Eii21rocsparse_complex_numIdEEEvT5_PKS3_S5_NS_24const_host_device_scalarIT6_EEPKT4_S5_PKS7_SB_S5_SD_S8_SB_S5_SD_SB_PS3_PS7_21rocsparse_index_base_SG_SG_SG_bbb
                                        ; -- End function
	.section	.AMDGPU.csdata,"",@progbits
; Kernel info:
; codeLenInByte = 3888
; NumSgprs: 73
; NumVgprs: 34
; NumAgprs: 0
; TotalNumVgprs: 34
; ScratchSize: 40
; MemoryBound: 0
; FloatMode: 240
; IeeeMode: 1
; LDSByteSize: 0 bytes/workgroup (compile time only)
; SGPRBlocks: 9
; VGPRBlocks: 4
; NumSGPRsForWavesPerEU: 73
; NumVGPRsForWavesPerEU: 34
; AccumOffset: 36
; Occupancy: 8
; WaveLimiterHint : 1
; COMPUTE_PGM_RSRC2:SCRATCH_EN: 1
; COMPUTE_PGM_RSRC2:USER_SGPR: 8
; COMPUTE_PGM_RSRC2:TRAP_HANDLER: 0
; COMPUTE_PGM_RSRC2:TGID_X_EN: 1
; COMPUTE_PGM_RSRC2:TGID_Y_EN: 0
; COMPUTE_PGM_RSRC2:TGID_Z_EN: 0
; COMPUTE_PGM_RSRC2:TIDIG_COMP_CNT: 0
; COMPUTE_PGM_RSRC3_GFX90A:ACCUM_OFFSET: 8
; COMPUTE_PGM_RSRC3_GFX90A:TG_SPLIT: 0
	.section	.text._ZN9rocsparseL26csrgemm_fill_block_per_rowILj1024ELj64ELj8192ELj137ELj32Eii21rocsparse_complex_numIdEEEvT5_PKS3_S5_NS_24const_host_device_scalarIT6_EEPKT4_S5_PKS7_SB_S5_SD_S8_SB_S5_SD_SB_PS3_PS7_21rocsparse_index_base_SG_SG_SG_bbb,"axG",@progbits,_ZN9rocsparseL26csrgemm_fill_block_per_rowILj1024ELj64ELj8192ELj137ELj32Eii21rocsparse_complex_numIdEEEvT5_PKS3_S5_NS_24const_host_device_scalarIT6_EEPKT4_S5_PKS7_SB_S5_SD_S8_SB_S5_SD_SB_PS3_PS7_21rocsparse_index_base_SG_SG_SG_bbb,comdat
	.globl	_ZN9rocsparseL26csrgemm_fill_block_per_rowILj1024ELj64ELj8192ELj137ELj32Eii21rocsparse_complex_numIdEEEvT5_PKS3_S5_NS_24const_host_device_scalarIT6_EEPKT4_S5_PKS7_SB_S5_SD_S8_SB_S5_SD_SB_PS3_PS7_21rocsparse_index_base_SG_SG_SG_bbb ; -- Begin function _ZN9rocsparseL26csrgemm_fill_block_per_rowILj1024ELj64ELj8192ELj137ELj32Eii21rocsparse_complex_numIdEEEvT5_PKS3_S5_NS_24const_host_device_scalarIT6_EEPKT4_S5_PKS7_SB_S5_SD_S8_SB_S5_SD_SB_PS3_PS7_21rocsparse_index_base_SG_SG_SG_bbb
	.p2align	8
	.type	_ZN9rocsparseL26csrgemm_fill_block_per_rowILj1024ELj64ELj8192ELj137ELj32Eii21rocsparse_complex_numIdEEEvT5_PKS3_S5_NS_24const_host_device_scalarIT6_EEPKT4_S5_PKS7_SB_S5_SD_S8_SB_S5_SD_SB_PS3_PS7_21rocsparse_index_base_SG_SG_SG_bbb,@function
_ZN9rocsparseL26csrgemm_fill_block_per_rowILj1024ELj64ELj8192ELj137ELj32Eii21rocsparse_complex_numIdEEEvT5_PKS3_S5_NS_24const_host_device_scalarIT6_EEPKT4_S5_PKS7_SB_S5_SD_S8_SB_S5_SD_SB_PS3_PS7_21rocsparse_index_base_SG_SG_SG_bbb: ; @_ZN9rocsparseL26csrgemm_fill_block_per_rowILj1024ELj64ELj8192ELj137ELj32Eii21rocsparse_complex_numIdEEEvT5_PKS3_S5_NS_24const_host_device_scalarIT6_EEPKT4_S5_PKS7_SB_S5_SD_S8_SB_S5_SD_SB_PS3_PS7_21rocsparse_index_base_SG_SG_SG_bbb
; %bb.0:
	s_add_u32 flat_scratch_lo, s6, s9
	s_addc_u32 flat_scratch_hi, s7, 0
	s_add_u32 s0, s0, s9
	s_load_dword s9, s[4:5], 0xa8
	s_load_dwordx8 s[12:19], s[4:5], 0x8
	s_load_dwordx4 s[68:71], s[4:5], 0x98
	s_load_dwordx4 s[20:23], s[4:5], 0x58
	s_addc_u32 s1, s1, 0
	v_pk_mov_b32 v[2:3], 0, 0
	s_waitcnt lgkmcnt(0)
	s_bitcmp1_b32 s9, 0
	v_mov_b32_e32 v1, s17
	s_cselect_b64 s[24:25], -1, 0
	s_bitcmp1_b32 s9, 16
	buffer_store_dword v1, off, s[0:3], 0 offset:20
	v_mov_b32_e32 v1, s16
	s_cselect_b64 s[6:7], -1, 0
	buffer_store_dword v1, off, s[0:3], 0 offset:16
	v_mov_b32_e32 v1, s21
	buffer_store_dword v1, off, s[0:3], 0 offset:28
	v_mov_b32_e32 v1, s20
	s_xor_b64 s[10:11], s[6:7], -1
	buffer_store_dword v1, off, s[0:3], 0 offset:24
	v_cndmask_b32_e64 v1, 0, 1, s[10:11]
	s_bitcmp0_b32 s9, 0
	v_cmp_ne_u32_e64 s[10:11], 1, v1
	v_pk_mov_b32 v[6:7], v[2:3], v[2:3] op_sel:[0,1]
	v_pk_mov_b32 v[8:9], v[2:3], v[2:3] op_sel:[0,1]
	s_cbranch_scc1 .LBB79_3
; %bb.1:
	s_mov_b64 s[26:27], src_private_base
	s_and_b64 s[28:29], s[6:7], exec
	s_cselect_b32 s26, s27, s17
	v_mov_b32_e32 v1, 16
	v_mov_b32_e32 v4, s16
	v_cndmask_b32_e64 v4, v4, v1, s[6:7]
	v_mov_b32_e32 v5, s26
	flat_load_dwordx2 v[6:7], v[4:5]
	s_and_b64 vcc, exec, s[10:11]
	v_pk_mov_b32 v[8:9], s[18:19], s[18:19] op_sel:[0,1]
	s_cbranch_vccnz .LBB79_3
; %bb.2:
	v_pk_mov_b32 v[4:5], s[16:17], s[16:17] op_sel:[0,1]
	flat_load_dwordx2 v[8:9], v[4:5] offset:8
.LBB79_3:
	s_bitcmp1_b32 s9, 8
	s_cselect_b64 s[16:17], -1, 0
	s_bfe_u32 s9, s9, 0x10008
	s_cmp_eq_u32 s9, 0
	v_pk_mov_b32 v[4:5], v[2:3], v[2:3] op_sel:[0,1]
	s_cbranch_scc1 .LBB79_6
; %bb.4:
	s_mov_b64 s[18:19], src_private_base
	s_and_b64 s[26:27], s[6:7], exec
	s_cselect_b32 s9, s19, s21
	v_mov_b32_e32 v1, 24
	v_mov_b32_e32 v2, s20
	v_cndmask_b32_e64 v2, v2, v1, s[6:7]
	v_mov_b32_e32 v3, s9
	flat_load_dwordx2 v[4:5], v[2:3]
	s_and_b64 vcc, exec, s[10:11]
	v_pk_mov_b32 v[2:3], s[22:23], s[22:23] op_sel:[0,1]
	s_cbranch_vccnz .LBB79_6
; %bb.5:
	v_pk_mov_b32 v[2:3], s[20:21], s[20:21] op_sel:[0,1]
	flat_load_dwordx2 v[2:3], v[2:3] offset:8
.LBB79_6:
	s_load_dword s33, s[4:5], 0x0
	s_mov_b32 s6, 0
	v_lshl_add_u32 v1, v0, 2, 0
	s_mov_b32 s7, s6
	v_mad_u32_u24 v14, v0, 12, v1
	s_waitcnt lgkmcnt(0)
	v_mov_b32_e32 v10, s33
	ds_write_b32 v1, v10
	v_pk_mov_b32 v[10:11], s[6:7], s[6:7] op_sel:[0,1]
	s_add_i32 s7, 0, 0x8000
	s_mov_b32 s10, s6
	s_mov_b32 s11, s6
	v_lshl_add_u32 v16, v0, 4, s7
	v_add_u32_e32 v15, 0x8000, v14
	v_pk_mov_b32 v[12:13], s[10:11], s[10:11] op_sel:[0,1]
	v_add_u32_e32 v17, 0x4000, v16
	ds_write2_b64 v15, v[10:11], v[12:13] offset1:1
	v_mad_i32_i24 v14, v0, -12, v14
	v_mov_b32_e32 v15, s33
	ds_write2_b64 v17, v[10:11], v[12:13] offset1:1
	v_mov_b32_e32 v17, s33
	ds_write2st64_b32 v14, v15, v17 offset0:16 offset1:32
	v_add_u32_e32 v15, 0x8000, v16
	v_add_u32_e32 v17, 0xc000, v16
	ds_write2_b64 v15, v[10:11], v[12:13] offset1:1
	v_mov_b32_e32 v15, s33
	ds_write2_b64 v17, v[10:11], v[12:13] offset1:1
	v_mov_b32_e32 v17, s33
	ds_write2st64_b32 v14, v15, v17 offset0:48 offset1:64
	v_add_u32_e32 v15, 0x10000, v16
	v_add_u32_e32 v17, 0x14000, v16
	ds_write2_b64 v15, v[10:11], v[12:13] offset1:1
	v_mov_b32_e32 v15, s33
	ds_write2_b64 v17, v[10:11], v[12:13] offset1:1
	v_mov_b32_e32 v17, s33
	ds_write2st64_b32 v14, v15, v17 offset0:80 offset1:96
	v_add_u32_e32 v15, 0x18000, v16
	ds_write2_b64 v15, v[10:11], v[12:13] offset1:1
	v_mov_b32_e32 v15, s33
	ds_write_b32 v14, v15 offset:28672
	v_add_u32_e32 v14, 0x1c000, v16
	ds_write2_b64 v14, v[10:11], v[12:13] offset1:1
	s_waitcnt lgkmcnt(0)
	s_barrier
	s_load_dword s7, s[12:13], 0x0
	s_mov_b32 s9, s6
                                        ; implicit-def: $vgpr32 : SGPR spill to VGPR lane
	s_waitcnt lgkmcnt(0)
	s_add_i32 s8, s7, s8
	s_lshl_b64 s[6:7], s[8:9], 2
	s_add_u32 s6, s14, s6
	s_addc_u32 s7, s15, s7
	s_load_dword s6, s[6:7], 0x0
	s_andn2_b64 vcc, exec, s[24:25]
	s_waitcnt lgkmcnt(0)
	v_writelane_b32 v32, s6, 0
	v_writelane_b32 v32, s7, 1
	s_cbranch_vccnz .LBB79_26
; %bb.7:
	s_load_dwordx2 s[6:7], s[4:5], 0x28
	v_readlane_b32 s8, v32, 0
	v_readlane_b32 s9, v32, 1
	s_mov_b32 s10, s8
	s_ashr_i32 s11, s8, 31
	v_writelane_b32 v32, s8, 0
	v_writelane_b32 v32, s9, 1
	s_lshl_b64 s[8:9], s[10:11], 2
	s_waitcnt lgkmcnt(0)
	s_add_u32 s6, s6, s8
	s_addc_u32 s7, s7, s9
	s_load_dwordx2 s[6:7], s[6:7], 0x0
	v_lshrrev_b32_e32 v10, 6, v0
	v_subrev_u32_e32 v10, s68, v10
	s_waitcnt lgkmcnt(0)
	s_sub_i32 s40, s7, s68
	v_add_u32_e32 v10, s6, v10
	v_cmp_gt_i32_e32 vcc, s40, v10
	s_and_saveexec_b64 s[6:7], vcc
	s_cbranch_execz .LBB79_25
; %bb.8:
	s_load_dwordx8 s[8:15], s[4:5], 0x30
	s_load_dwordx2 s[18:19], s[4:5], 0x50
	v_and_b32_e32 v11, 63, v0
	s_mov_b64 s[20:21], 0
	v_subrev_u32_e32 v23, s69, v11
	s_waitcnt lgkmcnt(0)
	v_mov_b32_e32 v24, s9
	v_mov_b32_e32 v25, s13
	s_movk_i32 s9, 0x89
	s_branch .LBB79_10
.LBB79_9:                               ;   in Loop: Header=BB79_10 Depth=1
	s_or_b64 exec, exec, s[22:23]
	v_add_u32_e32 v10, 16, v10
	v_cmp_le_i32_e32 vcc, s40, v10
	s_or_b64 s[20:21], vcc, s[20:21]
	s_andn2_b64 exec, exec, s[20:21]
	s_cbranch_execz .LBB79_25
.LBB79_10:                              ; =>This Loop Header: Depth=1
                                        ;     Child Loop BB79_13 Depth 2
                                        ;       Child Loop BB79_15 Depth 3
	v_ashrrev_i32_e32 v11, 31, v10
	v_lshlrev_b64 v[12:13], 2, v[10:11]
	v_add_co_u32_e32 v12, vcc, s8, v12
	v_addc_co_u32_e32 v13, vcc, v24, v13, vcc
	global_load_dword v12, v[12:13], off
	s_waitcnt vmcnt(0)
	v_subrev_u32_e32 v12, s68, v12
	v_ashrrev_i32_e32 v13, 31, v12
	v_lshlrev_b64 v[12:13], 2, v[12:13]
	v_add_co_u32_e32 v12, vcc, s12, v12
	v_addc_co_u32_e32 v13, vcc, v25, v13, vcc
	global_load_dwordx2 v[12:13], v[12:13], off
	s_waitcnt vmcnt(0)
	v_subrev_u32_e32 v26, s69, v13
	v_add_u32_e32 v12, v12, v23
	v_cmp_lt_i32_e32 vcc, v12, v26
	s_and_saveexec_b64 s[22:23], vcc
	s_cbranch_execz .LBB79_9
; %bb.11:                               ;   in Loop: Header=BB79_10 Depth=1
	v_lshlrev_b64 v[14:15], 4, v[10:11]
	v_mov_b32_e32 v11, s11
	v_add_co_u32_e32 v14, vcc, s10, v14
	v_addc_co_u32_e32 v15, vcc, v11, v15, vcc
	global_load_dwordx4 v[18:21], v[14:15], off
	s_mov_b64 s[24:25], 0
	s_waitcnt vmcnt(0)
	v_mul_f64 v[14:15], v[20:21], -v[8:9]
	v_mul_f64 v[16:17], v[6:7], v[20:21]
	v_fmac_f64_e32 v[14:15], v[6:7], v[18:19]
	v_fmac_f64_e32 v[16:17], v[8:9], v[18:19]
	s_branch .LBB79_13
.LBB79_12:                              ;   in Loop: Header=BB79_13 Depth=2
	s_or_b64 exec, exec, s[26:27]
	v_add_u32_e32 v12, 64, v12
	v_cmp_ge_i32_e32 vcc, v12, v26
	s_or_b64 s[24:25], vcc, s[24:25]
	s_andn2_b64 exec, exec, s[24:25]
	s_cbranch_execz .LBB79_9
.LBB79_13:                              ;   Parent Loop BB79_10 Depth=1
                                        ; =>  This Loop Header: Depth=2
                                        ;       Child Loop BB79_15 Depth 3
	v_ashrrev_i32_e32 v13, 31, v12
	v_lshlrev_b64 v[18:19], 2, v[12:13]
	v_mov_b32_e32 v11, s15
	v_add_co_u32_e32 v18, vcc, s14, v18
	v_addc_co_u32_e32 v19, vcc, v11, v19, vcc
	global_load_dword v11, v[18:19], off
	v_lshlrev_b64 v[18:19], 4, v[12:13]
	v_mov_b32_e32 v13, s19
	v_add_co_u32_e32 v18, vcc, s18, v18
	v_addc_co_u32_e32 v19, vcc, v13, v19, vcc
	global_load_dwordx4 v[28:31], v[18:19], off
	s_mov_b64 s[26:27], 0
	s_waitcnt vmcnt(1)
	v_subrev_u32_e32 v11, s69, v11
	v_mul_lo_u32 v13, v11, s9
	v_and_b32_e32 v13, 0x1fff, v13
	s_waitcnt vmcnt(0)
	v_mul_f64 v[18:19], v[30:31], -v[16:17]
	v_mul_f64 v[20:21], v[14:15], v[30:31]
	v_fmac_f64_e32 v[18:19], v[14:15], v[28:29]
	v_fmac_f64_e32 v[20:21], v[16:17], v[28:29]
	s_branch .LBB79_15
.LBB79_14:                              ;   in Loop: Header=BB79_15 Depth=3
	s_or_b64 exec, exec, s[28:29]
	s_xor_b64 s[28:29], s[30:31], -1
	s_and_b64 s[28:29], exec, s[28:29]
	s_or_b64 s[26:27], s[28:29], s[26:27]
	s_andn2_b64 exec, exec, s[26:27]
	s_cbranch_execz .LBB79_12
.LBB79_15:                              ;   Parent Loop BB79_10 Depth=1
                                        ;     Parent Loop BB79_13 Depth=2
                                        ; =>    This Inner Loop Header: Depth=3
	v_lshl_add_u32 v22, v13, 2, 0
	ds_read_b32 v27, v22
                                        ; implicit-def: $sgpr30_sgpr31
	s_waitcnt lgkmcnt(0)
	v_cmp_ne_u32_e32 vcc, v27, v11
	s_and_saveexec_b64 s[28:29], vcc
	s_xor_b64 s[28:29], exec, s[28:29]
	s_cbranch_execz .LBB79_23
; %bb.16:                               ;   in Loop: Header=BB79_15 Depth=3
	v_cmp_ne_u32_e32 vcc, s33, v27
                                        ; implicit-def: $sgpr30_sgpr31
	s_and_saveexec_b64 s[34:35], vcc
	s_xor_b64 s[34:35], exec, s[34:35]
; %bb.17:                               ;   in Loop: Header=BB79_15 Depth=3
	v_add_u32_e32 v13, 1, v13
	v_and_b32_e32 v13, 0x1fff, v13
	s_mov_b64 s[30:31], -1
                                        ; implicit-def: $vgpr22
; %bb.18:                               ;   in Loop: Header=BB79_15 Depth=3
	s_andn2_saveexec_b64 s[34:35], s[34:35]
	s_cbranch_execz .LBB79_22
; %bb.19:                               ;   in Loop: Header=BB79_15 Depth=3
	v_mov_b32_e32 v27, s33
	ds_cmpst_rtn_b32 v27, v22, v27, v11
	s_mov_b64 s[38:39], -1
	s_waitcnt lgkmcnt(0)
	v_cmp_eq_u32_e32 vcc, s33, v27
	s_and_saveexec_b64 s[36:37], vcc
	s_cbranch_execz .LBB79_21
; %bb.20:                               ;   in Loop: Header=BB79_15 Depth=3
	v_mad_u64_u32 v[28:29], s[38:39], v13, 12, v[22:23]
	ds_add_f64 v28, v[18:19] offset:32768
	ds_add_f64 v28, v[20:21] offset:32776
	s_xor_b64 s[38:39], exec, -1
.LBB79_21:                              ;   in Loop: Header=BB79_15 Depth=3
	s_or_b64 exec, exec, s[36:37]
	s_andn2_b64 s[30:31], s[30:31], exec
	s_and_b64 s[36:37], s[38:39], exec
	s_or_b64 s[30:31], s[30:31], s[36:37]
.LBB79_22:                              ;   in Loop: Header=BB79_15 Depth=3
	s_or_b64 exec, exec, s[34:35]
	s_and_b64 s[30:31], s[30:31], exec
                                        ; implicit-def: $vgpr22
.LBB79_23:                              ;   in Loop: Header=BB79_15 Depth=3
	s_andn2_saveexec_b64 s[28:29], s[28:29]
	s_cbranch_execz .LBB79_14
; %bb.24:                               ;   in Loop: Header=BB79_15 Depth=3
	v_mad_u64_u32 v[28:29], s[34:35], v13, 12, v[22:23]
	ds_add_f64 v28, v[18:19] offset:32768
	ds_add_f64 v28, v[20:21] offset:32776
	s_andn2_b64 s[30:31], s[30:31], exec
	s_branch .LBB79_14
.LBB79_25:
	s_or_b64 exec, exec, s[6:7]
.LBB79_26:
	s_load_dwordx2 s[28:29], s[4:5], 0x90
	s_load_dwordx4 s[8:11], s[4:5], 0x80
	s_andn2_b64 vcc, exec, s[16:17]
	s_waitcnt lgkmcnt(0)
	v_writelane_b32 v32, s8, 2
	v_writelane_b32 v32, s9, 3
	;; [unrolled: 1-line block ×4, first 2 shown]
	s_cbranch_vccnz .LBB79_43
; %bb.27:
	s_load_dwordx2 s[6:7], s[4:5], 0x68
	v_readlane_b32 s8, v32, 0
	v_readlane_b32 s9, v32, 1
	s_mov_b32 s10, s8
	s_ashr_i32 s11, s8, 31
	v_writelane_b32 v32, s8, 0
	v_writelane_b32 v32, s9, 1
	s_lshl_b64 s[8:9], s[10:11], 2
	s_waitcnt lgkmcnt(0)
	s_add_u32 s6, s6, s8
	s_addc_u32 s7, s7, s9
	s_load_dwordx2 s[6:7], s[6:7], 0x0
	s_waitcnt vmcnt(0)
	v_subrev_u32_e32 v6, s71, v0
	s_waitcnt lgkmcnt(0)
	s_sub_i32 s24, s7, s71
	v_add_u32_e32 v6, s6, v6
	v_cmp_gt_i32_e32 vcc, s24, v6
	s_and_saveexec_b64 s[8:9], vcc
	s_cbranch_execz .LBB79_42
; %bb.28:
	s_load_dwordx4 s[4:7], s[4:5], 0x70
	s_mov_b64 s[10:11], 0
	s_waitcnt lgkmcnt(0)
	v_mov_b32_e32 v13, s5
	v_mov_b32_e32 v14, s7
	s_movk_i32 s5, 0x89
	s_branch .LBB79_30
.LBB79_29:                              ;   in Loop: Header=BB79_30 Depth=1
	s_or_b64 exec, exec, s[12:13]
	v_add_u32_e32 v6, 0x400, v6
	v_cmp_le_i32_e32 vcc, s24, v6
	s_or_b64 s[10:11], vcc, s[10:11]
	s_andn2_b64 exec, exec, s[10:11]
	s_cbranch_execz .LBB79_42
.LBB79_30:                              ; =>This Loop Header: Depth=1
                                        ;     Child Loop BB79_32 Depth 2
	v_ashrrev_i32_e32 v7, 31, v6
	v_lshlrev_b64 v[8:9], 2, v[6:7]
	v_add_co_u32_e32 v8, vcc, s4, v8
	v_addc_co_u32_e32 v9, vcc, v13, v9, vcc
	global_load_dword v10, v[8:9], off
	v_lshlrev_b64 v[8:9], 4, v[6:7]
	v_add_co_u32_e32 v8, vcc, s6, v8
	v_addc_co_u32_e32 v9, vcc, v14, v9, vcc
	global_load_dwordx4 v[16:19], v[8:9], off
	s_mov_b64 s[12:13], 0
	s_waitcnt vmcnt(1)
	v_subrev_u32_e32 v7, s71, v10
	v_mul_lo_u32 v12, v7, s5
	v_and_b32_e32 v15, 0x1fff, v12
	s_waitcnt vmcnt(0)
	v_mul_f64 v[8:9], v[18:19], -v[2:3]
	v_mul_f64 v[10:11], v[4:5], v[18:19]
	v_fmac_f64_e32 v[8:9], v[4:5], v[16:17]
	v_fmac_f64_e32 v[10:11], v[2:3], v[16:17]
	s_branch .LBB79_32
.LBB79_31:                              ;   in Loop: Header=BB79_32 Depth=2
	s_or_b64 exec, exec, s[14:15]
	s_xor_b64 s[14:15], s[16:17], -1
	s_and_b64 s[14:15], exec, s[14:15]
	s_or_b64 s[12:13], s[14:15], s[12:13]
	s_andn2_b64 exec, exec, s[12:13]
	s_cbranch_execz .LBB79_29
.LBB79_32:                              ;   Parent Loop BB79_30 Depth=1
                                        ; =>  This Inner Loop Header: Depth=2
	v_lshl_add_u32 v12, v15, 2, 0
	ds_read_b32 v16, v12
                                        ; implicit-def: $sgpr16_sgpr17
	s_waitcnt lgkmcnt(0)
	v_cmp_ne_u32_e32 vcc, v16, v7
	s_and_saveexec_b64 s[14:15], vcc
	s_xor_b64 s[14:15], exec, s[14:15]
	s_cbranch_execz .LBB79_40
; %bb.33:                               ;   in Loop: Header=BB79_32 Depth=2
	v_cmp_ne_u32_e32 vcc, s33, v16
                                        ; implicit-def: $sgpr16_sgpr17
	s_and_saveexec_b64 s[18:19], vcc
	s_xor_b64 s[18:19], exec, s[18:19]
; %bb.34:                               ;   in Loop: Header=BB79_32 Depth=2
	v_add_u32_e32 v12, 1, v15
	v_and_b32_e32 v15, 0x1fff, v12
	s_mov_b64 s[16:17], -1
                                        ; implicit-def: $vgpr12
; %bb.35:                               ;   in Loop: Header=BB79_32 Depth=2
	s_andn2_saveexec_b64 s[18:19], s[18:19]
	s_cbranch_execz .LBB79_39
; %bb.36:                               ;   in Loop: Header=BB79_32 Depth=2
	v_mov_b32_e32 v16, s33
	ds_cmpst_rtn_b32 v16, v12, v16, v7
	s_mov_b64 s[22:23], -1
	s_waitcnt lgkmcnt(0)
	v_cmp_eq_u32_e32 vcc, s33, v16
	s_and_saveexec_b64 s[20:21], vcc
	s_cbranch_execz .LBB79_38
; %bb.37:                               ;   in Loop: Header=BB79_32 Depth=2
	v_mad_u64_u32 v[16:17], s[22:23], v15, 12, v[12:13]
	ds_add_f64 v16, v[8:9] offset:32768
	ds_add_f64 v16, v[10:11] offset:32776
	s_xor_b64 s[22:23], exec, -1
.LBB79_38:                              ;   in Loop: Header=BB79_32 Depth=2
	s_or_b64 exec, exec, s[20:21]
	s_andn2_b64 s[16:17], s[16:17], exec
	s_and_b64 s[20:21], s[22:23], exec
	s_or_b64 s[16:17], s[16:17], s[20:21]
.LBB79_39:                              ;   in Loop: Header=BB79_32 Depth=2
	s_or_b64 exec, exec, s[18:19]
	s_and_b64 s[16:17], s[16:17], exec
                                        ; implicit-def: $vgpr12
.LBB79_40:                              ;   in Loop: Header=BB79_32 Depth=2
	s_andn2_saveexec_b64 s[14:15], s[14:15]
	s_cbranch_execz .LBB79_31
; %bb.41:                               ;   in Loop: Header=BB79_32 Depth=2
	v_mad_u64_u32 v[16:17], s[18:19], v15, 12, v[12:13]
	ds_add_f64 v16, v[8:9] offset:32768
	ds_add_f64 v16, v[10:11] offset:32776
	s_andn2_b64 s[16:17], s[16:17], exec
	s_branch .LBB79_31
.LBB79_42:
	s_or_b64 exec, exec, s[8:9]
.LBB79_43:
	v_writelane_b32 v32, s28, 6
	v_writelane_b32 v32, s29, 7
	s_add_i32 s4, 0, 0x28000
	v_writelane_b32 v32, s4, 8
	s_add_i32 s64, 0, 0x28004
	;; [unrolled: 2-line block ×6, first 2 shown]
	s_waitcnt vmcnt(0)
	v_lshrrev_b32_e32 v5, 3, v0
	v_writelane_b32 v32, s64, 13
	s_add_i32 s64, 0, 0x28018
	v_mbcnt_lo_u32_b32 v2, -1, 0
	v_and_b32_e32 v5, 0x7c, v5
	v_writelane_b32 v32, s64, 14
	s_add_i32 s64, 0, 0x2801c
	v_mbcnt_hi_u32_b32 v2, -1, v2
	v_add_u32_e32 v5, s4, v5
	s_movk_i32 s4, 0x3ff
	v_writelane_b32 v32, s64, 15
	s_add_i32 s64, 0, 0x28020
	v_sub_u32_e32 v2, 63, v2
	v_cmp_eq_u32_e32 vcc, s4, v0
	s_movk_i32 s4, 0x5f
	s_movk_i32 s6, 0x7f
	;; [unrolled: 1-line block ×29, first 2 shown]
	v_lshl_add_u32 v6, v0, 4, 0
	v_writelane_b32 v32, s64, 16
	s_add_i32 s64, 0, 0x28024
	v_mov_b32_e32 v4, 0
	v_lshrrev_b64 v[2:3], v2, -1
	v_cmp_lt_u32_e64 s[4:5], s4, v0
	v_cmp_lt_u32_e64 s[6:7], s6, v0
	;; [unrolled: 1-line block ×29, first 2 shown]
	v_add_u32_e32 v6, 0x8000, v6
	v_or_b32_e32 v7, 0xfffffc00, v0
	v_writelane_b32 v32, s64, 17
	s_add_i32 s92, 0, 0x28028
	s_add_i32 s93, 0, 0x2802c
	;; [unrolled: 1-line block ×22, first 2 shown]
	s_movk_i32 s89, 0x1bff
	v_cmp_lt_u32_e64 s[64:65], 31, v0
	v_cmp_lt_u32_e64 s[66:67], 63, v0
	s_mov_b64 s[80:81], 0
	s_waitcnt lgkmcnt(0)
	s_barrier
	s_branch .LBB79_45
.LBB79_44:                              ;   in Loop: Header=BB79_45 Depth=1
	s_or_b64 exec, exec, s[68:69]
	v_mov_b32_e32 v8, s88
	s_waitcnt lgkmcnt(0)
	s_barrier
	ds_read_b32 v8, v8
	v_add_u32_e32 v7, 0x400, v7
	v_cmp_lt_u32_e64 s[68:69], s89, v7
	v_add_u32_e32 v6, 0x4000, v6
	s_or_b64 s[80:81], s[68:69], s[80:81]
	s_waitcnt lgkmcnt(0)
	v_add_u32_e32 v4, v8, v4
	v_add_u32_e32 v1, 0x1000, v1
	s_andn2_b64 exec, exec, s[80:81]
	s_cbranch_execz .LBB79_111
.LBB79_45:                              ; =>This Inner Loop Header: Depth=1
	ds_read2_b64 v[10:13], v6 offset1:1
	ds_read_b32 v9, v1
	s_waitcnt lgkmcnt(1)
	buffer_store_dword v13, off, s[0:3], 0 offset:12
	buffer_store_dword v12, off, s[0:3], 0 offset:8
	;; [unrolled: 1-line block ×3, first 2 shown]
	buffer_store_dword v10, off, s[0:3], 0
	s_waitcnt lgkmcnt(0)
	v_cmp_gt_i32_e64 s[68:69], s33, v9
	v_and_b32_e32 v10, s68, v2
	s_bcnt1_i32_b64 s82, s[68:69]
	v_and_b32_e32 v8, s69, v3
	v_bcnt_u32_b32 v10, v10, 0
	v_bcnt_u32_b32 v8, v8, v10
	v_mov_b32_e32 v10, s82
	s_barrier
	ds_write_b32 v5, v10
	s_waitcnt lgkmcnt(0)
	s_barrier
	s_and_saveexec_b64 s[82:83], s[64:65]
	s_cbranch_execnz .LBB79_78
; %bb.46:                               ;   in Loop: Header=BB79_45 Depth=1
	s_or_b64 exec, exec, s[82:83]
	s_and_saveexec_b64 s[82:83], s[66:67]
	s_cbranch_execnz .LBB79_79
.LBB79_47:                              ;   in Loop: Header=BB79_45 Depth=1
	s_or_b64 exec, exec, s[82:83]
	s_and_saveexec_b64 s[82:83], s[4:5]
	s_cbranch_execnz .LBB79_80
.LBB79_48:                              ;   in Loop: Header=BB79_45 Depth=1
	s_or_b64 exec, exec, s[82:83]
	s_and_saveexec_b64 s[82:83], s[6:7]
	s_cbranch_execnz .LBB79_81
.LBB79_49:                              ;   in Loop: Header=BB79_45 Depth=1
	s_or_b64 exec, exec, s[82:83]
	s_and_saveexec_b64 s[82:83], s[8:9]
	s_cbranch_execnz .LBB79_82
.LBB79_50:                              ;   in Loop: Header=BB79_45 Depth=1
	s_or_b64 exec, exec, s[82:83]
	s_and_saveexec_b64 s[82:83], s[10:11]
	s_cbranch_execnz .LBB79_83
.LBB79_51:                              ;   in Loop: Header=BB79_45 Depth=1
	s_or_b64 exec, exec, s[82:83]
	s_and_saveexec_b64 s[82:83], s[12:13]
	s_cbranch_execnz .LBB79_84
.LBB79_52:                              ;   in Loop: Header=BB79_45 Depth=1
	s_or_b64 exec, exec, s[82:83]
	s_and_saveexec_b64 s[82:83], s[14:15]
	s_cbranch_execnz .LBB79_85
.LBB79_53:                              ;   in Loop: Header=BB79_45 Depth=1
	s_or_b64 exec, exec, s[82:83]
	s_and_saveexec_b64 s[82:83], s[16:17]
	s_cbranch_execnz .LBB79_86
.LBB79_54:                              ;   in Loop: Header=BB79_45 Depth=1
	s_or_b64 exec, exec, s[82:83]
	s_and_saveexec_b64 s[82:83], s[18:19]
	s_cbranch_execnz .LBB79_87
.LBB79_55:                              ;   in Loop: Header=BB79_45 Depth=1
	s_or_b64 exec, exec, s[82:83]
	s_and_saveexec_b64 s[82:83], s[20:21]
	s_cbranch_execnz .LBB79_88
.LBB79_56:                              ;   in Loop: Header=BB79_45 Depth=1
	s_or_b64 exec, exec, s[82:83]
	s_and_saveexec_b64 s[82:83], s[22:23]
	s_cbranch_execnz .LBB79_89
.LBB79_57:                              ;   in Loop: Header=BB79_45 Depth=1
	s_or_b64 exec, exec, s[82:83]
	s_and_saveexec_b64 s[82:83], s[24:25]
	s_cbranch_execnz .LBB79_90
.LBB79_58:                              ;   in Loop: Header=BB79_45 Depth=1
	s_or_b64 exec, exec, s[82:83]
	s_and_saveexec_b64 s[82:83], s[26:27]
	s_cbranch_execnz .LBB79_91
.LBB79_59:                              ;   in Loop: Header=BB79_45 Depth=1
	s_or_b64 exec, exec, s[82:83]
	s_and_saveexec_b64 s[82:83], s[28:29]
	s_cbranch_execnz .LBB79_92
.LBB79_60:                              ;   in Loop: Header=BB79_45 Depth=1
	s_or_b64 exec, exec, s[82:83]
	s_and_saveexec_b64 s[82:83], s[30:31]
	s_cbranch_execnz .LBB79_93
.LBB79_61:                              ;   in Loop: Header=BB79_45 Depth=1
	s_or_b64 exec, exec, s[82:83]
	s_and_saveexec_b64 s[82:83], s[34:35]
	s_cbranch_execnz .LBB79_94
.LBB79_62:                              ;   in Loop: Header=BB79_45 Depth=1
	s_or_b64 exec, exec, s[82:83]
	s_and_saveexec_b64 s[82:83], s[36:37]
	s_cbranch_execnz .LBB79_95
.LBB79_63:                              ;   in Loop: Header=BB79_45 Depth=1
	s_or_b64 exec, exec, s[82:83]
	s_and_saveexec_b64 s[82:83], s[38:39]
	s_cbranch_execnz .LBB79_96
.LBB79_64:                              ;   in Loop: Header=BB79_45 Depth=1
	s_or_b64 exec, exec, s[82:83]
	s_and_saveexec_b64 s[82:83], s[40:41]
	s_cbranch_execnz .LBB79_97
.LBB79_65:                              ;   in Loop: Header=BB79_45 Depth=1
	s_or_b64 exec, exec, s[82:83]
	s_and_saveexec_b64 s[82:83], s[42:43]
	s_cbranch_execnz .LBB79_98
.LBB79_66:                              ;   in Loop: Header=BB79_45 Depth=1
	s_or_b64 exec, exec, s[82:83]
	s_and_saveexec_b64 s[82:83], s[44:45]
	s_cbranch_execnz .LBB79_99
.LBB79_67:                              ;   in Loop: Header=BB79_45 Depth=1
	s_or_b64 exec, exec, s[82:83]
	s_and_saveexec_b64 s[82:83], s[46:47]
	s_cbranch_execnz .LBB79_100
.LBB79_68:                              ;   in Loop: Header=BB79_45 Depth=1
	s_or_b64 exec, exec, s[82:83]
	s_and_saveexec_b64 s[82:83], s[48:49]
	s_cbranch_execnz .LBB79_101
.LBB79_69:                              ;   in Loop: Header=BB79_45 Depth=1
	s_or_b64 exec, exec, s[82:83]
	s_and_saveexec_b64 s[82:83], s[50:51]
	s_cbranch_execnz .LBB79_102
.LBB79_70:                              ;   in Loop: Header=BB79_45 Depth=1
	s_or_b64 exec, exec, s[82:83]
	s_and_saveexec_b64 s[82:83], s[52:53]
	s_cbranch_execnz .LBB79_103
.LBB79_71:                              ;   in Loop: Header=BB79_45 Depth=1
	s_or_b64 exec, exec, s[82:83]
	s_and_saveexec_b64 s[82:83], s[54:55]
	s_cbranch_execnz .LBB79_104
.LBB79_72:                              ;   in Loop: Header=BB79_45 Depth=1
	s_or_b64 exec, exec, s[82:83]
	s_and_saveexec_b64 s[82:83], s[56:57]
	s_cbranch_execnz .LBB79_105
.LBB79_73:                              ;   in Loop: Header=BB79_45 Depth=1
	s_or_b64 exec, exec, s[82:83]
	s_and_saveexec_b64 s[82:83], s[58:59]
	s_cbranch_execnz .LBB79_106
.LBB79_74:                              ;   in Loop: Header=BB79_45 Depth=1
	s_or_b64 exec, exec, s[82:83]
	s_and_saveexec_b64 s[82:83], s[60:61]
	s_cbranch_execnz .LBB79_107
.LBB79_75:                              ;   in Loop: Header=BB79_45 Depth=1
	s_or_b64 exec, exec, s[82:83]
	s_and_saveexec_b64 s[82:83], s[62:63]
	s_cbranch_execnz .LBB79_108
.LBB79_76:                              ;   in Loop: Header=BB79_45 Depth=1
	s_or_b64 exec, exec, s[82:83]
	s_and_saveexec_b64 s[82:83], s[68:69]
	s_cbranch_execnz .LBB79_109
.LBB79_77:                              ;   in Loop: Header=BB79_45 Depth=1
	s_or_b64 exec, exec, s[82:83]
	s_and_saveexec_b64 s[68:69], vcc
	s_cbranch_execz .LBB79_44
	s_branch .LBB79_110
.LBB79_78:                              ;   in Loop: Header=BB79_45 Depth=1
	v_readlane_b32 s90, v32, 8
	v_mov_b32_e32 v10, s90
	ds_read_b32 v10, v10
	s_waitcnt lgkmcnt(0)
	v_add_u32_e32 v8, v10, v8
	s_or_b64 exec, exec, s[82:83]
	s_and_saveexec_b64 s[82:83], s[66:67]
	s_cbranch_execz .LBB79_47
.LBB79_79:                              ;   in Loop: Header=BB79_45 Depth=1
	v_readlane_b32 s90, v32, 9
	v_mov_b32_e32 v10, s90
	ds_read_b32 v10, v10
	s_waitcnt lgkmcnt(0)
	v_add_u32_e32 v8, v10, v8
	s_or_b64 exec, exec, s[82:83]
	s_and_saveexec_b64 s[82:83], s[4:5]
	s_cbranch_execz .LBB79_48
.LBB79_80:                              ;   in Loop: Header=BB79_45 Depth=1
	v_readlane_b32 s90, v32, 10
	v_mov_b32_e32 v10, s90
	ds_read_b32 v10, v10
	s_waitcnt lgkmcnt(0)
	v_add_u32_e32 v8, v10, v8
	s_or_b64 exec, exec, s[82:83]
	s_and_saveexec_b64 s[82:83], s[6:7]
	s_cbranch_execz .LBB79_49
.LBB79_81:                              ;   in Loop: Header=BB79_45 Depth=1
	v_readlane_b32 s90, v32, 11
	v_mov_b32_e32 v10, s90
	ds_read_b32 v10, v10
	s_waitcnt lgkmcnt(0)
	v_add_u32_e32 v8, v10, v8
	s_or_b64 exec, exec, s[82:83]
	s_and_saveexec_b64 s[82:83], s[8:9]
	s_cbranch_execz .LBB79_50
.LBB79_82:                              ;   in Loop: Header=BB79_45 Depth=1
	v_readlane_b32 s90, v32, 12
	v_mov_b32_e32 v10, s90
	ds_read_b32 v10, v10
	s_waitcnt lgkmcnt(0)
	v_add_u32_e32 v8, v10, v8
	s_or_b64 exec, exec, s[82:83]
	s_and_saveexec_b64 s[82:83], s[10:11]
	s_cbranch_execz .LBB79_51
.LBB79_83:                              ;   in Loop: Header=BB79_45 Depth=1
	v_readlane_b32 s90, v32, 13
	v_mov_b32_e32 v10, s90
	ds_read_b32 v10, v10
	s_waitcnt lgkmcnt(0)
	v_add_u32_e32 v8, v10, v8
	s_or_b64 exec, exec, s[82:83]
	s_and_saveexec_b64 s[82:83], s[12:13]
	s_cbranch_execz .LBB79_52
.LBB79_84:                              ;   in Loop: Header=BB79_45 Depth=1
	v_readlane_b32 s90, v32, 14
	v_mov_b32_e32 v10, s90
	ds_read_b32 v10, v10
	s_waitcnt lgkmcnt(0)
	v_add_u32_e32 v8, v10, v8
	s_or_b64 exec, exec, s[82:83]
	s_and_saveexec_b64 s[82:83], s[14:15]
	s_cbranch_execz .LBB79_53
.LBB79_85:                              ;   in Loop: Header=BB79_45 Depth=1
	v_readlane_b32 s90, v32, 15
	v_mov_b32_e32 v10, s90
	ds_read_b32 v10, v10
	s_waitcnt lgkmcnt(0)
	v_add_u32_e32 v8, v10, v8
	s_or_b64 exec, exec, s[82:83]
	s_and_saveexec_b64 s[82:83], s[16:17]
	s_cbranch_execz .LBB79_54
.LBB79_86:                              ;   in Loop: Header=BB79_45 Depth=1
	v_readlane_b32 s90, v32, 16
	v_mov_b32_e32 v10, s90
	ds_read_b32 v10, v10
	s_waitcnt lgkmcnt(0)
	v_add_u32_e32 v8, v10, v8
	s_or_b64 exec, exec, s[82:83]
	s_and_saveexec_b64 s[82:83], s[18:19]
	s_cbranch_execz .LBB79_55
.LBB79_87:                              ;   in Loop: Header=BB79_45 Depth=1
	v_readlane_b32 s90, v32, 17
	v_mov_b32_e32 v10, s90
	ds_read_b32 v10, v10
	s_waitcnt lgkmcnt(0)
	v_add_u32_e32 v8, v10, v8
	s_or_b64 exec, exec, s[82:83]
	s_and_saveexec_b64 s[82:83], s[20:21]
	s_cbranch_execz .LBB79_56
.LBB79_88:                              ;   in Loop: Header=BB79_45 Depth=1
	v_mov_b32_e32 v10, s92
	ds_read_b32 v10, v10
	s_waitcnt lgkmcnt(0)
	v_add_u32_e32 v8, v10, v8
	s_or_b64 exec, exec, s[82:83]
	s_and_saveexec_b64 s[82:83], s[22:23]
	s_cbranch_execz .LBB79_57
.LBB79_89:                              ;   in Loop: Header=BB79_45 Depth=1
	v_mov_b32_e32 v10, s93
	ds_read_b32 v10, v10
	s_waitcnt lgkmcnt(0)
	v_add_u32_e32 v8, v10, v8
	s_or_b64 exec, exec, s[82:83]
	s_and_saveexec_b64 s[82:83], s[24:25]
	s_cbranch_execz .LBB79_58
.LBB79_90:                              ;   in Loop: Header=BB79_45 Depth=1
	v_mov_b32_e32 v10, s94
	ds_read_b32 v10, v10
	s_waitcnt lgkmcnt(0)
	v_add_u32_e32 v8, v10, v8
	s_or_b64 exec, exec, s[82:83]
	s_and_saveexec_b64 s[82:83], s[26:27]
	s_cbranch_execz .LBB79_59
.LBB79_91:                              ;   in Loop: Header=BB79_45 Depth=1
	v_mov_b32_e32 v10, s95
	ds_read_b32 v10, v10
	s_waitcnt lgkmcnt(0)
	v_add_u32_e32 v8, v10, v8
	s_or_b64 exec, exec, s[82:83]
	s_and_saveexec_b64 s[82:83], s[28:29]
	s_cbranch_execz .LBB79_60
.LBB79_92:                              ;   in Loop: Header=BB79_45 Depth=1
	v_mov_b32_e32 v10, s96
	ds_read_b32 v10, v10
	s_waitcnt lgkmcnt(0)
	v_add_u32_e32 v8, v10, v8
	s_or_b64 exec, exec, s[82:83]
	s_and_saveexec_b64 s[82:83], s[30:31]
	s_cbranch_execz .LBB79_61
.LBB79_93:                              ;   in Loop: Header=BB79_45 Depth=1
	v_mov_b32_e32 v10, s97
	ds_read_b32 v10, v10
	s_waitcnt lgkmcnt(0)
	v_add_u32_e32 v8, v10, v8
	s_or_b64 exec, exec, s[82:83]
	s_and_saveexec_b64 s[82:83], s[34:35]
	s_cbranch_execz .LBB79_62
.LBB79_94:                              ;   in Loop: Header=BB79_45 Depth=1
	v_mov_b32_e32 v10, s98
	ds_read_b32 v10, v10
	s_waitcnt lgkmcnt(0)
	v_add_u32_e32 v8, v10, v8
	s_or_b64 exec, exec, s[82:83]
	s_and_saveexec_b64 s[82:83], s[36:37]
	s_cbranch_execz .LBB79_63
.LBB79_95:                              ;   in Loop: Header=BB79_45 Depth=1
	v_mov_b32_e32 v10, s99
	ds_read_b32 v10, v10
	s_waitcnt lgkmcnt(0)
	v_add_u32_e32 v8, v10, v8
	s_or_b64 exec, exec, s[82:83]
	s_and_saveexec_b64 s[82:83], s[38:39]
	s_cbranch_execz .LBB79_64
.LBB79_96:                              ;   in Loop: Header=BB79_45 Depth=1
	v_mov_b32_e32 v10, s78
	ds_read_b32 v10, v10
	s_waitcnt lgkmcnt(0)
	v_add_u32_e32 v8, v10, v8
	s_or_b64 exec, exec, s[82:83]
	s_and_saveexec_b64 s[82:83], s[40:41]
	s_cbranch_execz .LBB79_65
.LBB79_97:                              ;   in Loop: Header=BB79_45 Depth=1
	v_mov_b32_e32 v10, s76
	ds_read_b32 v10, v10
	s_waitcnt lgkmcnt(0)
	v_add_u32_e32 v8, v10, v8
	s_or_b64 exec, exec, s[82:83]
	s_and_saveexec_b64 s[82:83], s[42:43]
	s_cbranch_execz .LBB79_66
.LBB79_98:                              ;   in Loop: Header=BB79_45 Depth=1
	v_mov_b32_e32 v10, s77
	ds_read_b32 v10, v10
	s_waitcnt lgkmcnt(0)
	v_add_u32_e32 v8, v10, v8
	s_or_b64 exec, exec, s[82:83]
	s_and_saveexec_b64 s[82:83], s[44:45]
	s_cbranch_execz .LBB79_67
.LBB79_99:                              ;   in Loop: Header=BB79_45 Depth=1
	v_mov_b32_e32 v10, s72
	ds_read_b32 v10, v10
	s_waitcnt lgkmcnt(0)
	v_add_u32_e32 v8, v10, v8
	s_or_b64 exec, exec, s[82:83]
	s_and_saveexec_b64 s[82:83], s[46:47]
	s_cbranch_execz .LBB79_68
.LBB79_100:                             ;   in Loop: Header=BB79_45 Depth=1
	v_mov_b32_e32 v10, s73
	ds_read_b32 v10, v10
	s_waitcnt lgkmcnt(0)
	v_add_u32_e32 v8, v10, v8
	s_or_b64 exec, exec, s[82:83]
	s_and_saveexec_b64 s[82:83], s[48:49]
	s_cbranch_execz .LBB79_69
.LBB79_101:                             ;   in Loop: Header=BB79_45 Depth=1
	v_mov_b32_e32 v10, s74
	ds_read_b32 v10, v10
	s_waitcnt lgkmcnt(0)
	v_add_u32_e32 v8, v10, v8
	s_or_b64 exec, exec, s[82:83]
	s_and_saveexec_b64 s[82:83], s[50:51]
	s_cbranch_execz .LBB79_70
.LBB79_102:                             ;   in Loop: Header=BB79_45 Depth=1
	v_mov_b32_e32 v10, s75
	ds_read_b32 v10, v10
	s_waitcnt lgkmcnt(0)
	v_add_u32_e32 v8, v10, v8
	s_or_b64 exec, exec, s[82:83]
	s_and_saveexec_b64 s[82:83], s[52:53]
	s_cbranch_execz .LBB79_71
.LBB79_103:                             ;   in Loop: Header=BB79_45 Depth=1
	v_mov_b32_e32 v10, s71
	ds_read_b32 v10, v10
	s_waitcnt lgkmcnt(0)
	v_add_u32_e32 v8, v10, v8
	s_or_b64 exec, exec, s[82:83]
	s_and_saveexec_b64 s[82:83], s[54:55]
	s_cbranch_execz .LBB79_72
.LBB79_104:                             ;   in Loop: Header=BB79_45 Depth=1
	v_mov_b32_e32 v10, s79
	ds_read_b32 v10, v10
	s_waitcnt lgkmcnt(0)
	v_add_u32_e32 v8, v10, v8
	s_or_b64 exec, exec, s[82:83]
	s_and_saveexec_b64 s[82:83], s[56:57]
	s_cbranch_execz .LBB79_73
.LBB79_105:                             ;   in Loop: Header=BB79_45 Depth=1
	v_mov_b32_e32 v10, s84
	ds_read_b32 v10, v10
	s_waitcnt lgkmcnt(0)
	v_add_u32_e32 v8, v10, v8
	s_or_b64 exec, exec, s[82:83]
	s_and_saveexec_b64 s[82:83], s[58:59]
	s_cbranch_execz .LBB79_74
.LBB79_106:                             ;   in Loop: Header=BB79_45 Depth=1
	v_mov_b32_e32 v10, s85
	ds_read_b32 v10, v10
	s_waitcnt lgkmcnt(0)
	v_add_u32_e32 v8, v10, v8
	s_or_b64 exec, exec, s[82:83]
	s_and_saveexec_b64 s[82:83], s[60:61]
	s_cbranch_execz .LBB79_75
.LBB79_107:                             ;   in Loop: Header=BB79_45 Depth=1
	v_mov_b32_e32 v10, s86
	ds_read_b32 v10, v10
	s_waitcnt lgkmcnt(0)
	v_add_u32_e32 v8, v10, v8
	s_or_b64 exec, exec, s[82:83]
	s_and_saveexec_b64 s[82:83], s[62:63]
	s_cbranch_execz .LBB79_76
.LBB79_108:                             ;   in Loop: Header=BB79_45 Depth=1
	v_mov_b32_e32 v10, s87
	ds_read_b32 v10, v10
	s_waitcnt lgkmcnt(0)
	v_add_u32_e32 v8, v10, v8
	s_or_b64 exec, exec, s[82:83]
	s_and_saveexec_b64 s[82:83], s[68:69]
	s_cbranch_execz .LBB79_77
.LBB79_109:                             ;   in Loop: Header=BB79_45 Depth=1
	buffer_load_dword v10, off, s[0:3], 0
	buffer_load_dword v11, off, s[0:3], 0 offset:4
	buffer_load_dword v12, off, s[0:3], 0 offset:8
	;; [unrolled: 1-line block ×3, first 2 shown]
	v_add3_u32 v14, v4, -1, v8
	v_lshl_add_u32 v15, v14, 2, 0
	v_lshl_add_u32 v14, v14, 4, 0
	v_add_u32_e32 v14, 0x8000, v14
	ds_write_b32 v15, v9
	s_waitcnt vmcnt(0)
	ds_write2_b64 v14, v[10:11], v[12:13] offset1:1
	s_or_b64 exec, exec, s[82:83]
	s_and_saveexec_b64 s[68:69], vcc
	s_cbranch_execz .LBB79_44
.LBB79_110:                             ;   in Loop: Header=BB79_45 Depth=1
	v_mov_b32_e32 v9, s88
	ds_write_b32 v9, v8
	s_branch .LBB79_44
.LBB79_111:
	s_or_b64 exec, exec, s[80:81]
	v_readlane_b32 s4, v32, 0
	v_readlane_b32 s5, v32, 1
	s_ashr_i32 s5, s4, 31
	s_lshl_b64 s[4:5], s[4:5], 2
	v_readlane_b32 s8, v32, 2
	v_readlane_b32 s9, v32, 3
	s_add_u32 s4, s8, s4
	s_addc_u32 s5, s9, s5
	s_load_dwordx2 s[4:5], s[4:5], 0x0
	v_readlane_b32 s10, v32, 4
	v_readlane_b32 s11, v32, 5
	s_waitcnt lgkmcnt(0)
	s_sub_i32 s18, s5, s4
	v_cmp_gt_i32_e32 vcc, s18, v0
	s_and_saveexec_b64 s[6:7], vcc
	v_readlane_b32 s26, v32, 6
	v_readlane_b32 s27, v32, 7
	s_cbranch_execz .LBB79_126
; %bb.112:
	s_sub_i32 s10, s4, s70
	s_add_i32 s4, s18, -2
	s_lshr_b32 s5, s4, 1
	s_add_i32 s6, s5, 1
	s_cmp_gt_u32 s18, 1
	s_cselect_b64 s[12:13], -1, 0
	s_and_b32 s19, s18, -2
	s_and_b32 s8, s6, 7
	s_cmp_gt_u32 s4, 13
	s_cselect_b64 s[4:5], -1, 0
	s_and_b32 s20, s6, -8
	s_cmp_lg_u32 s8, 0
	s_cselect_b64 s[6:7], -1, 0
	v_cndmask_b32_e64 v1, 0, 1, s[4:5]
	v_readlane_b32 s28, v32, 2
	s_cmp_lg_u32 s18, s19
	v_cmp_ne_u32_e64 s[4:5], 1, v1
	v_cndmask_b32_e64 v1, 0, 1, s[6:7]
	v_readlane_b32 s31, v32, 5
	s_mov_b32 s11, 0
	s_cselect_b64 s[14:15], -1, 0
	s_lshl_b32 s21, s8, 3
	s_mov_b64 s[16:17], 0
	v_cmp_ne_u32_e64 s[6:7], 1, v1
	s_mov_b32 s22, 0x8000
	v_mov_b32_e32 v1, s31
	v_mov_b32_e32 v4, s27
	v_readlane_b32 s29, v32, 3
	v_readlane_b32 s30, v32, 4
	s_branch .LBB79_114
.LBB79_113:                             ;   in Loop: Header=BB79_114 Depth=1
	v_mul_lo_u32 v3, v0, 12
	v_add3_u32 v5, v5, v3, s22
	v_ashrrev_i32_e32 v3, 31, v2
	v_readlane_b32 s28, v32, 2
	s_waitcnt lgkmcnt(0)
	v_add_u32_e32 v8, s70, v6
	v_lshlrev_b64 v[6:7], 2, v[2:3]
	v_readlane_b32 s30, v32, 4
	v_add_co_u32_e32 v6, vcc, s30, v6
	v_addc_co_u32_e32 v7, vcc, v1, v7, vcc
	global_store_dword v[6:7], v8, off
	v_lshlrev_b64 v[2:3], 4, v[2:3]
	ds_read2_b64 v[6:9], v5 offset1:1
	v_add_co_u32_e32 v2, vcc, s26, v2
	v_addc_co_u32_e32 v3, vcc, v4, v3, vcc
	v_add_u32_e32 v0, 0x400, v0
	v_cmp_le_i32_e32 vcc, s18, v0
	s_or_b64 s[16:17], vcc, s[16:17]
	v_readlane_b32 s29, v32, 3
	v_readlane_b32 s31, v32, 5
	s_waitcnt lgkmcnt(0)
	global_store_dwordx4 v[2:3], v[6:9], off
	s_andn2_b64 exec, exec, s[16:17]
	s_cbranch_execz .LBB79_126
.LBB79_114:                             ; =>This Loop Header: Depth=1
                                        ;     Child Loop BB79_117 Depth 2
                                        ;     Child Loop BB79_122 Depth 2
	;; [unrolled: 1-line block ×3, first 2 shown]
	v_lshl_add_u32 v5, v0, 2, 0
	ds_read_b32 v6, v5
	s_and_b64 vcc, exec, s[12:13]
	s_cbranch_vccz .LBB79_119
; %bb.115:                              ;   in Loop: Header=BB79_114 Depth=1
	s_and_b64 vcc, exec, s[4:5]
	s_cbranch_vccnz .LBB79_120
; %bb.116:                              ;   in Loop: Header=BB79_114 Depth=1
	s_mov_b32 s24, 0
	v_mov_b32_e32 v2, s10
	v_mov_b32_e32 v3, 0
	s_mov_b32 s25, s20
	s_mov_b32 s23, 0
.LBB79_117:                             ;   Parent Loop BB79_114 Depth=1
                                        ; =>  This Inner Loop Header: Depth=2
	v_mov_b32_e32 v7, s24
	ds_read2_b32 v[8:9], v7 offset1:1
	ds_read2_b32 v[10:11], v7 offset0:2 offset1:3
	ds_read2_b32 v[12:13], v7 offset0:4 offset1:5
	;; [unrolled: 1-line block ×7, first 2 shown]
	s_waitcnt lgkmcnt(7)
	v_cmp_gt_i32_e32 vcc, v6, v9
	s_waitcnt lgkmcnt(5)
	v_cmp_gt_i32_e64 s[8:9], v6, v12
	v_cndmask_b32_e64 v7, 0, 1, vcc
	v_cmp_gt_i32_e32 vcc, v6, v8
	v_cndmask_b32_e64 v9, 0, 1, s[8:9]
	v_cmp_gt_i32_e64 s[8:9], v6, v13
	v_cndmask_b32_e64 v8, 0, 1, vcc
	v_cmp_gt_i32_e32 vcc, v6, v11
	v_cndmask_b32_e64 v11, 0, 1, s[8:9]
	s_waitcnt lgkmcnt(3)
	v_cmp_gt_i32_e64 s[8:9], v6, v17
	v_cndmask_b32_e64 v12, 0, 1, s[8:9]
	v_cmp_gt_i32_e64 s[8:9], v6, v16
	v_cndmask_b32_e64 v13, 0, 1, s[8:9]
	s_waitcnt lgkmcnt(1)
	v_cmp_gt_i32_e64 s[8:9], v6, v20
	v_cndmask_b32_e64 v16, 0, 1, s[8:9]
	v_cmp_gt_i32_e64 s[8:9], v6, v21
	v_cndmask_b32_e64 v17, 0, 1, s[8:9]
	v_cmp_gt_i32_e64 s[8:9], v6, v10
	v_addc_co_u32_e64 v2, s[8:9], v2, v8, s[8:9]
	v_addc_co_u32_e32 v3, vcc, v3, v7, vcc
	v_cmp_gt_i32_e32 vcc, v6, v14
	v_cmp_gt_i32_e64 s[8:9], v6, v15
	v_addc_co_u32_e64 v3, s[8:9], v3, v11, s[8:9]
	v_addc_co_u32_e32 v2, vcc, v2, v9, vcc
	v_cmp_gt_i32_e32 vcc, v6, v19
	v_cmp_gt_i32_e64 s[8:9], v6, v18
	v_addc_co_u32_e64 v2, s[8:9], v2, v13, s[8:9]
	v_addc_co_u32_e32 v3, vcc, v3, v12, vcc
	s_add_i32 s23, s23, 16
	s_add_i32 s24, s24, 64
	s_add_i32 s25, s25, -8
	s_waitcnt lgkmcnt(0)
	v_cmp_gt_i32_e32 vcc, v6, v22
	v_cmp_gt_i32_e64 s[8:9], v6, v23
	s_cmp_lg_u32 s25, 0
	v_addc_co_u32_e64 v3, s[8:9], v3, v17, s[8:9]
	v_addc_co_u32_e32 v2, vcc, v2, v16, vcc
	s_cbranch_scc1 .LBB79_117
; %bb.118:                              ;   in Loop: Header=BB79_114 Depth=1
	s_and_b64 vcc, exec, s[6:7]
	s_cbranch_vccz .LBB79_121
	s_branch .LBB79_123
.LBB79_119:                             ;   in Loop: Header=BB79_114 Depth=1
	v_mov_b32_e32 v2, s10
	s_mov_b32 s23, 0
	s_cbranch_execz .LBB79_113
	s_branch .LBB79_124
.LBB79_120:                             ;   in Loop: Header=BB79_114 Depth=1
	v_pk_mov_b32 v[2:3], s[10:11], s[10:11] op_sel:[0,1]
	s_mov_b32 s23, 0
	s_and_b64 vcc, exec, s[6:7]
	s_cbranch_vccnz .LBB79_123
.LBB79_121:                             ;   in Loop: Header=BB79_114 Depth=1
	s_lshl_b32 s8, s23, 2
	s_add_i32 s8, s8, 0
	s_mov_b32 s9, s21
.LBB79_122:                             ;   Parent Loop BB79_114 Depth=1
                                        ; =>  This Inner Loop Header: Depth=2
	v_mov_b32_e32 v7, s8
	ds_read2_b32 v[8:9], v7 offset1:1
	s_add_i32 s8, s8, 8
	s_add_i32 s9, s9, -8
	s_cmp_lg_u32 s9, 0
	s_waitcnt lgkmcnt(0)
	v_cmp_gt_i32_e32 vcc, v6, v9
	v_addc_co_u32_e32 v3, vcc, 0, v3, vcc
	v_cmp_gt_i32_e32 vcc, v6, v8
	v_addc_co_u32_e32 v2, vcc, 0, v2, vcc
	s_cbranch_scc1 .LBB79_122
.LBB79_123:                             ;   in Loop: Header=BB79_114 Depth=1
	v_add_u32_e32 v2, v2, v3
	s_mov_b32 s23, s19
	s_mov_b64 s[8:9], s[14:15]
	s_and_b64 vcc, exec, s[8:9]
	s_cbranch_vccz .LBB79_113
.LBB79_124:                             ;   in Loop: Header=BB79_114 Depth=1
	s_lshl_b32 s8, s23, 2
	s_add_i32 s8, s8, 0
.LBB79_125:                             ;   Parent Loop BB79_114 Depth=1
                                        ; =>  This Inner Loop Header: Depth=2
	v_mov_b32_e32 v3, s8
	ds_read_b32 v3, v3
	s_add_i32 s23, s23, 1
	s_add_i32 s8, s8, 4
	s_cmp_ge_i32 s23, s18
	s_waitcnt lgkmcnt(0)
	v_cmp_gt_i32_e32 vcc, v6, v3
	v_addc_co_u32_e32 v2, vcc, 0, v2, vcc
	s_cbranch_scc0 .LBB79_125
	s_branch .LBB79_113
.LBB79_126:
	s_endpgm
	.section	.rodata,"a",@progbits
	.p2align	6, 0x0
	.amdhsa_kernel _ZN9rocsparseL26csrgemm_fill_block_per_rowILj1024ELj64ELj8192ELj137ELj32Eii21rocsparse_complex_numIdEEEvT5_PKS3_S5_NS_24const_host_device_scalarIT6_EEPKT4_S5_PKS7_SB_S5_SD_S8_SB_S5_SD_SB_PS3_PS7_21rocsparse_index_base_SG_SG_SG_bbb
		.amdhsa_group_segment_fixed_size 0
		.amdhsa_private_segment_fixed_size 40
		.amdhsa_kernarg_size 172
		.amdhsa_user_sgpr_count 8
		.amdhsa_user_sgpr_private_segment_buffer 1
		.amdhsa_user_sgpr_dispatch_ptr 0
		.amdhsa_user_sgpr_queue_ptr 0
		.amdhsa_user_sgpr_kernarg_segment_ptr 1
		.amdhsa_user_sgpr_dispatch_id 0
		.amdhsa_user_sgpr_flat_scratch_init 1
		.amdhsa_user_sgpr_kernarg_preload_length 0
		.amdhsa_user_sgpr_kernarg_preload_offset 0
		.amdhsa_user_sgpr_private_segment_size 0
		.amdhsa_uses_dynamic_stack 0
		.amdhsa_system_sgpr_private_segment_wavefront_offset 1
		.amdhsa_system_sgpr_workgroup_id_x 1
		.amdhsa_system_sgpr_workgroup_id_y 0
		.amdhsa_system_sgpr_workgroup_id_z 0
		.amdhsa_system_sgpr_workgroup_info 0
		.amdhsa_system_vgpr_workitem_id 0
		.amdhsa_next_free_vgpr 33
		.amdhsa_next_free_sgpr 100
		.amdhsa_accum_offset 36
		.amdhsa_reserve_vcc 1
		.amdhsa_reserve_flat_scratch 1
		.amdhsa_float_round_mode_32 0
		.amdhsa_float_round_mode_16_64 0
		.amdhsa_float_denorm_mode_32 3
		.amdhsa_float_denorm_mode_16_64 3
		.amdhsa_dx10_clamp 1
		.amdhsa_ieee_mode 1
		.amdhsa_fp16_overflow 0
		.amdhsa_tg_split 0
		.amdhsa_exception_fp_ieee_invalid_op 0
		.amdhsa_exception_fp_denorm_src 0
		.amdhsa_exception_fp_ieee_div_zero 0
		.amdhsa_exception_fp_ieee_overflow 0
		.amdhsa_exception_fp_ieee_underflow 0
		.amdhsa_exception_fp_ieee_inexact 0
		.amdhsa_exception_int_div_zero 0
	.end_amdhsa_kernel
	.section	.text._ZN9rocsparseL26csrgemm_fill_block_per_rowILj1024ELj64ELj8192ELj137ELj32Eii21rocsparse_complex_numIdEEEvT5_PKS3_S5_NS_24const_host_device_scalarIT6_EEPKT4_S5_PKS7_SB_S5_SD_S8_SB_S5_SD_SB_PS3_PS7_21rocsparse_index_base_SG_SG_SG_bbb,"axG",@progbits,_ZN9rocsparseL26csrgemm_fill_block_per_rowILj1024ELj64ELj8192ELj137ELj32Eii21rocsparse_complex_numIdEEEvT5_PKS3_S5_NS_24const_host_device_scalarIT6_EEPKT4_S5_PKS7_SB_S5_SD_S8_SB_S5_SD_SB_PS3_PS7_21rocsparse_index_base_SG_SG_SG_bbb,comdat
.Lfunc_end79:
	.size	_ZN9rocsparseL26csrgemm_fill_block_per_rowILj1024ELj64ELj8192ELj137ELj32Eii21rocsparse_complex_numIdEEEvT5_PKS3_S5_NS_24const_host_device_scalarIT6_EEPKT4_S5_PKS7_SB_S5_SD_S8_SB_S5_SD_SB_PS3_PS7_21rocsparse_index_base_SG_SG_SG_bbb, .Lfunc_end79-_ZN9rocsparseL26csrgemm_fill_block_per_rowILj1024ELj64ELj8192ELj137ELj32Eii21rocsparse_complex_numIdEEEvT5_PKS3_S5_NS_24const_host_device_scalarIT6_EEPKT4_S5_PKS7_SB_S5_SD_S8_SB_S5_SD_SB_PS3_PS7_21rocsparse_index_base_SG_SG_SG_bbb
                                        ; -- End function
	.section	.AMDGPU.csdata,"",@progbits
; Kernel info:
; codeLenInByte = 5524
; NumSgprs: 106
; NumVgprs: 33
; NumAgprs: 0
; TotalNumVgprs: 33
; ScratchSize: 40
; MemoryBound: 0
; FloatMode: 240
; IeeeMode: 1
; LDSByteSize: 0 bytes/workgroup (compile time only)
; SGPRBlocks: 13
; VGPRBlocks: 4
; NumSGPRsForWavesPerEU: 106
; NumVGPRsForWavesPerEU: 33
; AccumOffset: 36
; Occupancy: 7
; WaveLimiterHint : 1
; COMPUTE_PGM_RSRC2:SCRATCH_EN: 1
; COMPUTE_PGM_RSRC2:USER_SGPR: 8
; COMPUTE_PGM_RSRC2:TRAP_HANDLER: 0
; COMPUTE_PGM_RSRC2:TGID_X_EN: 1
; COMPUTE_PGM_RSRC2:TGID_Y_EN: 0
; COMPUTE_PGM_RSRC2:TGID_Z_EN: 0
; COMPUTE_PGM_RSRC2:TIDIG_COMP_CNT: 0
; COMPUTE_PGM_RSRC3_GFX90A:ACCUM_OFFSET: 8
; COMPUTE_PGM_RSRC3_GFX90A:TG_SPLIT: 0
	.section	.text._ZN9rocsparseL26csrgemm_fill_block_per_rowILj1024ELj64ELj8192ELj137ELj64Eii21rocsparse_complex_numIdEEEvT5_PKS3_S5_NS_24const_host_device_scalarIT6_EEPKT4_S5_PKS7_SB_S5_SD_S8_SB_S5_SD_SB_PS3_PS7_21rocsparse_index_base_SG_SG_SG_bbb,"axG",@progbits,_ZN9rocsparseL26csrgemm_fill_block_per_rowILj1024ELj64ELj8192ELj137ELj64Eii21rocsparse_complex_numIdEEEvT5_PKS3_S5_NS_24const_host_device_scalarIT6_EEPKT4_S5_PKS7_SB_S5_SD_S8_SB_S5_SD_SB_PS3_PS7_21rocsparse_index_base_SG_SG_SG_bbb,comdat
	.globl	_ZN9rocsparseL26csrgemm_fill_block_per_rowILj1024ELj64ELj8192ELj137ELj64Eii21rocsparse_complex_numIdEEEvT5_PKS3_S5_NS_24const_host_device_scalarIT6_EEPKT4_S5_PKS7_SB_S5_SD_S8_SB_S5_SD_SB_PS3_PS7_21rocsparse_index_base_SG_SG_SG_bbb ; -- Begin function _ZN9rocsparseL26csrgemm_fill_block_per_rowILj1024ELj64ELj8192ELj137ELj64Eii21rocsparse_complex_numIdEEEvT5_PKS3_S5_NS_24const_host_device_scalarIT6_EEPKT4_S5_PKS7_SB_S5_SD_S8_SB_S5_SD_SB_PS3_PS7_21rocsparse_index_base_SG_SG_SG_bbb
	.p2align	8
	.type	_ZN9rocsparseL26csrgemm_fill_block_per_rowILj1024ELj64ELj8192ELj137ELj64Eii21rocsparse_complex_numIdEEEvT5_PKS3_S5_NS_24const_host_device_scalarIT6_EEPKT4_S5_PKS7_SB_S5_SD_S8_SB_S5_SD_SB_PS3_PS7_21rocsparse_index_base_SG_SG_SG_bbb,@function
_ZN9rocsparseL26csrgemm_fill_block_per_rowILj1024ELj64ELj8192ELj137ELj64Eii21rocsparse_complex_numIdEEEvT5_PKS3_S5_NS_24const_host_device_scalarIT6_EEPKT4_S5_PKS7_SB_S5_SD_S8_SB_S5_SD_SB_PS3_PS7_21rocsparse_index_base_SG_SG_SG_bbb: ; @_ZN9rocsparseL26csrgemm_fill_block_per_rowILj1024ELj64ELj8192ELj137ELj64Eii21rocsparse_complex_numIdEEEvT5_PKS3_S5_NS_24const_host_device_scalarIT6_EEPKT4_S5_PKS7_SB_S5_SD_S8_SB_S5_SD_SB_PS3_PS7_21rocsparse_index_base_SG_SG_SG_bbb
; %bb.0:
	s_add_u32 flat_scratch_lo, s6, s9
	s_addc_u32 flat_scratch_hi, s7, 0
	s_add_u32 s0, s0, s9
	s_load_dword s9, s[4:5], 0xa8
	s_load_dwordx8 s[12:19], s[4:5], 0x8
	s_load_dwordx4 s[36:39], s[4:5], 0x98
	s_load_dwordx4 s[20:23], s[4:5], 0x58
	s_addc_u32 s1, s1, 0
	v_pk_mov_b32 v[2:3], 0, 0
	s_waitcnt lgkmcnt(0)
	s_bitcmp1_b32 s9, 0
	v_mov_b32_e32 v1, s17
	s_cselect_b64 s[24:25], -1, 0
	s_bitcmp1_b32 s9, 16
	buffer_store_dword v1, off, s[0:3], 0 offset:20
	v_mov_b32_e32 v1, s16
	s_cselect_b64 s[6:7], -1, 0
	buffer_store_dword v1, off, s[0:3], 0 offset:16
	v_mov_b32_e32 v1, s21
	buffer_store_dword v1, off, s[0:3], 0 offset:28
	v_mov_b32_e32 v1, s20
	s_xor_b64 s[10:11], s[6:7], -1
	buffer_store_dword v1, off, s[0:3], 0 offset:24
	v_cndmask_b32_e64 v1, 0, 1, s[10:11]
	s_bitcmp0_b32 s9, 0
	v_cmp_ne_u32_e64 s[10:11], 1, v1
	v_pk_mov_b32 v[6:7], v[2:3], v[2:3] op_sel:[0,1]
	v_pk_mov_b32 v[8:9], v[2:3], v[2:3] op_sel:[0,1]
	s_cbranch_scc1 .LBB80_3
; %bb.1:
	s_mov_b64 s[26:27], src_private_base
	s_and_b64 s[28:29], s[6:7], exec
	s_cselect_b32 s26, s27, s17
	v_mov_b32_e32 v1, 16
	v_mov_b32_e32 v4, s16
	v_cndmask_b32_e64 v4, v4, v1, s[6:7]
	v_mov_b32_e32 v5, s26
	flat_load_dwordx2 v[6:7], v[4:5]
	s_and_b64 vcc, exec, s[10:11]
	v_pk_mov_b32 v[8:9], s[18:19], s[18:19] op_sel:[0,1]
	s_cbranch_vccnz .LBB80_3
; %bb.2:
	v_pk_mov_b32 v[4:5], s[16:17], s[16:17] op_sel:[0,1]
	flat_load_dwordx2 v[8:9], v[4:5] offset:8
.LBB80_3:
	s_bitcmp1_b32 s9, 8
	s_cselect_b64 s[16:17], -1, 0
	s_bfe_u32 s9, s9, 0x10008
	s_cmp_eq_u32 s9, 0
	v_pk_mov_b32 v[4:5], v[2:3], v[2:3] op_sel:[0,1]
	s_cbranch_scc1 .LBB80_6
; %bb.4:
	s_mov_b64 s[18:19], src_private_base
	s_and_b64 s[26:27], s[6:7], exec
	s_cselect_b32 s9, s19, s21
	v_mov_b32_e32 v1, 24
	v_mov_b32_e32 v2, s20
	v_cndmask_b32_e64 v2, v2, v1, s[6:7]
	v_mov_b32_e32 v3, s9
	flat_load_dwordx2 v[4:5], v[2:3]
	s_and_b64 vcc, exec, s[10:11]
	v_pk_mov_b32 v[2:3], s[22:23], s[22:23] op_sel:[0,1]
	s_cbranch_vccnz .LBB80_6
; %bb.5:
	v_pk_mov_b32 v[2:3], s[20:21], s[20:21] op_sel:[0,1]
	flat_load_dwordx2 v[2:3], v[2:3] offset:8
.LBB80_6:
	s_load_dword s33, s[4:5], 0x0
	s_mov_b32 s6, 0
	v_lshl_add_u32 v1, v0, 2, 0
	s_mov_b32 s7, s6
	v_mad_u32_u24 v14, v0, 12, v1
	s_waitcnt lgkmcnt(0)
	v_mov_b32_e32 v10, s33
	ds_write_b32 v1, v10
	v_pk_mov_b32 v[10:11], s[6:7], s[6:7] op_sel:[0,1]
	s_add_i32 s7, 0, 0x8000
	s_mov_b32 s10, s6
	s_mov_b32 s11, s6
	v_lshl_add_u32 v16, v0, 4, s7
	v_add_u32_e32 v15, 0x8000, v14
	v_pk_mov_b32 v[12:13], s[10:11], s[10:11] op_sel:[0,1]
	v_add_u32_e32 v17, 0x4000, v16
	ds_write2_b64 v15, v[10:11], v[12:13] offset1:1
	v_mad_i32_i24 v14, v0, -12, v14
	v_mov_b32_e32 v15, s33
	ds_write2_b64 v17, v[10:11], v[12:13] offset1:1
	v_mov_b32_e32 v17, s33
	ds_write2st64_b32 v14, v15, v17 offset0:16 offset1:32
	v_add_u32_e32 v15, 0x8000, v16
	v_add_u32_e32 v17, 0xc000, v16
	ds_write2_b64 v15, v[10:11], v[12:13] offset1:1
	v_mov_b32_e32 v15, s33
	ds_write2_b64 v17, v[10:11], v[12:13] offset1:1
	v_mov_b32_e32 v17, s33
	ds_write2st64_b32 v14, v15, v17 offset0:48 offset1:64
	v_add_u32_e32 v15, 0x10000, v16
	v_add_u32_e32 v17, 0x14000, v16
	ds_write2_b64 v15, v[10:11], v[12:13] offset1:1
	v_mov_b32_e32 v15, s33
	ds_write2_b64 v17, v[10:11], v[12:13] offset1:1
	v_mov_b32_e32 v17, s33
	ds_write2st64_b32 v14, v15, v17 offset0:80 offset1:96
	v_add_u32_e32 v15, 0x18000, v16
	ds_write2_b64 v15, v[10:11], v[12:13] offset1:1
	v_mov_b32_e32 v15, s33
	ds_write_b32 v14, v15 offset:28672
	v_add_u32_e32 v14, 0x1c000, v16
	ds_write2_b64 v14, v[10:11], v[12:13] offset1:1
	s_waitcnt lgkmcnt(0)
	s_barrier
	s_load_dword s7, s[12:13], 0x0
	s_mov_b32 s9, s6
	v_lshrrev_b32_e32 v23, 6, v0
	s_waitcnt lgkmcnt(0)
	s_add_i32 s8, s7, s8
	s_lshl_b64 s[6:7], s[8:9], 2
	s_add_u32 s6, s14, s6
	s_addc_u32 s7, s15, s7
	s_load_dword s46, s[6:7], 0x0
	s_andn2_b64 vcc, exec, s[24:25]
	s_cbranch_vccnz .LBB80_26
; %bb.7:
	s_load_dwordx2 s[6:7], s[4:5], 0x28
	s_waitcnt lgkmcnt(0)
	s_ashr_i32 s47, s46, 31
	s_lshl_b64 s[8:9], s[46:47], 2
	v_subrev_u32_e32 v10, s36, v23
	s_add_u32 s6, s6, s8
	s_addc_u32 s7, s7, s9
	s_load_dwordx2 s[6:7], s[6:7], 0x0
	s_waitcnt lgkmcnt(0)
	s_sub_i32 s44, s7, s36
	v_add_u32_e32 v10, s6, v10
	v_cmp_gt_i32_e32 vcc, s44, v10
	s_and_saveexec_b64 s[6:7], vcc
	s_cbranch_execz .LBB80_25
; %bb.8:
	s_load_dwordx8 s[8:15], s[4:5], 0x30
	s_load_dwordx2 s[18:19], s[4:5], 0x50
	v_and_b32_e32 v11, 63, v0
	s_mov_b64 s[20:21], 0
	v_subrev_u32_e32 v24, s37, v11
	s_waitcnt lgkmcnt(0)
	v_mov_b32_e32 v25, s9
	v_mov_b32_e32 v26, s13
	s_movk_i32 s9, 0x89
	s_branch .LBB80_10
.LBB80_9:                               ;   in Loop: Header=BB80_10 Depth=1
	s_or_b64 exec, exec, s[22:23]
	v_add_u32_e32 v10, 16, v10
	v_cmp_le_i32_e32 vcc, s44, v10
	s_or_b64 s[20:21], vcc, s[20:21]
	s_andn2_b64 exec, exec, s[20:21]
	s_cbranch_execz .LBB80_25
.LBB80_10:                              ; =>This Loop Header: Depth=1
                                        ;     Child Loop BB80_13 Depth 2
                                        ;       Child Loop BB80_15 Depth 3
	v_ashrrev_i32_e32 v11, 31, v10
	v_lshlrev_b64 v[12:13], 2, v[10:11]
	v_add_co_u32_e32 v12, vcc, s8, v12
	v_addc_co_u32_e32 v13, vcc, v25, v13, vcc
	global_load_dword v12, v[12:13], off
	s_waitcnt vmcnt(0)
	v_subrev_u32_e32 v12, s36, v12
	v_ashrrev_i32_e32 v13, 31, v12
	v_lshlrev_b64 v[12:13], 2, v[12:13]
	v_add_co_u32_e32 v12, vcc, s12, v12
	v_addc_co_u32_e32 v13, vcc, v26, v13, vcc
	global_load_dwordx2 v[12:13], v[12:13], off
	s_waitcnt vmcnt(0)
	v_subrev_u32_e32 v27, s37, v13
	v_add_u32_e32 v12, v12, v24
	v_cmp_lt_i32_e32 vcc, v12, v27
	s_and_saveexec_b64 s[22:23], vcc
	s_cbranch_execz .LBB80_9
; %bb.11:                               ;   in Loop: Header=BB80_10 Depth=1
	v_lshlrev_b64 v[14:15], 4, v[10:11]
	v_mov_b32_e32 v11, s11
	v_add_co_u32_e32 v14, vcc, s10, v14
	v_addc_co_u32_e32 v15, vcc, v11, v15, vcc
	global_load_dwordx4 v[18:21], v[14:15], off
	s_mov_b64 s[24:25], 0
	s_waitcnt vmcnt(0)
	v_mul_f64 v[14:15], v[20:21], -v[8:9]
	v_mul_f64 v[16:17], v[6:7], v[20:21]
	v_fmac_f64_e32 v[14:15], v[6:7], v[18:19]
	v_fmac_f64_e32 v[16:17], v[8:9], v[18:19]
	s_branch .LBB80_13
.LBB80_12:                              ;   in Loop: Header=BB80_13 Depth=2
	s_or_b64 exec, exec, s[26:27]
	v_add_u32_e32 v12, 64, v12
	v_cmp_ge_i32_e32 vcc, v12, v27
	s_or_b64 s[24:25], vcc, s[24:25]
	s_andn2_b64 exec, exec, s[24:25]
	s_cbranch_execz .LBB80_9
.LBB80_13:                              ;   Parent Loop BB80_10 Depth=1
                                        ; =>  This Loop Header: Depth=2
                                        ;       Child Loop BB80_15 Depth 3
	v_ashrrev_i32_e32 v13, 31, v12
	v_lshlrev_b64 v[18:19], 2, v[12:13]
	v_mov_b32_e32 v11, s15
	v_add_co_u32_e32 v18, vcc, s14, v18
	v_addc_co_u32_e32 v19, vcc, v11, v19, vcc
	global_load_dword v11, v[18:19], off
	v_lshlrev_b64 v[18:19], 4, v[12:13]
	v_mov_b32_e32 v13, s19
	v_add_co_u32_e32 v18, vcc, s18, v18
	v_addc_co_u32_e32 v19, vcc, v13, v19, vcc
	global_load_dwordx4 v[28:31], v[18:19], off
	s_mov_b64 s[26:27], 0
	s_waitcnt vmcnt(1)
	v_subrev_u32_e32 v11, s37, v11
	v_mul_lo_u32 v13, v11, s9
	v_and_b32_e32 v13, 0x1fff, v13
	s_waitcnt vmcnt(0)
	v_mul_f64 v[18:19], v[30:31], -v[16:17]
	v_mul_f64 v[20:21], v[14:15], v[30:31]
	v_fmac_f64_e32 v[18:19], v[14:15], v[28:29]
	v_fmac_f64_e32 v[20:21], v[16:17], v[28:29]
	s_branch .LBB80_15
.LBB80_14:                              ;   in Loop: Header=BB80_15 Depth=3
	s_or_b64 exec, exec, s[28:29]
	s_xor_b64 s[28:29], s[30:31], -1
	s_and_b64 s[28:29], exec, s[28:29]
	s_or_b64 s[26:27], s[28:29], s[26:27]
	s_andn2_b64 exec, exec, s[26:27]
	s_cbranch_execz .LBB80_12
.LBB80_15:                              ;   Parent Loop BB80_10 Depth=1
                                        ;     Parent Loop BB80_13 Depth=2
                                        ; =>    This Inner Loop Header: Depth=3
	v_lshl_add_u32 v22, v13, 2, 0
	ds_read_b32 v28, v22
                                        ; implicit-def: $sgpr30_sgpr31
	s_waitcnt lgkmcnt(0)
	v_cmp_ne_u32_e32 vcc, v28, v11
	s_and_saveexec_b64 s[28:29], vcc
	s_xor_b64 s[28:29], exec, s[28:29]
	s_cbranch_execz .LBB80_23
; %bb.16:                               ;   in Loop: Header=BB80_15 Depth=3
	v_cmp_ne_u32_e32 vcc, s33, v28
                                        ; implicit-def: $sgpr30_sgpr31
	s_and_saveexec_b64 s[34:35], vcc
	s_xor_b64 s[34:35], exec, s[34:35]
; %bb.17:                               ;   in Loop: Header=BB80_15 Depth=3
	v_add_u32_e32 v13, 1, v13
	v_and_b32_e32 v13, 0x1fff, v13
	s_mov_b64 s[30:31], -1
                                        ; implicit-def: $vgpr22
; %bb.18:                               ;   in Loop: Header=BB80_15 Depth=3
	s_andn2_saveexec_b64 s[34:35], s[34:35]
	s_cbranch_execz .LBB80_22
; %bb.19:                               ;   in Loop: Header=BB80_15 Depth=3
	v_mov_b32_e32 v28, s33
	ds_cmpst_rtn_b32 v28, v22, v28, v11
	s_mov_b64 s[42:43], -1
	s_waitcnt lgkmcnt(0)
	v_cmp_eq_u32_e32 vcc, s33, v28
	s_and_saveexec_b64 s[40:41], vcc
	s_cbranch_execz .LBB80_21
; %bb.20:                               ;   in Loop: Header=BB80_15 Depth=3
	v_mad_u64_u32 v[28:29], s[42:43], v13, 12, v[22:23]
	ds_add_f64 v28, v[18:19] offset:32768
	ds_add_f64 v28, v[20:21] offset:32776
	s_xor_b64 s[42:43], exec, -1
.LBB80_21:                              ;   in Loop: Header=BB80_15 Depth=3
	s_or_b64 exec, exec, s[40:41]
	s_andn2_b64 s[30:31], s[30:31], exec
	s_and_b64 s[40:41], s[42:43], exec
	s_or_b64 s[30:31], s[30:31], s[40:41]
.LBB80_22:                              ;   in Loop: Header=BB80_15 Depth=3
	s_or_b64 exec, exec, s[34:35]
	s_and_b64 s[30:31], s[30:31], exec
                                        ; implicit-def: $vgpr22
.LBB80_23:                              ;   in Loop: Header=BB80_15 Depth=3
	s_andn2_saveexec_b64 s[28:29], s[28:29]
	s_cbranch_execz .LBB80_14
; %bb.24:                               ;   in Loop: Header=BB80_15 Depth=3
	v_mad_u64_u32 v[28:29], s[34:35], v13, 12, v[22:23]
	ds_add_f64 v28, v[18:19] offset:32768
	ds_add_f64 v28, v[20:21] offset:32776
	s_andn2_b64 s[30:31], s[30:31], exec
	s_branch .LBB80_14
.LBB80_25:
	s_or_b64 exec, exec, s[6:7]
.LBB80_26:
	s_load_dwordx2 s[44:45], s[4:5], 0x90
	s_load_dwordx4 s[40:43], s[4:5], 0x80
	s_andn2_b64 vcc, exec, s[16:17]
	s_cbranch_vccnz .LBB80_43
; %bb.27:
	s_load_dwordx2 s[6:7], s[4:5], 0x68
	s_waitcnt lgkmcnt(0)
	s_ashr_i32 s47, s46, 31
	s_lshl_b64 s[8:9], s[46:47], 2
	s_waitcnt vmcnt(0)
	v_subrev_u32_e32 v6, s39, v0
	s_add_u32 s6, s6, s8
	s_addc_u32 s7, s7, s9
	s_load_dwordx2 s[6:7], s[6:7], 0x0
	s_waitcnt lgkmcnt(0)
	s_sub_i32 s24, s7, s39
	v_add_u32_e32 v6, s6, v6
	v_cmp_gt_i32_e32 vcc, s24, v6
	s_and_saveexec_b64 s[8:9], vcc
	s_cbranch_execz .LBB80_42
; %bb.28:
	s_load_dwordx4 s[4:7], s[4:5], 0x70
	s_mov_b64 s[10:11], 0
	s_waitcnt lgkmcnt(0)
	v_mov_b32_e32 v13, s5
	v_mov_b32_e32 v14, s7
	s_movk_i32 s5, 0x89
	s_branch .LBB80_30
.LBB80_29:                              ;   in Loop: Header=BB80_30 Depth=1
	s_or_b64 exec, exec, s[12:13]
	v_add_u32_e32 v6, 0x400, v6
	v_cmp_le_i32_e32 vcc, s24, v6
	s_or_b64 s[10:11], vcc, s[10:11]
	s_andn2_b64 exec, exec, s[10:11]
	s_cbranch_execz .LBB80_42
.LBB80_30:                              ; =>This Loop Header: Depth=1
                                        ;     Child Loop BB80_32 Depth 2
	v_ashrrev_i32_e32 v7, 31, v6
	v_lshlrev_b64 v[8:9], 2, v[6:7]
	v_add_co_u32_e32 v8, vcc, s4, v8
	v_addc_co_u32_e32 v9, vcc, v13, v9, vcc
	global_load_dword v10, v[8:9], off
	v_lshlrev_b64 v[8:9], 4, v[6:7]
	v_add_co_u32_e32 v8, vcc, s6, v8
	v_addc_co_u32_e32 v9, vcc, v14, v9, vcc
	global_load_dwordx4 v[16:19], v[8:9], off
	s_mov_b64 s[12:13], 0
	s_waitcnt vmcnt(1)
	v_subrev_u32_e32 v7, s39, v10
	v_mul_lo_u32 v12, v7, s5
	v_and_b32_e32 v15, 0x1fff, v12
	s_waitcnt vmcnt(0)
	v_mul_f64 v[8:9], v[18:19], -v[2:3]
	v_mul_f64 v[10:11], v[4:5], v[18:19]
	v_fmac_f64_e32 v[8:9], v[4:5], v[16:17]
	v_fmac_f64_e32 v[10:11], v[2:3], v[16:17]
	s_branch .LBB80_32
.LBB80_31:                              ;   in Loop: Header=BB80_32 Depth=2
	s_or_b64 exec, exec, s[14:15]
	s_xor_b64 s[14:15], s[16:17], -1
	s_and_b64 s[14:15], exec, s[14:15]
	s_or_b64 s[12:13], s[14:15], s[12:13]
	s_andn2_b64 exec, exec, s[12:13]
	s_cbranch_execz .LBB80_29
.LBB80_32:                              ;   Parent Loop BB80_30 Depth=1
                                        ; =>  This Inner Loop Header: Depth=2
	v_lshl_add_u32 v12, v15, 2, 0
	ds_read_b32 v16, v12
                                        ; implicit-def: $sgpr16_sgpr17
	s_waitcnt lgkmcnt(0)
	v_cmp_ne_u32_e32 vcc, v16, v7
	s_and_saveexec_b64 s[14:15], vcc
	s_xor_b64 s[14:15], exec, s[14:15]
	s_cbranch_execz .LBB80_40
; %bb.33:                               ;   in Loop: Header=BB80_32 Depth=2
	v_cmp_ne_u32_e32 vcc, s33, v16
                                        ; implicit-def: $sgpr16_sgpr17
	s_and_saveexec_b64 s[18:19], vcc
	s_xor_b64 s[18:19], exec, s[18:19]
; %bb.34:                               ;   in Loop: Header=BB80_32 Depth=2
	v_add_u32_e32 v12, 1, v15
	v_and_b32_e32 v15, 0x1fff, v12
	s_mov_b64 s[16:17], -1
                                        ; implicit-def: $vgpr12
; %bb.35:                               ;   in Loop: Header=BB80_32 Depth=2
	s_andn2_saveexec_b64 s[18:19], s[18:19]
	s_cbranch_execz .LBB80_39
; %bb.36:                               ;   in Loop: Header=BB80_32 Depth=2
	v_mov_b32_e32 v16, s33
	ds_cmpst_rtn_b32 v16, v12, v16, v7
	s_mov_b64 s[22:23], -1
	s_waitcnt lgkmcnt(0)
	v_cmp_eq_u32_e32 vcc, s33, v16
	s_and_saveexec_b64 s[20:21], vcc
	s_cbranch_execz .LBB80_38
; %bb.37:                               ;   in Loop: Header=BB80_32 Depth=2
	v_mad_u64_u32 v[16:17], s[22:23], v15, 12, v[12:13]
	ds_add_f64 v16, v[8:9] offset:32768
	ds_add_f64 v16, v[10:11] offset:32776
	s_xor_b64 s[22:23], exec, -1
.LBB80_38:                              ;   in Loop: Header=BB80_32 Depth=2
	s_or_b64 exec, exec, s[20:21]
	s_andn2_b64 s[16:17], s[16:17], exec
	s_and_b64 s[20:21], s[22:23], exec
	s_or_b64 s[16:17], s[16:17], s[20:21]
.LBB80_39:                              ;   in Loop: Header=BB80_32 Depth=2
	s_or_b64 exec, exec, s[18:19]
	s_and_b64 s[16:17], s[16:17], exec
                                        ; implicit-def: $vgpr12
.LBB80_40:                              ;   in Loop: Header=BB80_32 Depth=2
	s_andn2_saveexec_b64 s[14:15], s[14:15]
	s_cbranch_execz .LBB80_31
; %bb.41:                               ;   in Loop: Header=BB80_32 Depth=2
	v_mad_u64_u32 v[16:17], s[18:19], v15, 12, v[12:13]
	ds_add_f64 v16, v[8:9] offset:32768
	ds_add_f64 v16, v[10:11] offset:32776
	s_andn2_b64 s[16:17], s[16:17], exec
	s_branch .LBB80_31
.LBB80_42:
	s_or_b64 exec, exec, s[8:9]
.LBB80_43:
	s_waitcnt vmcnt(0)
	v_mbcnt_lo_u32_b32 v2, -1, 0
	v_mbcnt_hi_u32_b32 v2, -1, v2
	v_sub_u32_e32 v2, 63, v2
	s_add_i32 s39, 0, 0x28000
	s_movk_i32 s4, 0x3ff
	s_movk_i32 s6, 0x7f
	;; [unrolled: 1-line block ×15, first 2 shown]
	v_lshl_add_u32 v6, v0, 4, 0
	s_add_i32 s65, 0, 0x2803c
	v_mov_b32_e32 v4, 0
	v_lshrrev_b64 v[2:3], v2, -1
	v_lshl_add_u32 v5, v23, 2, s39
	v_cmp_eq_u32_e32 vcc, s4, v0
	v_cmp_lt_u32_e64 s[4:5], 63, v0
	v_cmp_lt_u32_e64 s[6:7], s6, v0
	;; [unrolled: 1-line block ×15, first 2 shown]
	v_add_u32_e32 v6, 0x8000, v6
	v_or_b32_e32 v7, 0xfffffc00, v0
	s_mov_b64 s[48:49], 0
	s_add_i32 s47, 0, 0x28004
	s_add_i32 s52, 0, 0x28008
	;; [unrolled: 1-line block ×14, first 2 shown]
	v_mov_b32_e32 v8, s65
	s_movk_i32 s66, 0x1bff
	s_waitcnt lgkmcnt(0)
	s_barrier
	s_branch .LBB80_45
.LBB80_44:                              ;   in Loop: Header=BB80_45 Depth=1
	s_or_b64 exec, exec, s[36:37]
	s_waitcnt lgkmcnt(0)
	s_barrier
	ds_read_b32 v9, v8
	v_add_u32_e32 v7, 0x400, v7
	v_cmp_lt_u32_e64 s[36:37], s66, v7
	v_add_u32_e32 v6, 0x4000, v6
	s_or_b64 s[48:49], s[36:37], s[48:49]
	s_waitcnt lgkmcnt(0)
	v_add_u32_e32 v4, v9, v4
	v_add_u32_e32 v1, 0x1000, v1
	s_andn2_b64 exec, exec, s[48:49]
	s_cbranch_execz .LBB80_79
.LBB80_45:                              ; =>This Inner Loop Header: Depth=1
	ds_read2_b64 v[12:15], v6 offset1:1
	ds_read_b32 v10, v1
	s_waitcnt lgkmcnt(1)
	buffer_store_dword v15, off, s[0:3], 0 offset:12
	buffer_store_dword v14, off, s[0:3], 0 offset:8
	;; [unrolled: 1-line block ×3, first 2 shown]
	buffer_store_dword v12, off, s[0:3], 0
	s_waitcnt lgkmcnt(0)
	v_cmp_gt_i32_e64 s[36:37], s33, v10
	v_and_b32_e32 v11, s36, v2
	s_bcnt1_i32_b64 s50, s[36:37]
	v_and_b32_e32 v9, s37, v3
	v_bcnt_u32_b32 v11, v11, 0
	v_bcnt_u32_b32 v9, v9, v11
	v_mov_b32_e32 v11, s50
	s_barrier
	ds_write_b32 v5, v11
	s_waitcnt lgkmcnt(0)
	s_barrier
	s_and_saveexec_b64 s[50:51], s[4:5]
	s_cbranch_execnz .LBB80_62
; %bb.46:                               ;   in Loop: Header=BB80_45 Depth=1
	s_or_b64 exec, exec, s[50:51]
	s_and_saveexec_b64 s[50:51], s[6:7]
	s_cbranch_execnz .LBB80_63
.LBB80_47:                              ;   in Loop: Header=BB80_45 Depth=1
	s_or_b64 exec, exec, s[50:51]
	s_and_saveexec_b64 s[50:51], s[8:9]
	s_cbranch_execnz .LBB80_64
.LBB80_48:                              ;   in Loop: Header=BB80_45 Depth=1
	s_or_b64 exec, exec, s[50:51]
	s_and_saveexec_b64 s[50:51], s[10:11]
	s_cbranch_execnz .LBB80_65
.LBB80_49:                              ;   in Loop: Header=BB80_45 Depth=1
	s_or_b64 exec, exec, s[50:51]
	s_and_saveexec_b64 s[50:51], s[12:13]
	s_cbranch_execnz .LBB80_66
.LBB80_50:                              ;   in Loop: Header=BB80_45 Depth=1
	s_or_b64 exec, exec, s[50:51]
	s_and_saveexec_b64 s[50:51], s[14:15]
	s_cbranch_execnz .LBB80_67
.LBB80_51:                              ;   in Loop: Header=BB80_45 Depth=1
	s_or_b64 exec, exec, s[50:51]
	s_and_saveexec_b64 s[50:51], s[16:17]
	s_cbranch_execnz .LBB80_68
.LBB80_52:                              ;   in Loop: Header=BB80_45 Depth=1
	s_or_b64 exec, exec, s[50:51]
	s_and_saveexec_b64 s[50:51], s[18:19]
	s_cbranch_execnz .LBB80_69
.LBB80_53:                              ;   in Loop: Header=BB80_45 Depth=1
	s_or_b64 exec, exec, s[50:51]
	s_and_saveexec_b64 s[50:51], s[20:21]
	s_cbranch_execnz .LBB80_70
.LBB80_54:                              ;   in Loop: Header=BB80_45 Depth=1
	s_or_b64 exec, exec, s[50:51]
	s_and_saveexec_b64 s[50:51], s[22:23]
	s_cbranch_execnz .LBB80_71
.LBB80_55:                              ;   in Loop: Header=BB80_45 Depth=1
	s_or_b64 exec, exec, s[50:51]
	s_and_saveexec_b64 s[50:51], s[24:25]
	s_cbranch_execnz .LBB80_72
.LBB80_56:                              ;   in Loop: Header=BB80_45 Depth=1
	s_or_b64 exec, exec, s[50:51]
	s_and_saveexec_b64 s[50:51], s[26:27]
	s_cbranch_execnz .LBB80_73
.LBB80_57:                              ;   in Loop: Header=BB80_45 Depth=1
	s_or_b64 exec, exec, s[50:51]
	s_and_saveexec_b64 s[50:51], s[28:29]
	s_cbranch_execnz .LBB80_74
.LBB80_58:                              ;   in Loop: Header=BB80_45 Depth=1
	s_or_b64 exec, exec, s[50:51]
	s_and_saveexec_b64 s[50:51], s[30:31]
	s_cbranch_execnz .LBB80_75
.LBB80_59:                              ;   in Loop: Header=BB80_45 Depth=1
	s_or_b64 exec, exec, s[50:51]
	s_and_saveexec_b64 s[50:51], s[34:35]
	s_cbranch_execnz .LBB80_76
.LBB80_60:                              ;   in Loop: Header=BB80_45 Depth=1
	s_or_b64 exec, exec, s[50:51]
	s_and_saveexec_b64 s[50:51], s[36:37]
	s_cbranch_execnz .LBB80_77
.LBB80_61:                              ;   in Loop: Header=BB80_45 Depth=1
	s_or_b64 exec, exec, s[50:51]
	s_and_saveexec_b64 s[36:37], vcc
	s_cbranch_execz .LBB80_44
	s_branch .LBB80_78
.LBB80_62:                              ;   in Loop: Header=BB80_45 Depth=1
	v_mov_b32_e32 v11, s39
	ds_read_b32 v11, v11
	s_waitcnt lgkmcnt(0)
	v_add_u32_e32 v9, v11, v9
	s_or_b64 exec, exec, s[50:51]
	s_and_saveexec_b64 s[50:51], s[6:7]
	s_cbranch_execz .LBB80_47
.LBB80_63:                              ;   in Loop: Header=BB80_45 Depth=1
	v_mov_b32_e32 v11, s47
	ds_read_b32 v11, v11
	s_waitcnt lgkmcnt(0)
	v_add_u32_e32 v9, v11, v9
	s_or_b64 exec, exec, s[50:51]
	s_and_saveexec_b64 s[50:51], s[8:9]
	s_cbranch_execz .LBB80_48
.LBB80_64:                              ;   in Loop: Header=BB80_45 Depth=1
	v_mov_b32_e32 v11, s52
	ds_read_b32 v11, v11
	s_waitcnt lgkmcnt(0)
	v_add_u32_e32 v9, v11, v9
	s_or_b64 exec, exec, s[50:51]
	s_and_saveexec_b64 s[50:51], s[10:11]
	s_cbranch_execz .LBB80_49
.LBB80_65:                              ;   in Loop: Header=BB80_45 Depth=1
	v_mov_b32_e32 v11, s53
	ds_read_b32 v11, v11
	s_waitcnt lgkmcnt(0)
	v_add_u32_e32 v9, v11, v9
	s_or_b64 exec, exec, s[50:51]
	s_and_saveexec_b64 s[50:51], s[12:13]
	s_cbranch_execz .LBB80_50
.LBB80_66:                              ;   in Loop: Header=BB80_45 Depth=1
	v_mov_b32_e32 v11, s54
	ds_read_b32 v11, v11
	s_waitcnt lgkmcnt(0)
	v_add_u32_e32 v9, v11, v9
	s_or_b64 exec, exec, s[50:51]
	s_and_saveexec_b64 s[50:51], s[14:15]
	s_cbranch_execz .LBB80_51
.LBB80_67:                              ;   in Loop: Header=BB80_45 Depth=1
	v_mov_b32_e32 v11, s55
	ds_read_b32 v11, v11
	s_waitcnt lgkmcnt(0)
	v_add_u32_e32 v9, v11, v9
	s_or_b64 exec, exec, s[50:51]
	s_and_saveexec_b64 s[50:51], s[16:17]
	s_cbranch_execz .LBB80_52
.LBB80_68:                              ;   in Loop: Header=BB80_45 Depth=1
	v_mov_b32_e32 v11, s56
	ds_read_b32 v11, v11
	s_waitcnt lgkmcnt(0)
	v_add_u32_e32 v9, v11, v9
	s_or_b64 exec, exec, s[50:51]
	s_and_saveexec_b64 s[50:51], s[18:19]
	s_cbranch_execz .LBB80_53
.LBB80_69:                              ;   in Loop: Header=BB80_45 Depth=1
	v_mov_b32_e32 v11, s57
	ds_read_b32 v11, v11
	s_waitcnt lgkmcnt(0)
	v_add_u32_e32 v9, v11, v9
	s_or_b64 exec, exec, s[50:51]
	s_and_saveexec_b64 s[50:51], s[20:21]
	s_cbranch_execz .LBB80_54
.LBB80_70:                              ;   in Loop: Header=BB80_45 Depth=1
	v_mov_b32_e32 v11, s58
	ds_read_b32 v11, v11
	s_waitcnt lgkmcnt(0)
	v_add_u32_e32 v9, v11, v9
	s_or_b64 exec, exec, s[50:51]
	s_and_saveexec_b64 s[50:51], s[22:23]
	s_cbranch_execz .LBB80_55
.LBB80_71:                              ;   in Loop: Header=BB80_45 Depth=1
	v_mov_b32_e32 v11, s59
	ds_read_b32 v11, v11
	s_waitcnt lgkmcnt(0)
	v_add_u32_e32 v9, v11, v9
	s_or_b64 exec, exec, s[50:51]
	s_and_saveexec_b64 s[50:51], s[24:25]
	s_cbranch_execz .LBB80_56
.LBB80_72:                              ;   in Loop: Header=BB80_45 Depth=1
	v_mov_b32_e32 v11, s60
	ds_read_b32 v11, v11
	s_waitcnt lgkmcnt(0)
	v_add_u32_e32 v9, v11, v9
	s_or_b64 exec, exec, s[50:51]
	s_and_saveexec_b64 s[50:51], s[26:27]
	s_cbranch_execz .LBB80_57
.LBB80_73:                              ;   in Loop: Header=BB80_45 Depth=1
	v_mov_b32_e32 v11, s61
	ds_read_b32 v11, v11
	s_waitcnt lgkmcnt(0)
	v_add_u32_e32 v9, v11, v9
	s_or_b64 exec, exec, s[50:51]
	s_and_saveexec_b64 s[50:51], s[28:29]
	s_cbranch_execz .LBB80_58
.LBB80_74:                              ;   in Loop: Header=BB80_45 Depth=1
	v_mov_b32_e32 v11, s62
	ds_read_b32 v11, v11
	s_waitcnt lgkmcnt(0)
	v_add_u32_e32 v9, v11, v9
	s_or_b64 exec, exec, s[50:51]
	s_and_saveexec_b64 s[50:51], s[30:31]
	s_cbranch_execz .LBB80_59
.LBB80_75:                              ;   in Loop: Header=BB80_45 Depth=1
	v_mov_b32_e32 v11, s63
	ds_read_b32 v11, v11
	s_waitcnt lgkmcnt(0)
	v_add_u32_e32 v9, v11, v9
	s_or_b64 exec, exec, s[50:51]
	s_and_saveexec_b64 s[50:51], s[34:35]
	s_cbranch_execz .LBB80_60
.LBB80_76:                              ;   in Loop: Header=BB80_45 Depth=1
	v_mov_b32_e32 v11, s64
	ds_read_b32 v11, v11
	s_waitcnt lgkmcnt(0)
	v_add_u32_e32 v9, v11, v9
	s_or_b64 exec, exec, s[50:51]
	s_and_saveexec_b64 s[50:51], s[36:37]
	s_cbranch_execz .LBB80_61
.LBB80_77:                              ;   in Loop: Header=BB80_45 Depth=1
	buffer_load_dword v12, off, s[0:3], 0
	buffer_load_dword v13, off, s[0:3], 0 offset:4
	buffer_load_dword v14, off, s[0:3], 0 offset:8
	;; [unrolled: 1-line block ×3, first 2 shown]
	v_add3_u32 v11, v4, -1, v9
	v_lshl_add_u32 v16, v11, 2, 0
	v_lshl_add_u32 v11, v11, 4, 0
	v_add_u32_e32 v11, 0x8000, v11
	ds_write_b32 v16, v10
	s_waitcnt vmcnt(0)
	ds_write2_b64 v11, v[12:13], v[14:15] offset1:1
	s_or_b64 exec, exec, s[50:51]
	s_and_saveexec_b64 s[36:37], vcc
	s_cbranch_execz .LBB80_44
.LBB80_78:                              ;   in Loop: Header=BB80_45 Depth=1
	v_mov_b32_e32 v10, s65
	ds_write_b32 v10, v9
	s_branch .LBB80_44
.LBB80_79:
	s_or_b64 exec, exec, s[48:49]
	s_ashr_i32 s47, s46, 31
	s_lshl_b64 s[4:5], s[46:47], 2
	s_add_u32 s4, s40, s4
	s_addc_u32 s5, s41, s5
	s_load_dwordx2 s[4:5], s[4:5], 0x0
	s_waitcnt lgkmcnt(0)
	s_sub_i32 s18, s5, s4
	v_cmp_gt_i32_e32 vcc, s18, v0
	s_and_saveexec_b64 s[6:7], vcc
	s_cbranch_execz .LBB80_94
; %bb.80:
	s_sub_i32 s10, s4, s38
	s_add_i32 s4, s18, -2
	s_lshr_b32 s5, s4, 1
	s_add_i32 s6, s5, 1
	s_cmp_gt_u32 s18, 1
	s_cselect_b64 s[12:13], -1, 0
	s_and_b32 s19, s18, -2
	s_and_b32 s8, s6, 7
	s_cmp_gt_u32 s4, 13
	s_cselect_b64 s[4:5], -1, 0
	s_and_b32 s20, s6, -8
	s_cmp_lg_u32 s8, 0
	s_cselect_b64 s[6:7], -1, 0
	v_cndmask_b32_e64 v1, 0, 1, s[4:5]
	s_cmp_lg_u32 s18, s19
	v_cmp_ne_u32_e64 s[4:5], 1, v1
	v_cndmask_b32_e64 v1, 0, 1, s[6:7]
	s_mov_b32 s11, 0
	s_cselect_b64 s[14:15], -1, 0
	s_lshl_b32 s21, s8, 3
	s_mov_b64 s[16:17], 0
	v_cmp_ne_u32_e64 s[6:7], 1, v1
	s_mov_b32 s22, 0x8000
	v_mov_b32_e32 v1, s43
	v_mov_b32_e32 v4, s45
	s_branch .LBB80_82
.LBB80_81:                              ;   in Loop: Header=BB80_82 Depth=1
	v_mul_lo_u32 v3, v0, 12
	v_add3_u32 v5, v5, v3, s22
	v_ashrrev_i32_e32 v3, 31, v2
	s_waitcnt lgkmcnt(0)
	v_add_u32_e32 v8, s38, v6
	v_lshlrev_b64 v[6:7], 2, v[2:3]
	v_add_co_u32_e32 v6, vcc, s42, v6
	v_addc_co_u32_e32 v7, vcc, v1, v7, vcc
	global_store_dword v[6:7], v8, off
	v_lshlrev_b64 v[2:3], 4, v[2:3]
	ds_read2_b64 v[6:9], v5 offset1:1
	v_add_co_u32_e32 v2, vcc, s44, v2
	v_addc_co_u32_e32 v3, vcc, v4, v3, vcc
	v_add_u32_e32 v0, 0x400, v0
	v_cmp_le_i32_e32 vcc, s18, v0
	s_or_b64 s[16:17], vcc, s[16:17]
	s_waitcnt lgkmcnt(0)
	global_store_dwordx4 v[2:3], v[6:9], off
	s_andn2_b64 exec, exec, s[16:17]
	s_cbranch_execz .LBB80_94
.LBB80_82:                              ; =>This Loop Header: Depth=1
                                        ;     Child Loop BB80_85 Depth 2
                                        ;     Child Loop BB80_90 Depth 2
	;; [unrolled: 1-line block ×3, first 2 shown]
	v_lshl_add_u32 v5, v0, 2, 0
	ds_read_b32 v6, v5
	s_and_b64 vcc, exec, s[12:13]
	s_cbranch_vccz .LBB80_87
; %bb.83:                               ;   in Loop: Header=BB80_82 Depth=1
	s_and_b64 vcc, exec, s[4:5]
	s_cbranch_vccnz .LBB80_88
; %bb.84:                               ;   in Loop: Header=BB80_82 Depth=1
	s_mov_b32 s24, 0
	v_mov_b32_e32 v2, s10
	v_mov_b32_e32 v3, 0
	s_mov_b32 s25, s20
	s_mov_b32 s23, 0
.LBB80_85:                              ;   Parent Loop BB80_82 Depth=1
                                        ; =>  This Inner Loop Header: Depth=2
	v_mov_b32_e32 v7, s24
	ds_read2_b32 v[8:9], v7 offset1:1
	ds_read2_b32 v[10:11], v7 offset0:2 offset1:3
	ds_read2_b32 v[12:13], v7 offset0:4 offset1:5
	;; [unrolled: 1-line block ×7, first 2 shown]
	s_waitcnt lgkmcnt(7)
	v_cmp_gt_i32_e32 vcc, v6, v9
	s_waitcnt lgkmcnt(5)
	v_cmp_gt_i32_e64 s[8:9], v6, v12
	v_cndmask_b32_e64 v7, 0, 1, vcc
	v_cmp_gt_i32_e32 vcc, v6, v8
	v_cndmask_b32_e64 v9, 0, 1, s[8:9]
	v_cmp_gt_i32_e64 s[8:9], v6, v13
	v_cndmask_b32_e64 v8, 0, 1, vcc
	v_cmp_gt_i32_e32 vcc, v6, v11
	v_cndmask_b32_e64 v11, 0, 1, s[8:9]
	s_waitcnt lgkmcnt(3)
	v_cmp_gt_i32_e64 s[8:9], v6, v17
	v_cndmask_b32_e64 v12, 0, 1, s[8:9]
	v_cmp_gt_i32_e64 s[8:9], v6, v16
	v_cndmask_b32_e64 v13, 0, 1, s[8:9]
	s_waitcnt lgkmcnt(1)
	v_cmp_gt_i32_e64 s[8:9], v6, v20
	v_cndmask_b32_e64 v16, 0, 1, s[8:9]
	v_cmp_gt_i32_e64 s[8:9], v6, v21
	v_cndmask_b32_e64 v17, 0, 1, s[8:9]
	v_cmp_gt_i32_e64 s[8:9], v6, v10
	v_addc_co_u32_e64 v2, s[8:9], v2, v8, s[8:9]
	v_addc_co_u32_e32 v3, vcc, v3, v7, vcc
	v_cmp_gt_i32_e32 vcc, v6, v14
	v_cmp_gt_i32_e64 s[8:9], v6, v15
	v_addc_co_u32_e64 v3, s[8:9], v3, v11, s[8:9]
	v_addc_co_u32_e32 v2, vcc, v2, v9, vcc
	v_cmp_gt_i32_e32 vcc, v6, v19
	v_cmp_gt_i32_e64 s[8:9], v6, v18
	v_addc_co_u32_e64 v2, s[8:9], v2, v13, s[8:9]
	v_addc_co_u32_e32 v3, vcc, v3, v12, vcc
	s_add_i32 s23, s23, 16
	s_add_i32 s24, s24, 64
	s_add_i32 s25, s25, -8
	s_waitcnt lgkmcnt(0)
	v_cmp_gt_i32_e32 vcc, v6, v22
	v_cmp_gt_i32_e64 s[8:9], v6, v23
	s_cmp_lg_u32 s25, 0
	v_addc_co_u32_e64 v3, s[8:9], v3, v17, s[8:9]
	v_addc_co_u32_e32 v2, vcc, v2, v16, vcc
	s_cbranch_scc1 .LBB80_85
; %bb.86:                               ;   in Loop: Header=BB80_82 Depth=1
	s_and_b64 vcc, exec, s[6:7]
	s_cbranch_vccz .LBB80_89
	s_branch .LBB80_91
.LBB80_87:                              ;   in Loop: Header=BB80_82 Depth=1
	v_mov_b32_e32 v2, s10
	s_mov_b32 s23, 0
	s_cbranch_execz .LBB80_81
	s_branch .LBB80_92
.LBB80_88:                              ;   in Loop: Header=BB80_82 Depth=1
	v_pk_mov_b32 v[2:3], s[10:11], s[10:11] op_sel:[0,1]
	s_mov_b32 s23, 0
	s_and_b64 vcc, exec, s[6:7]
	s_cbranch_vccnz .LBB80_91
.LBB80_89:                              ;   in Loop: Header=BB80_82 Depth=1
	s_lshl_b32 s8, s23, 2
	s_add_i32 s8, s8, 0
	s_mov_b32 s9, s21
.LBB80_90:                              ;   Parent Loop BB80_82 Depth=1
                                        ; =>  This Inner Loop Header: Depth=2
	v_mov_b32_e32 v7, s8
	ds_read2_b32 v[8:9], v7 offset1:1
	s_add_i32 s8, s8, 8
	s_add_i32 s9, s9, -8
	s_cmp_lg_u32 s9, 0
	s_waitcnt lgkmcnt(0)
	v_cmp_gt_i32_e32 vcc, v6, v9
	v_addc_co_u32_e32 v3, vcc, 0, v3, vcc
	v_cmp_gt_i32_e32 vcc, v6, v8
	v_addc_co_u32_e32 v2, vcc, 0, v2, vcc
	s_cbranch_scc1 .LBB80_90
.LBB80_91:                              ;   in Loop: Header=BB80_82 Depth=1
	v_add_u32_e32 v2, v2, v3
	s_mov_b32 s23, s19
	s_mov_b64 s[8:9], s[14:15]
	s_and_b64 vcc, exec, s[8:9]
	s_cbranch_vccz .LBB80_81
.LBB80_92:                              ;   in Loop: Header=BB80_82 Depth=1
	s_lshl_b32 s8, s23, 2
	s_add_i32 s8, s8, 0
.LBB80_93:                              ;   Parent Loop BB80_82 Depth=1
                                        ; =>  This Inner Loop Header: Depth=2
	v_mov_b32_e32 v3, s8
	ds_read_b32 v3, v3
	s_add_i32 s23, s23, 1
	s_add_i32 s8, s8, 4
	s_cmp_ge_i32 s23, s18
	s_waitcnt lgkmcnt(0)
	v_cmp_gt_i32_e32 vcc, v6, v3
	v_addc_co_u32_e32 v2, vcc, 0, v2, vcc
	s_cbranch_scc0 .LBB80_93
	s_branch .LBB80_81
.LBB80_94:
	s_endpgm
	.section	.rodata,"a",@progbits
	.p2align	6, 0x0
	.amdhsa_kernel _ZN9rocsparseL26csrgemm_fill_block_per_rowILj1024ELj64ELj8192ELj137ELj64Eii21rocsparse_complex_numIdEEEvT5_PKS3_S5_NS_24const_host_device_scalarIT6_EEPKT4_S5_PKS7_SB_S5_SD_S8_SB_S5_SD_SB_PS3_PS7_21rocsparse_index_base_SG_SG_SG_bbb
		.amdhsa_group_segment_fixed_size 0
		.amdhsa_private_segment_fixed_size 40
		.amdhsa_kernarg_size 172
		.amdhsa_user_sgpr_count 8
		.amdhsa_user_sgpr_private_segment_buffer 1
		.amdhsa_user_sgpr_dispatch_ptr 0
		.amdhsa_user_sgpr_queue_ptr 0
		.amdhsa_user_sgpr_kernarg_segment_ptr 1
		.amdhsa_user_sgpr_dispatch_id 0
		.amdhsa_user_sgpr_flat_scratch_init 1
		.amdhsa_user_sgpr_kernarg_preload_length 0
		.amdhsa_user_sgpr_kernarg_preload_offset 0
		.amdhsa_user_sgpr_private_segment_size 0
		.amdhsa_uses_dynamic_stack 0
		.amdhsa_system_sgpr_private_segment_wavefront_offset 1
		.amdhsa_system_sgpr_workgroup_id_x 1
		.amdhsa_system_sgpr_workgroup_id_y 0
		.amdhsa_system_sgpr_workgroup_id_z 0
		.amdhsa_system_sgpr_workgroup_info 0
		.amdhsa_system_vgpr_workitem_id 0
		.amdhsa_next_free_vgpr 32
		.amdhsa_next_free_sgpr 67
		.amdhsa_accum_offset 32
		.amdhsa_reserve_vcc 1
		.amdhsa_reserve_flat_scratch 1
		.amdhsa_float_round_mode_32 0
		.amdhsa_float_round_mode_16_64 0
		.amdhsa_float_denorm_mode_32 3
		.amdhsa_float_denorm_mode_16_64 3
		.amdhsa_dx10_clamp 1
		.amdhsa_ieee_mode 1
		.amdhsa_fp16_overflow 0
		.amdhsa_tg_split 0
		.amdhsa_exception_fp_ieee_invalid_op 0
		.amdhsa_exception_fp_denorm_src 0
		.amdhsa_exception_fp_ieee_div_zero 0
		.amdhsa_exception_fp_ieee_overflow 0
		.amdhsa_exception_fp_ieee_underflow 0
		.amdhsa_exception_fp_ieee_inexact 0
		.amdhsa_exception_int_div_zero 0
	.end_amdhsa_kernel
	.section	.text._ZN9rocsparseL26csrgemm_fill_block_per_rowILj1024ELj64ELj8192ELj137ELj64Eii21rocsparse_complex_numIdEEEvT5_PKS3_S5_NS_24const_host_device_scalarIT6_EEPKT4_S5_PKS7_SB_S5_SD_S8_SB_S5_SD_SB_PS3_PS7_21rocsparse_index_base_SG_SG_SG_bbb,"axG",@progbits,_ZN9rocsparseL26csrgemm_fill_block_per_rowILj1024ELj64ELj8192ELj137ELj64Eii21rocsparse_complex_numIdEEEvT5_PKS3_S5_NS_24const_host_device_scalarIT6_EEPKT4_S5_PKS7_SB_S5_SD_S8_SB_S5_SD_SB_PS3_PS7_21rocsparse_index_base_SG_SG_SG_bbb,comdat
.Lfunc_end80:
	.size	_ZN9rocsparseL26csrgemm_fill_block_per_rowILj1024ELj64ELj8192ELj137ELj64Eii21rocsparse_complex_numIdEEEvT5_PKS3_S5_NS_24const_host_device_scalarIT6_EEPKT4_S5_PKS7_SB_S5_SD_S8_SB_S5_SD_SB_PS3_PS7_21rocsparse_index_base_SG_SG_SG_bbb, .Lfunc_end80-_ZN9rocsparseL26csrgemm_fill_block_per_rowILj1024ELj64ELj8192ELj137ELj64Eii21rocsparse_complex_numIdEEEvT5_PKS3_S5_NS_24const_host_device_scalarIT6_EEPKT4_S5_PKS7_SB_S5_SD_S8_SB_S5_SD_SB_PS3_PS7_21rocsparse_index_base_SG_SG_SG_bbb
                                        ; -- End function
	.section	.AMDGPU.csdata,"",@progbits
; Kernel info:
; codeLenInByte = 4064
; NumSgprs: 73
; NumVgprs: 32
; NumAgprs: 0
; TotalNumVgprs: 32
; ScratchSize: 40
; MemoryBound: 0
; FloatMode: 240
; IeeeMode: 1
; LDSByteSize: 0 bytes/workgroup (compile time only)
; SGPRBlocks: 9
; VGPRBlocks: 3
; NumSGPRsForWavesPerEU: 73
; NumVGPRsForWavesPerEU: 32
; AccumOffset: 32
; Occupancy: 8
; WaveLimiterHint : 1
; COMPUTE_PGM_RSRC2:SCRATCH_EN: 1
; COMPUTE_PGM_RSRC2:USER_SGPR: 8
; COMPUTE_PGM_RSRC2:TRAP_HANDLER: 0
; COMPUTE_PGM_RSRC2:TGID_X_EN: 1
; COMPUTE_PGM_RSRC2:TGID_Y_EN: 0
; COMPUTE_PGM_RSRC2:TGID_Z_EN: 0
; COMPUTE_PGM_RSRC2:TIDIG_COMP_CNT: 0
; COMPUTE_PGM_RSRC3_GFX90A:ACCUM_OFFSET: 7
; COMPUTE_PGM_RSRC3_GFX90A:TG_SPLIT: 0
	.section	.text._ZN9rocsparseL26csrgemm_fill_block_per_rowILj1024ELj64ELj16384ELj137ELj32Eii21rocsparse_complex_numIdEEEvT5_PKS3_S5_NS_24const_host_device_scalarIT6_EEPKT4_S5_PKS7_SB_S5_SD_S8_SB_S5_SD_SB_PS3_PS7_21rocsparse_index_base_SG_SG_SG_bbb,"axG",@progbits,_ZN9rocsparseL26csrgemm_fill_block_per_rowILj1024ELj64ELj16384ELj137ELj32Eii21rocsparse_complex_numIdEEEvT5_PKS3_S5_NS_24const_host_device_scalarIT6_EEPKT4_S5_PKS7_SB_S5_SD_S8_SB_S5_SD_SB_PS3_PS7_21rocsparse_index_base_SG_SG_SG_bbb,comdat
	.globl	_ZN9rocsparseL26csrgemm_fill_block_per_rowILj1024ELj64ELj16384ELj137ELj32Eii21rocsparse_complex_numIdEEEvT5_PKS3_S5_NS_24const_host_device_scalarIT6_EEPKT4_S5_PKS7_SB_S5_SD_S8_SB_S5_SD_SB_PS3_PS7_21rocsparse_index_base_SG_SG_SG_bbb ; -- Begin function _ZN9rocsparseL26csrgemm_fill_block_per_rowILj1024ELj64ELj16384ELj137ELj32Eii21rocsparse_complex_numIdEEEvT5_PKS3_S5_NS_24const_host_device_scalarIT6_EEPKT4_S5_PKS7_SB_S5_SD_S8_SB_S5_SD_SB_PS3_PS7_21rocsparse_index_base_SG_SG_SG_bbb
	.p2align	8
	.type	_ZN9rocsparseL26csrgemm_fill_block_per_rowILj1024ELj64ELj16384ELj137ELj32Eii21rocsparse_complex_numIdEEEvT5_PKS3_S5_NS_24const_host_device_scalarIT6_EEPKT4_S5_PKS7_SB_S5_SD_S8_SB_S5_SD_SB_PS3_PS7_21rocsparse_index_base_SG_SG_SG_bbb,@function
_ZN9rocsparseL26csrgemm_fill_block_per_rowILj1024ELj64ELj16384ELj137ELj32Eii21rocsparse_complex_numIdEEEvT5_PKS3_S5_NS_24const_host_device_scalarIT6_EEPKT4_S5_PKS7_SB_S5_SD_S8_SB_S5_SD_SB_PS3_PS7_21rocsparse_index_base_SG_SG_SG_bbb: ; @_ZN9rocsparseL26csrgemm_fill_block_per_rowILj1024ELj64ELj16384ELj137ELj32Eii21rocsparse_complex_numIdEEEvT5_PKS3_S5_NS_24const_host_device_scalarIT6_EEPKT4_S5_PKS7_SB_S5_SD_S8_SB_S5_SD_SB_PS3_PS7_21rocsparse_index_base_SG_SG_SG_bbb
; %bb.0:
	s_add_u32 flat_scratch_lo, s6, s9
	s_addc_u32 flat_scratch_hi, s7, 0
	s_load_dwordx4 s[12:15], s[4:5], 0x18
	s_load_dwordx4 s[28:31], s[4:5], 0x58
	s_add_u32 s0, s0, s9
	s_load_dword s9, s[4:5], 0xa8
	s_load_dwordx4 s[72:75], s[4:5], 0x98
	s_addc_u32 s1, s1, 0
	s_waitcnt lgkmcnt(0)
	v_mov_b32_e32 v1, s13
	buffer_store_dword v1, off, s[0:3], 0 offset:20
	s_bitcmp1_b32 s9, 0
	s_cselect_b64 s[36:37], -1, 0
	s_bitcmp1_b32 s9, 16
	v_mov_b32_e32 v1, s12
	s_cselect_b64 s[6:7], -1, 0
	buffer_store_dword v1, off, s[0:3], 0 offset:16
	v_mov_b32_e32 v1, s29
	buffer_store_dword v1, off, s[0:3], 0 offset:28
	v_mov_b32_e32 v1, s28
	s_xor_b64 s[10:11], s[6:7], -1
	buffer_store_dword v1, off, s[0:3], 0 offset:24
	v_pk_mov_b32 v[2:3], 0, 0
	v_cndmask_b32_e64 v1, 0, 1, s[10:11]
	s_bitcmp0_b32 s9, 0
	v_cmp_ne_u32_e64 s[10:11], 1, v1
	v_pk_mov_b32 v[6:7], v[2:3], v[2:3] op_sel:[0,1]
	v_pk_mov_b32 v[8:9], v[2:3], v[2:3] op_sel:[0,1]
	s_cbranch_scc1 .LBB81_3
; %bb.1:
	s_mov_b64 s[16:17], src_private_base
	s_and_b64 s[18:19], s[6:7], exec
	s_cselect_b32 s16, s17, s13
	v_mov_b32_e32 v1, 16
	v_mov_b32_e32 v4, s12
	v_cndmask_b32_e64 v4, v4, v1, s[6:7]
	v_mov_b32_e32 v5, s16
	flat_load_dwordx2 v[6:7], v[4:5]
	s_and_b64 vcc, exec, s[10:11]
	v_pk_mov_b32 v[8:9], s[14:15], s[14:15] op_sel:[0,1]
	s_cbranch_vccnz .LBB81_3
; %bb.2:
	v_pk_mov_b32 v[4:5], s[12:13], s[12:13] op_sel:[0,1]
	flat_load_dwordx2 v[8:9], v[4:5] offset:8
.LBB81_3:
	s_load_dwordx4 s[12:15], s[4:5], 0x88
                                        ; implicit-def: $vgpr32 : SGPR spill to VGPR lane
	s_bitcmp1_b32 s9, 8
	s_cselect_b64 s[34:35], -1, 0
	s_bfe_u32 s9, s9, 0x10008
	s_mov_b64 s[38:39], 0
	s_waitcnt lgkmcnt(0)
	v_writelane_b32 v32, s12, 0
	v_writelane_b32 v32, s13, 1
	;; [unrolled: 1-line block ×4, first 2 shown]
	s_load_dwordx8 s[12:19], s[4:5], 0x68
	s_cmp_eq_u32 s9, 0
	v_pk_mov_b32 v[4:5], v[2:3], v[2:3] op_sel:[0,1]
	s_waitcnt lgkmcnt(0)
	v_writelane_b32 v32, s12, 4
	v_writelane_b32 v32, s13, 5
	;; [unrolled: 1-line block ×8, first 2 shown]
	s_load_dwordx4 s[20:23], s[4:5], 0x48
	s_load_dwordx4 s[24:27], s[4:5], 0x8
	s_load_dwordx8 s[12:19], s[4:5], 0x28
	s_cbranch_scc1 .LBB81_6
; %bb.4:
	s_mov_b64 s[40:41], src_private_base
	s_and_b64 s[42:43], s[6:7], exec
	s_cselect_b32 s9, s41, s29
	v_mov_b32_e32 v1, 24
	v_mov_b32_e32 v2, s28
	v_cndmask_b32_e64 v2, v2, v1, s[6:7]
	v_mov_b32_e32 v3, s9
	flat_load_dwordx2 v[4:5], v[2:3]
	s_and_b64 vcc, exec, s[10:11]
	v_pk_mov_b32 v[2:3], s[30:31], s[30:31] op_sel:[0,1]
	s_cbranch_vccnz .LBB81_6
; %bb.5:
	v_pk_mov_b32 v[2:3], s[28:29], s[28:29] op_sel:[0,1]
	flat_load_dwordx2 v[2:3], v[2:3] offset:8
.LBB81_6:
	s_load_dword s33, s[4:5], 0x0
	v_lshlrev_b32_e32 v10, 4, v0
	s_mov_b32 s4, 0
	v_or_b32_e32 v1, 0xfffffc00, v0
	v_add_u32_e32 v23, 0, v10
	v_lshl_add_u32 v22, v0, 2, 0
	s_mov_b32 s5, s4
	s_mov_b32 s6, s4
	;; [unrolled: 1-line block ×3, first 2 shown]
	v_add_u32_e32 v14, 0x10008, v23
	s_waitcnt lgkmcnt(0)
	v_mov_b32_e32 v15, s33
	v_pk_mov_b32 v[10:11], s[4:5], s[4:5] op_sel:[0,1]
	v_pk_mov_b32 v[12:13], s[6:7], s[6:7] op_sel:[0,1]
	s_movk_i32 s4, 0x3bff
	v_mov_b32_e32 v16, v22
	v_mov_b32_e32 v17, v1
.LBB81_7:                               ; =>This Inner Loop Header: Depth=1
	v_add_u32_e32 v17, 0x400, v17
	v_cmp_lt_u32_e32 vcc, s4, v17
	ds_write_b32 v16, v15
	v_add_u32_e32 v18, -8, v14
	v_add_u32_e32 v14, 0x4000, v14
	v_add_u32_e32 v16, 0x1000, v16
	s_or_b64 s[38:39], vcc, s[38:39]
	ds_write2_b64 v18, v[10:11], v[12:13] offset1:1
	s_andn2_b64 exec, exec, s[38:39]
	s_cbranch_execnz .LBB81_7
; %bb.8:
	s_or_b64 exec, exec, s[38:39]
	s_waitcnt lgkmcnt(0)
	s_barrier
	s_load_dword s4, s[24:25], 0x0
	s_mov_b32 s5, 0
	s_waitcnt lgkmcnt(0)
	s_add_i32 s4, s4, s8
	s_lshl_b64 s[4:5], s[4:5], 2
	s_add_u32 s4, s26, s4
	s_addc_u32 s5, s27, s5
	s_load_dword s4, s[4:5], 0x0
	s_and_b64 vcc, exec, s[36:37]
	s_waitcnt lgkmcnt(0)
	v_writelane_b32 v32, s4, 12
	v_writelane_b32 v32, s5, 13
	s_cbranch_vccz .LBB81_28
; %bb.9:
	v_readlane_b32 s4, v32, 12
	v_readlane_b32 s5, v32, 13
	s_mov_b32 s6, s4
	s_ashr_i32 s7, s4, 31
	v_writelane_b32 v32, s4, 12
	v_writelane_b32 v32, s5, 13
	s_lshl_b64 s[4:5], s[6:7], 2
	s_add_u32 s4, s12, s4
	s_addc_u32 s5, s13, s5
	s_load_dwordx2 s[4:5], s[4:5], 0x0
	v_lshrrev_b32_e32 v10, 6, v0
	v_subrev_u32_e32 v10, s72, v10
	s_waitcnt lgkmcnt(0)
	s_sub_i32 s38, s5, s72
	v_add_u32_e32 v10, s4, v10
	v_cmp_gt_i32_e32 vcc, s38, v10
	s_and_saveexec_b64 s[4:5], vcc
	s_cbranch_execz .LBB81_27
; %bb.10:
	v_and_b32_e32 v11, 63, v0
	v_subrev_u32_e32 v24, s73, v11
	s_mov_b64 s[6:7], 0
	v_mov_b32_e32 v25, s15
	v_mov_b32_e32 v26, s19
	s_movk_i32 s15, 0x89
	s_branch .LBB81_12
.LBB81_11:                              ;   in Loop: Header=BB81_12 Depth=1
	s_or_b64 exec, exec, s[8:9]
	v_add_u32_e32 v10, 16, v10
	v_cmp_le_i32_e32 vcc, s38, v10
	s_or_b64 s[6:7], vcc, s[6:7]
	s_andn2_b64 exec, exec, s[6:7]
	s_cbranch_execz .LBB81_27
.LBB81_12:                              ; =>This Loop Header: Depth=1
                                        ;     Child Loop BB81_15 Depth 2
                                        ;       Child Loop BB81_17 Depth 3
	v_ashrrev_i32_e32 v11, 31, v10
	v_lshlrev_b64 v[12:13], 2, v[10:11]
	v_add_co_u32_e32 v12, vcc, s14, v12
	v_addc_co_u32_e32 v13, vcc, v25, v13, vcc
	global_load_dword v12, v[12:13], off
	s_waitcnt vmcnt(0)
	v_subrev_u32_e32 v12, s72, v12
	v_ashrrev_i32_e32 v13, 31, v12
	v_lshlrev_b64 v[12:13], 2, v[12:13]
	v_add_co_u32_e32 v12, vcc, s18, v12
	v_addc_co_u32_e32 v13, vcc, v26, v13, vcc
	global_load_dwordx2 v[12:13], v[12:13], off
	s_waitcnt vmcnt(0)
	v_subrev_u32_e32 v27, s73, v13
	v_add_u32_e32 v12, v12, v24
	v_cmp_lt_i32_e32 vcc, v12, v27
	s_and_saveexec_b64 s[8:9], vcc
	s_cbranch_execz .LBB81_11
; %bb.13:                               ;   in Loop: Header=BB81_12 Depth=1
	v_lshlrev_b64 v[14:15], 4, v[10:11]
	v_mov_b32_e32 v11, s17
	v_add_co_u32_e32 v14, vcc, s16, v14
	v_addc_co_u32_e32 v15, vcc, v11, v15, vcc
	global_load_dwordx4 v[18:21], v[14:15], off
	s_mov_b64 s[10:11], 0
	s_waitcnt vmcnt(0)
	v_mul_f64 v[14:15], v[20:21], -v[8:9]
	v_mul_f64 v[16:17], v[6:7], v[20:21]
	v_fmac_f64_e32 v[14:15], v[6:7], v[18:19]
	v_fmac_f64_e32 v[16:17], v[8:9], v[18:19]
	s_branch .LBB81_15
.LBB81_14:                              ;   in Loop: Header=BB81_15 Depth=2
	s_or_b64 exec, exec, s[12:13]
	v_add_u32_e32 v12, 64, v12
	v_cmp_ge_i32_e32 vcc, v12, v27
	s_or_b64 s[10:11], vcc, s[10:11]
	s_andn2_b64 exec, exec, s[10:11]
	s_cbranch_execz .LBB81_11
.LBB81_15:                              ;   Parent Loop BB81_12 Depth=1
                                        ; =>  This Loop Header: Depth=2
                                        ;       Child Loop BB81_17 Depth 3
	v_ashrrev_i32_e32 v13, 31, v12
	v_lshlrev_b64 v[18:19], 2, v[12:13]
	v_mov_b32_e32 v11, s21
	v_add_co_u32_e32 v18, vcc, s20, v18
	v_addc_co_u32_e32 v19, vcc, v11, v19, vcc
	global_load_dword v11, v[18:19], off
	v_lshlrev_b64 v[18:19], 4, v[12:13]
	v_mov_b32_e32 v13, s23
	v_add_co_u32_e32 v18, vcc, s22, v18
	v_addc_co_u32_e32 v19, vcc, v13, v19, vcc
	global_load_dwordx4 v[28:31], v[18:19], off
	s_mov_b64 s[12:13], 0
	s_waitcnt vmcnt(1)
	v_subrev_u32_e32 v11, s73, v11
	v_mul_lo_u32 v13, v11, s15
	v_and_b32_e32 v13, 0x3fff, v13
	s_waitcnt vmcnt(0)
	v_mul_f64 v[18:19], v[30:31], -v[16:17]
	v_mul_f64 v[20:21], v[14:15], v[30:31]
	v_fmac_f64_e32 v[18:19], v[14:15], v[28:29]
	v_fmac_f64_e32 v[20:21], v[16:17], v[28:29]
	s_branch .LBB81_17
.LBB81_16:                              ;   in Loop: Header=BB81_17 Depth=3
	s_or_b64 exec, exec, s[24:25]
	s_xor_b64 s[24:25], s[26:27], -1
	s_and_b64 s[24:25], exec, s[24:25]
	s_or_b64 s[12:13], s[24:25], s[12:13]
	s_andn2_b64 exec, exec, s[12:13]
	s_cbranch_execz .LBB81_14
.LBB81_17:                              ;   Parent Loop BB81_12 Depth=1
                                        ;     Parent Loop BB81_15 Depth=2
                                        ; =>    This Inner Loop Header: Depth=3
	v_lshl_add_u32 v28, v13, 2, 0
	ds_read_b32 v29, v28
                                        ; implicit-def: $sgpr26_sgpr27
	s_waitcnt lgkmcnt(0)
	v_cmp_ne_u32_e32 vcc, v29, v11
	s_and_saveexec_b64 s[24:25], vcc
	s_xor_b64 s[24:25], exec, s[24:25]
	s_cbranch_execz .LBB81_25
; %bb.18:                               ;   in Loop: Header=BB81_17 Depth=3
	v_cmp_ne_u32_e32 vcc, s33, v29
                                        ; implicit-def: $sgpr26_sgpr27
	s_and_saveexec_b64 s[28:29], vcc
	s_xor_b64 s[28:29], exec, s[28:29]
; %bb.19:                               ;   in Loop: Header=BB81_17 Depth=3
	v_add_u32_e32 v13, 1, v13
	v_and_b32_e32 v13, 0x3fff, v13
	s_mov_b64 s[26:27], -1
                                        ; implicit-def: $vgpr28
; %bb.20:                               ;   in Loop: Header=BB81_17 Depth=3
	s_andn2_saveexec_b64 s[28:29], s[28:29]
	s_cbranch_execz .LBB81_24
; %bb.21:                               ;   in Loop: Header=BB81_17 Depth=3
	v_mov_b32_e32 v29, s33
	ds_cmpst_rtn_b32 v28, v28, v29, v11
	s_mov_b64 s[36:37], -1
	s_waitcnt lgkmcnt(0)
	v_cmp_eq_u32_e32 vcc, s33, v28
	s_and_saveexec_b64 s[30:31], vcc
	s_cbranch_execz .LBB81_23
; %bb.22:                               ;   in Loop: Header=BB81_17 Depth=3
	v_lshl_add_u32 v28, v13, 4, 0
	v_add_u32_e32 v28, 0x10000, v28
	ds_add_f64 v28, v[18:19]
	ds_add_f64 v28, v[20:21] offset:8
	s_xor_b64 s[36:37], exec, -1
.LBB81_23:                              ;   in Loop: Header=BB81_17 Depth=3
	s_or_b64 exec, exec, s[30:31]
	s_andn2_b64 s[26:27], s[26:27], exec
	s_and_b64 s[30:31], s[36:37], exec
	s_or_b64 s[26:27], s[26:27], s[30:31]
.LBB81_24:                              ;   in Loop: Header=BB81_17 Depth=3
	s_or_b64 exec, exec, s[28:29]
	s_and_b64 s[26:27], s[26:27], exec
.LBB81_25:                              ;   in Loop: Header=BB81_17 Depth=3
	s_andn2_saveexec_b64 s[24:25], s[24:25]
	s_cbranch_execz .LBB81_16
; %bb.26:                               ;   in Loop: Header=BB81_17 Depth=3
	v_lshl_add_u32 v28, v13, 4, 0
	v_add_u32_e32 v28, 0x10000, v28
	ds_add_f64 v28, v[18:19]
	ds_add_f64 v28, v[20:21] offset:8
	s_andn2_b64 s[26:27], s[26:27], exec
	s_branch .LBB81_16
.LBB81_27:
	s_or_b64 exec, exec, s[4:5]
.LBB81_28:
	s_andn2_b64 vcc, exec, s[34:35]
	s_cbranch_vccnz .LBB81_45
; %bb.29:
	v_readlane_b32 s4, v32, 12
	v_readlane_b32 s5, v32, 13
	s_mov_b32 s6, s4
	s_ashr_i32 s7, s4, 31
	v_writelane_b32 v32, s4, 12
	v_writelane_b32 v32, s5, 13
	s_lshl_b64 s[4:5], s[6:7], 2
	v_readlane_b32 s8, v32, 4
	v_readlane_b32 s9, v32, 5
	s_add_u32 s4, s8, s4
	s_addc_u32 s5, s9, s5
	s_load_dwordx2 s[4:5], s[4:5], 0x0
	s_waitcnt vmcnt(0)
	v_subrev_u32_e32 v6, s75, v0
	v_readlane_b32 s10, v32, 6
	v_readlane_b32 s11, v32, 7
	;; [unrolled: 1-line block ×3, first 2 shown]
	s_waitcnt lgkmcnt(0)
	s_sub_i32 s20, s5, s75
	v_add_u32_e32 v6, s4, v6
	v_cmp_gt_i32_e32 vcc, s20, v6
	v_readlane_b32 s13, v32, 9
	v_readlane_b32 s14, v32, 10
	;; [unrolled: 1-line block ×3, first 2 shown]
	s_and_saveexec_b64 s[4:5], vcc
	s_cbranch_execz .LBB81_44
; %bb.30:
	v_readlane_b32 s8, v32, 4
	v_readlane_b32 s11, v32, 7
	v_readlane_b32 s13, v32, 9
	s_mov_b64 s[6:7], 0
	v_mov_b32_e32 v12, s11
	v_mov_b32_e32 v13, s13
	s_movk_i32 s21, 0x89
	v_readlane_b32 s9, v32, 5
	v_readlane_b32 s10, v32, 6
	;; [unrolled: 1-line block ×5, first 2 shown]
	s_branch .LBB81_32
.LBB81_31:                              ;   in Loop: Header=BB81_32 Depth=1
	s_or_b64 exec, exec, s[8:9]
	v_add_u32_e32 v6, 0x400, v6
	v_cmp_le_i32_e32 vcc, s20, v6
	s_or_b64 s[6:7], vcc, s[6:7]
	s_andn2_b64 exec, exec, s[6:7]
	s_cbranch_execz .LBB81_44
.LBB81_32:                              ; =>This Loop Header: Depth=1
                                        ;     Child Loop BB81_34 Depth 2
	v_ashrrev_i32_e32 v7, 31, v6
	v_readlane_b32 s8, v32, 4
	v_lshlrev_b64 v[8:9], 2, v[6:7]
	v_readlane_b32 s10, v32, 6
	v_add_co_u32_e32 v8, vcc, s10, v8
	v_addc_co_u32_e32 v9, vcc, v12, v9, vcc
	v_readlane_b32 s12, v32, 8
	global_load_dword v10, v[8:9], off
	v_lshlrev_b64 v[8:9], 4, v[6:7]
	v_add_co_u32_e32 v8, vcc, s12, v8
	v_addc_co_u32_e32 v9, vcc, v13, v9, vcc
	global_load_dwordx4 v[14:17], v[8:9], off
	v_readlane_b32 s9, v32, 5
	s_mov_b64 s[8:9], 0
	v_readlane_b32 s11, v32, 7
	v_readlane_b32 s13, v32, 9
	;; [unrolled: 1-line block ×4, first 2 shown]
	s_waitcnt vmcnt(1)
	v_subrev_u32_e32 v7, s75, v10
	s_waitcnt vmcnt(0)
	v_mul_f64 v[8:9], v[16:17], -v[2:3]
	v_mul_f64 v[10:11], v[4:5], v[16:17]
	v_fmac_f64_e32 v[8:9], v[4:5], v[14:15]
	v_fmac_f64_e32 v[10:11], v[2:3], v[14:15]
	v_mul_lo_u32 v14, v7, s21
	v_and_b32_e32 v14, 0x3fff, v14
	s_branch .LBB81_34
.LBB81_33:                              ;   in Loop: Header=BB81_34 Depth=2
	s_or_b64 exec, exec, s[10:11]
	s_xor_b64 s[10:11], s[12:13], -1
	s_and_b64 s[10:11], exec, s[10:11]
	s_or_b64 s[8:9], s[10:11], s[8:9]
	s_andn2_b64 exec, exec, s[8:9]
	s_cbranch_execz .LBB81_31
.LBB81_34:                              ;   Parent Loop BB81_32 Depth=1
                                        ; =>  This Inner Loop Header: Depth=2
	v_lshl_add_u32 v15, v14, 2, 0
	ds_read_b32 v16, v15
                                        ; implicit-def: $sgpr12_sgpr13
	s_waitcnt lgkmcnt(0)
	v_cmp_ne_u32_e32 vcc, v16, v7
	s_and_saveexec_b64 s[10:11], vcc
	s_xor_b64 s[10:11], exec, s[10:11]
	s_cbranch_execz .LBB81_42
; %bb.35:                               ;   in Loop: Header=BB81_34 Depth=2
	v_cmp_ne_u32_e32 vcc, s33, v16
                                        ; implicit-def: $sgpr12_sgpr13
	s_and_saveexec_b64 s[14:15], vcc
	s_xor_b64 s[14:15], exec, s[14:15]
; %bb.36:                               ;   in Loop: Header=BB81_34 Depth=2
	v_add_u32_e32 v14, 1, v14
	v_and_b32_e32 v14, 0x3fff, v14
	s_mov_b64 s[12:13], -1
                                        ; implicit-def: $vgpr15
; %bb.37:                               ;   in Loop: Header=BB81_34 Depth=2
	s_andn2_saveexec_b64 s[14:15], s[14:15]
	s_cbranch_execz .LBB81_41
; %bb.38:                               ;   in Loop: Header=BB81_34 Depth=2
	v_mov_b32_e32 v16, s33
	ds_cmpst_rtn_b32 v15, v15, v16, v7
	s_mov_b64 s[18:19], -1
	s_waitcnt lgkmcnt(0)
	v_cmp_eq_u32_e32 vcc, s33, v15
	s_and_saveexec_b64 s[16:17], vcc
	s_cbranch_execz .LBB81_40
; %bb.39:                               ;   in Loop: Header=BB81_34 Depth=2
	v_lshl_add_u32 v15, v14, 4, 0
	v_add_u32_e32 v15, 0x10000, v15
	ds_add_f64 v15, v[8:9]
	ds_add_f64 v15, v[10:11] offset:8
	s_xor_b64 s[18:19], exec, -1
.LBB81_40:                              ;   in Loop: Header=BB81_34 Depth=2
	s_or_b64 exec, exec, s[16:17]
	s_andn2_b64 s[12:13], s[12:13], exec
	s_and_b64 s[16:17], s[18:19], exec
	s_or_b64 s[12:13], s[12:13], s[16:17]
.LBB81_41:                              ;   in Loop: Header=BB81_34 Depth=2
	s_or_b64 exec, exec, s[14:15]
	s_and_b64 s[12:13], s[12:13], exec
.LBB81_42:                              ;   in Loop: Header=BB81_34 Depth=2
	s_andn2_saveexec_b64 s[10:11], s[10:11]
	s_cbranch_execz .LBB81_33
; %bb.43:                               ;   in Loop: Header=BB81_34 Depth=2
	v_lshl_add_u32 v15, v14, 4, 0
	v_add_u32_e32 v15, 0x10000, v15
	ds_add_f64 v15, v[8:9]
	ds_add_f64 v15, v[10:11] offset:8
	s_andn2_b64 s[12:13], s[12:13], exec
	s_branch .LBB81_33
.LBB81_44:
	s_or_b64 exec, exec, s[4:5]
.LBB81_45:
	s_add_i32 s4, 0, 0x50000
	v_writelane_b32 v32, s4, 14
	s_add_i32 s64, 0, 0x50004
	v_writelane_b32 v32, s64, 15
	;; [unrolled: 2-line block ×5, first 2 shown]
	s_add_i32 s64, 0, 0x50014
	s_waitcnt vmcnt(0)
	v_lshrrev_b32_e32 v5, 3, v0
	v_writelane_b32 v32, s64, 19
	s_add_i32 s64, 0, 0x50018
	v_mbcnt_lo_u32_b32 v2, -1, 0
	v_and_b32_e32 v5, 0x7c, v5
	v_writelane_b32 v32, s64, 20
	s_add_i32 s64, 0, 0x5001c
	v_mbcnt_hi_u32_b32 v2, -1, v2
	v_add_u32_e32 v5, s4, v5
	s_movk_i32 s4, 0x3ff
	v_writelane_b32 v32, s64, 21
	s_add_i32 s64, 0, 0x50020
	v_sub_u32_e32 v2, 63, v2
	v_cmp_eq_u32_e32 vcc, s4, v0
	s_movk_i32 s4, 0x5f
	s_movk_i32 s6, 0x7f
	;; [unrolled: 1-line block ×29, first 2 shown]
	v_writelane_b32 v32, s64, 22
	s_add_i32 s64, 0, 0x50024
	v_mov_b32_e32 v4, 0
	v_lshrrev_b64 v[2:3], v2, -1
	v_cmp_lt_u32_e64 s[4:5], s4, v0
	v_cmp_lt_u32_e64 s[6:7], s6, v0
	;; [unrolled: 1-line block ×29, first 2 shown]
	v_add_u32_e32 v6, 0x10000, v23
	v_writelane_b32 v32, s64, 23
	s_add_i32 s92, 0, 0x50028
	s_add_i32 s93, 0, 0x5002c
	s_add_i32 s94, 0, 0x50030
	s_add_i32 s95, 0, 0x50034
	s_add_i32 s96, 0, 0x50038
	s_add_i32 s97, 0, 0x5003c
	s_add_i32 s98, 0, 0x50040
	s_add_i32 s99, 0, 0x50044
	s_add_i32 s80, 0, 0x50048
	s_add_i32 s70, 0, 0x5004c
	s_add_i32 s71, 0, 0x50050
	s_add_i32 s76, 0, 0x50054
	s_add_i32 s77, 0, 0x50058
	s_add_i32 s78, 0, 0x5005c
	s_add_i32 s79, 0, 0x50060
	s_add_i32 s75, 0, 0x50064
	s_add_i32 s81, 0, 0x50068
	s_add_i32 s84, 0, 0x5006c
	s_add_i32 s85, 0, 0x50070
	s_add_i32 s86, 0, 0x50074
	s_add_i32 s87, 0, 0x50078
	s_add_i32 s88, 0, 0x5007c
	s_movk_i32 s89, 0x3bff
	v_cmp_lt_u32_e64 s[64:65], 31, v0
	v_cmp_lt_u32_e64 s[66:67], 63, v0
	s_mov_b64 s[72:73], 0
	s_waitcnt lgkmcnt(0)
	s_barrier
	s_branch .LBB81_47
.LBB81_46:                              ;   in Loop: Header=BB81_47 Depth=1
	s_or_b64 exec, exec, s[68:69]
	v_mov_b32_e32 v7, s88
	s_waitcnt lgkmcnt(0)
	s_barrier
	ds_read_b32 v7, v7
	v_add_u32_e32 v1, 0x400, v1
	v_cmp_lt_u32_e64 s[68:69], s89, v1
	v_add_u32_e32 v6, 0x4000, v6
	s_or_b64 s[72:73], s[68:69], s[72:73]
	s_waitcnt lgkmcnt(0)
	v_add_u32_e32 v4, v7, v4
	v_add_u32_e32 v22, 0x1000, v22
	s_andn2_b64 exec, exec, s[72:73]
	s_cbranch_execz .LBB81_113
.LBB81_47:                              ; =>This Inner Loop Header: Depth=1
	ds_read2_b64 v[10:13], v6 offset1:1
	ds_read_b32 v8, v22
	s_waitcnt lgkmcnt(1)
	buffer_store_dword v13, off, s[0:3], 0 offset:12
	buffer_store_dword v12, off, s[0:3], 0 offset:8
	;; [unrolled: 1-line block ×3, first 2 shown]
	buffer_store_dword v10, off, s[0:3], 0
	s_waitcnt lgkmcnt(0)
	v_cmp_gt_i32_e64 s[68:69], s33, v8
	v_and_b32_e32 v9, s68, v2
	s_bcnt1_i32_b64 s82, s[68:69]
	v_and_b32_e32 v7, s69, v3
	v_bcnt_u32_b32 v9, v9, 0
	v_bcnt_u32_b32 v7, v7, v9
	v_mov_b32_e32 v9, s82
	s_barrier
	ds_write_b32 v5, v9
	s_waitcnt lgkmcnt(0)
	s_barrier
	s_and_saveexec_b64 s[82:83], s[64:65]
	s_cbranch_execnz .LBB81_80
; %bb.48:                               ;   in Loop: Header=BB81_47 Depth=1
	s_or_b64 exec, exec, s[82:83]
	s_and_saveexec_b64 s[82:83], s[66:67]
	s_cbranch_execnz .LBB81_81
.LBB81_49:                              ;   in Loop: Header=BB81_47 Depth=1
	s_or_b64 exec, exec, s[82:83]
	s_and_saveexec_b64 s[82:83], s[4:5]
	s_cbranch_execnz .LBB81_82
.LBB81_50:                              ;   in Loop: Header=BB81_47 Depth=1
	s_or_b64 exec, exec, s[82:83]
	s_and_saveexec_b64 s[82:83], s[6:7]
	s_cbranch_execnz .LBB81_83
.LBB81_51:                              ;   in Loop: Header=BB81_47 Depth=1
	s_or_b64 exec, exec, s[82:83]
	s_and_saveexec_b64 s[82:83], s[8:9]
	s_cbranch_execnz .LBB81_84
.LBB81_52:                              ;   in Loop: Header=BB81_47 Depth=1
	s_or_b64 exec, exec, s[82:83]
	s_and_saveexec_b64 s[82:83], s[10:11]
	s_cbranch_execnz .LBB81_85
.LBB81_53:                              ;   in Loop: Header=BB81_47 Depth=1
	s_or_b64 exec, exec, s[82:83]
	s_and_saveexec_b64 s[82:83], s[12:13]
	s_cbranch_execnz .LBB81_86
.LBB81_54:                              ;   in Loop: Header=BB81_47 Depth=1
	s_or_b64 exec, exec, s[82:83]
	s_and_saveexec_b64 s[82:83], s[14:15]
	s_cbranch_execnz .LBB81_87
.LBB81_55:                              ;   in Loop: Header=BB81_47 Depth=1
	s_or_b64 exec, exec, s[82:83]
	s_and_saveexec_b64 s[82:83], s[16:17]
	s_cbranch_execnz .LBB81_88
.LBB81_56:                              ;   in Loop: Header=BB81_47 Depth=1
	s_or_b64 exec, exec, s[82:83]
	s_and_saveexec_b64 s[82:83], s[18:19]
	s_cbranch_execnz .LBB81_89
.LBB81_57:                              ;   in Loop: Header=BB81_47 Depth=1
	s_or_b64 exec, exec, s[82:83]
	s_and_saveexec_b64 s[82:83], s[20:21]
	s_cbranch_execnz .LBB81_90
.LBB81_58:                              ;   in Loop: Header=BB81_47 Depth=1
	s_or_b64 exec, exec, s[82:83]
	s_and_saveexec_b64 s[82:83], s[22:23]
	s_cbranch_execnz .LBB81_91
.LBB81_59:                              ;   in Loop: Header=BB81_47 Depth=1
	s_or_b64 exec, exec, s[82:83]
	s_and_saveexec_b64 s[82:83], s[24:25]
	s_cbranch_execnz .LBB81_92
.LBB81_60:                              ;   in Loop: Header=BB81_47 Depth=1
	s_or_b64 exec, exec, s[82:83]
	s_and_saveexec_b64 s[82:83], s[26:27]
	s_cbranch_execnz .LBB81_93
.LBB81_61:                              ;   in Loop: Header=BB81_47 Depth=1
	s_or_b64 exec, exec, s[82:83]
	s_and_saveexec_b64 s[82:83], s[28:29]
	s_cbranch_execnz .LBB81_94
.LBB81_62:                              ;   in Loop: Header=BB81_47 Depth=1
	s_or_b64 exec, exec, s[82:83]
	s_and_saveexec_b64 s[82:83], s[30:31]
	s_cbranch_execnz .LBB81_95
.LBB81_63:                              ;   in Loop: Header=BB81_47 Depth=1
	s_or_b64 exec, exec, s[82:83]
	s_and_saveexec_b64 s[82:83], s[34:35]
	s_cbranch_execnz .LBB81_96
.LBB81_64:                              ;   in Loop: Header=BB81_47 Depth=1
	s_or_b64 exec, exec, s[82:83]
	s_and_saveexec_b64 s[82:83], s[36:37]
	s_cbranch_execnz .LBB81_97
.LBB81_65:                              ;   in Loop: Header=BB81_47 Depth=1
	s_or_b64 exec, exec, s[82:83]
	s_and_saveexec_b64 s[82:83], s[38:39]
	s_cbranch_execnz .LBB81_98
.LBB81_66:                              ;   in Loop: Header=BB81_47 Depth=1
	s_or_b64 exec, exec, s[82:83]
	s_and_saveexec_b64 s[82:83], s[40:41]
	s_cbranch_execnz .LBB81_99
.LBB81_67:                              ;   in Loop: Header=BB81_47 Depth=1
	s_or_b64 exec, exec, s[82:83]
	s_and_saveexec_b64 s[82:83], s[42:43]
	s_cbranch_execnz .LBB81_100
.LBB81_68:                              ;   in Loop: Header=BB81_47 Depth=1
	s_or_b64 exec, exec, s[82:83]
	s_and_saveexec_b64 s[82:83], s[44:45]
	s_cbranch_execnz .LBB81_101
.LBB81_69:                              ;   in Loop: Header=BB81_47 Depth=1
	s_or_b64 exec, exec, s[82:83]
	s_and_saveexec_b64 s[82:83], s[46:47]
	s_cbranch_execnz .LBB81_102
.LBB81_70:                              ;   in Loop: Header=BB81_47 Depth=1
	s_or_b64 exec, exec, s[82:83]
	s_and_saveexec_b64 s[82:83], s[48:49]
	s_cbranch_execnz .LBB81_103
.LBB81_71:                              ;   in Loop: Header=BB81_47 Depth=1
	s_or_b64 exec, exec, s[82:83]
	s_and_saveexec_b64 s[82:83], s[50:51]
	s_cbranch_execnz .LBB81_104
.LBB81_72:                              ;   in Loop: Header=BB81_47 Depth=1
	s_or_b64 exec, exec, s[82:83]
	s_and_saveexec_b64 s[82:83], s[52:53]
	s_cbranch_execnz .LBB81_105
.LBB81_73:                              ;   in Loop: Header=BB81_47 Depth=1
	s_or_b64 exec, exec, s[82:83]
	s_and_saveexec_b64 s[82:83], s[54:55]
	s_cbranch_execnz .LBB81_106
.LBB81_74:                              ;   in Loop: Header=BB81_47 Depth=1
	s_or_b64 exec, exec, s[82:83]
	s_and_saveexec_b64 s[82:83], s[56:57]
	s_cbranch_execnz .LBB81_107
.LBB81_75:                              ;   in Loop: Header=BB81_47 Depth=1
	s_or_b64 exec, exec, s[82:83]
	s_and_saveexec_b64 s[82:83], s[58:59]
	s_cbranch_execnz .LBB81_108
.LBB81_76:                              ;   in Loop: Header=BB81_47 Depth=1
	s_or_b64 exec, exec, s[82:83]
	s_and_saveexec_b64 s[82:83], s[60:61]
	s_cbranch_execnz .LBB81_109
.LBB81_77:                              ;   in Loop: Header=BB81_47 Depth=1
	s_or_b64 exec, exec, s[82:83]
	s_and_saveexec_b64 s[82:83], s[62:63]
	s_cbranch_execnz .LBB81_110
.LBB81_78:                              ;   in Loop: Header=BB81_47 Depth=1
	s_or_b64 exec, exec, s[82:83]
	s_and_saveexec_b64 s[82:83], s[68:69]
	s_cbranch_execnz .LBB81_111
.LBB81_79:                              ;   in Loop: Header=BB81_47 Depth=1
	s_or_b64 exec, exec, s[82:83]
	s_and_saveexec_b64 s[68:69], vcc
	s_cbranch_execz .LBB81_46
	s_branch .LBB81_112
.LBB81_80:                              ;   in Loop: Header=BB81_47 Depth=1
	v_readlane_b32 s90, v32, 14
	v_mov_b32_e32 v9, s90
	ds_read_b32 v9, v9
	s_waitcnt lgkmcnt(0)
	v_add_u32_e32 v7, v9, v7
	s_or_b64 exec, exec, s[82:83]
	s_and_saveexec_b64 s[82:83], s[66:67]
	s_cbranch_execz .LBB81_49
.LBB81_81:                              ;   in Loop: Header=BB81_47 Depth=1
	v_readlane_b32 s90, v32, 15
	v_mov_b32_e32 v9, s90
	ds_read_b32 v9, v9
	s_waitcnt lgkmcnt(0)
	v_add_u32_e32 v7, v9, v7
	s_or_b64 exec, exec, s[82:83]
	s_and_saveexec_b64 s[82:83], s[4:5]
	s_cbranch_execz .LBB81_50
.LBB81_82:                              ;   in Loop: Header=BB81_47 Depth=1
	v_readlane_b32 s90, v32, 16
	v_mov_b32_e32 v9, s90
	ds_read_b32 v9, v9
	s_waitcnt lgkmcnt(0)
	v_add_u32_e32 v7, v9, v7
	s_or_b64 exec, exec, s[82:83]
	s_and_saveexec_b64 s[82:83], s[6:7]
	s_cbranch_execz .LBB81_51
.LBB81_83:                              ;   in Loop: Header=BB81_47 Depth=1
	v_readlane_b32 s90, v32, 17
	v_mov_b32_e32 v9, s90
	ds_read_b32 v9, v9
	s_waitcnt lgkmcnt(0)
	v_add_u32_e32 v7, v9, v7
	s_or_b64 exec, exec, s[82:83]
	s_and_saveexec_b64 s[82:83], s[8:9]
	s_cbranch_execz .LBB81_52
.LBB81_84:                              ;   in Loop: Header=BB81_47 Depth=1
	v_readlane_b32 s90, v32, 18
	v_mov_b32_e32 v9, s90
	ds_read_b32 v9, v9
	s_waitcnt lgkmcnt(0)
	v_add_u32_e32 v7, v9, v7
	s_or_b64 exec, exec, s[82:83]
	s_and_saveexec_b64 s[82:83], s[10:11]
	s_cbranch_execz .LBB81_53
.LBB81_85:                              ;   in Loop: Header=BB81_47 Depth=1
	v_readlane_b32 s90, v32, 19
	v_mov_b32_e32 v9, s90
	ds_read_b32 v9, v9
	s_waitcnt lgkmcnt(0)
	v_add_u32_e32 v7, v9, v7
	s_or_b64 exec, exec, s[82:83]
	s_and_saveexec_b64 s[82:83], s[12:13]
	s_cbranch_execz .LBB81_54
.LBB81_86:                              ;   in Loop: Header=BB81_47 Depth=1
	v_readlane_b32 s90, v32, 20
	v_mov_b32_e32 v9, s90
	ds_read_b32 v9, v9
	s_waitcnt lgkmcnt(0)
	v_add_u32_e32 v7, v9, v7
	s_or_b64 exec, exec, s[82:83]
	s_and_saveexec_b64 s[82:83], s[14:15]
	s_cbranch_execz .LBB81_55
.LBB81_87:                              ;   in Loop: Header=BB81_47 Depth=1
	v_readlane_b32 s90, v32, 21
	v_mov_b32_e32 v9, s90
	ds_read_b32 v9, v9
	s_waitcnt lgkmcnt(0)
	v_add_u32_e32 v7, v9, v7
	s_or_b64 exec, exec, s[82:83]
	s_and_saveexec_b64 s[82:83], s[16:17]
	s_cbranch_execz .LBB81_56
.LBB81_88:                              ;   in Loop: Header=BB81_47 Depth=1
	v_readlane_b32 s90, v32, 22
	v_mov_b32_e32 v9, s90
	ds_read_b32 v9, v9
	s_waitcnt lgkmcnt(0)
	v_add_u32_e32 v7, v9, v7
	s_or_b64 exec, exec, s[82:83]
	s_and_saveexec_b64 s[82:83], s[18:19]
	s_cbranch_execz .LBB81_57
.LBB81_89:                              ;   in Loop: Header=BB81_47 Depth=1
	v_readlane_b32 s90, v32, 23
	v_mov_b32_e32 v9, s90
	ds_read_b32 v9, v9
	s_waitcnt lgkmcnt(0)
	v_add_u32_e32 v7, v9, v7
	s_or_b64 exec, exec, s[82:83]
	s_and_saveexec_b64 s[82:83], s[20:21]
	s_cbranch_execz .LBB81_58
.LBB81_90:                              ;   in Loop: Header=BB81_47 Depth=1
	v_mov_b32_e32 v9, s92
	ds_read_b32 v9, v9
	s_waitcnt lgkmcnt(0)
	v_add_u32_e32 v7, v9, v7
	s_or_b64 exec, exec, s[82:83]
	s_and_saveexec_b64 s[82:83], s[22:23]
	s_cbranch_execz .LBB81_59
.LBB81_91:                              ;   in Loop: Header=BB81_47 Depth=1
	v_mov_b32_e32 v9, s93
	ds_read_b32 v9, v9
	s_waitcnt lgkmcnt(0)
	v_add_u32_e32 v7, v9, v7
	s_or_b64 exec, exec, s[82:83]
	s_and_saveexec_b64 s[82:83], s[24:25]
	s_cbranch_execz .LBB81_60
.LBB81_92:                              ;   in Loop: Header=BB81_47 Depth=1
	v_mov_b32_e32 v9, s94
	ds_read_b32 v9, v9
	s_waitcnt lgkmcnt(0)
	v_add_u32_e32 v7, v9, v7
	s_or_b64 exec, exec, s[82:83]
	s_and_saveexec_b64 s[82:83], s[26:27]
	s_cbranch_execz .LBB81_61
.LBB81_93:                              ;   in Loop: Header=BB81_47 Depth=1
	v_mov_b32_e32 v9, s95
	ds_read_b32 v9, v9
	s_waitcnt lgkmcnt(0)
	v_add_u32_e32 v7, v9, v7
	s_or_b64 exec, exec, s[82:83]
	s_and_saveexec_b64 s[82:83], s[28:29]
	s_cbranch_execz .LBB81_62
.LBB81_94:                              ;   in Loop: Header=BB81_47 Depth=1
	v_mov_b32_e32 v9, s96
	ds_read_b32 v9, v9
	s_waitcnt lgkmcnt(0)
	v_add_u32_e32 v7, v9, v7
	s_or_b64 exec, exec, s[82:83]
	s_and_saveexec_b64 s[82:83], s[30:31]
	s_cbranch_execz .LBB81_63
.LBB81_95:                              ;   in Loop: Header=BB81_47 Depth=1
	v_mov_b32_e32 v9, s97
	ds_read_b32 v9, v9
	s_waitcnt lgkmcnt(0)
	v_add_u32_e32 v7, v9, v7
	s_or_b64 exec, exec, s[82:83]
	s_and_saveexec_b64 s[82:83], s[34:35]
	s_cbranch_execz .LBB81_64
.LBB81_96:                              ;   in Loop: Header=BB81_47 Depth=1
	v_mov_b32_e32 v9, s98
	ds_read_b32 v9, v9
	s_waitcnt lgkmcnt(0)
	v_add_u32_e32 v7, v9, v7
	s_or_b64 exec, exec, s[82:83]
	s_and_saveexec_b64 s[82:83], s[36:37]
	s_cbranch_execz .LBB81_65
.LBB81_97:                              ;   in Loop: Header=BB81_47 Depth=1
	v_mov_b32_e32 v9, s99
	ds_read_b32 v9, v9
	s_waitcnt lgkmcnt(0)
	v_add_u32_e32 v7, v9, v7
	s_or_b64 exec, exec, s[82:83]
	s_and_saveexec_b64 s[82:83], s[38:39]
	s_cbranch_execz .LBB81_66
.LBB81_98:                              ;   in Loop: Header=BB81_47 Depth=1
	v_mov_b32_e32 v9, s80
	ds_read_b32 v9, v9
	s_waitcnt lgkmcnt(0)
	v_add_u32_e32 v7, v9, v7
	s_or_b64 exec, exec, s[82:83]
	s_and_saveexec_b64 s[82:83], s[40:41]
	s_cbranch_execz .LBB81_67
.LBB81_99:                              ;   in Loop: Header=BB81_47 Depth=1
	v_mov_b32_e32 v9, s70
	ds_read_b32 v9, v9
	s_waitcnt lgkmcnt(0)
	v_add_u32_e32 v7, v9, v7
	s_or_b64 exec, exec, s[82:83]
	s_and_saveexec_b64 s[82:83], s[42:43]
	s_cbranch_execz .LBB81_68
.LBB81_100:                             ;   in Loop: Header=BB81_47 Depth=1
	v_mov_b32_e32 v9, s71
	ds_read_b32 v9, v9
	s_waitcnt lgkmcnt(0)
	v_add_u32_e32 v7, v9, v7
	s_or_b64 exec, exec, s[82:83]
	s_and_saveexec_b64 s[82:83], s[44:45]
	s_cbranch_execz .LBB81_69
.LBB81_101:                             ;   in Loop: Header=BB81_47 Depth=1
	v_mov_b32_e32 v9, s76
	ds_read_b32 v9, v9
	s_waitcnt lgkmcnt(0)
	v_add_u32_e32 v7, v9, v7
	s_or_b64 exec, exec, s[82:83]
	s_and_saveexec_b64 s[82:83], s[46:47]
	s_cbranch_execz .LBB81_70
.LBB81_102:                             ;   in Loop: Header=BB81_47 Depth=1
	v_mov_b32_e32 v9, s77
	ds_read_b32 v9, v9
	s_waitcnt lgkmcnt(0)
	v_add_u32_e32 v7, v9, v7
	s_or_b64 exec, exec, s[82:83]
	s_and_saveexec_b64 s[82:83], s[48:49]
	s_cbranch_execz .LBB81_71
.LBB81_103:                             ;   in Loop: Header=BB81_47 Depth=1
	v_mov_b32_e32 v9, s78
	ds_read_b32 v9, v9
	s_waitcnt lgkmcnt(0)
	v_add_u32_e32 v7, v9, v7
	s_or_b64 exec, exec, s[82:83]
	s_and_saveexec_b64 s[82:83], s[50:51]
	s_cbranch_execz .LBB81_72
.LBB81_104:                             ;   in Loop: Header=BB81_47 Depth=1
	v_mov_b32_e32 v9, s79
	ds_read_b32 v9, v9
	s_waitcnt lgkmcnt(0)
	v_add_u32_e32 v7, v9, v7
	s_or_b64 exec, exec, s[82:83]
	s_and_saveexec_b64 s[82:83], s[52:53]
	s_cbranch_execz .LBB81_73
.LBB81_105:                             ;   in Loop: Header=BB81_47 Depth=1
	v_mov_b32_e32 v9, s75
	ds_read_b32 v9, v9
	s_waitcnt lgkmcnt(0)
	v_add_u32_e32 v7, v9, v7
	s_or_b64 exec, exec, s[82:83]
	s_and_saveexec_b64 s[82:83], s[54:55]
	s_cbranch_execz .LBB81_74
.LBB81_106:                             ;   in Loop: Header=BB81_47 Depth=1
	v_mov_b32_e32 v9, s81
	ds_read_b32 v9, v9
	s_waitcnt lgkmcnt(0)
	v_add_u32_e32 v7, v9, v7
	s_or_b64 exec, exec, s[82:83]
	s_and_saveexec_b64 s[82:83], s[56:57]
	s_cbranch_execz .LBB81_75
.LBB81_107:                             ;   in Loop: Header=BB81_47 Depth=1
	v_mov_b32_e32 v9, s84
	ds_read_b32 v9, v9
	s_waitcnt lgkmcnt(0)
	v_add_u32_e32 v7, v9, v7
	s_or_b64 exec, exec, s[82:83]
	s_and_saveexec_b64 s[82:83], s[58:59]
	s_cbranch_execz .LBB81_76
.LBB81_108:                             ;   in Loop: Header=BB81_47 Depth=1
	v_mov_b32_e32 v9, s85
	ds_read_b32 v9, v9
	s_waitcnt lgkmcnt(0)
	v_add_u32_e32 v7, v9, v7
	s_or_b64 exec, exec, s[82:83]
	s_and_saveexec_b64 s[82:83], s[60:61]
	s_cbranch_execz .LBB81_77
.LBB81_109:                             ;   in Loop: Header=BB81_47 Depth=1
	v_mov_b32_e32 v9, s86
	ds_read_b32 v9, v9
	s_waitcnt lgkmcnt(0)
	v_add_u32_e32 v7, v9, v7
	s_or_b64 exec, exec, s[82:83]
	s_and_saveexec_b64 s[82:83], s[62:63]
	s_cbranch_execz .LBB81_78
.LBB81_110:                             ;   in Loop: Header=BB81_47 Depth=1
	v_mov_b32_e32 v9, s87
	ds_read_b32 v9, v9
	s_waitcnt lgkmcnt(0)
	v_add_u32_e32 v7, v9, v7
	s_or_b64 exec, exec, s[82:83]
	s_and_saveexec_b64 s[82:83], s[68:69]
	s_cbranch_execz .LBB81_79
.LBB81_111:                             ;   in Loop: Header=BB81_47 Depth=1
	buffer_load_dword v10, off, s[0:3], 0
	buffer_load_dword v11, off, s[0:3], 0 offset:4
	buffer_load_dword v12, off, s[0:3], 0 offset:8
	;; [unrolled: 1-line block ×3, first 2 shown]
	v_add3_u32 v9, v4, -1, v7
	v_lshl_add_u32 v14, v9, 2, 0
	v_lshl_add_u32 v9, v9, 4, 0
	v_add_u32_e32 v9, 0x10000, v9
	ds_write_b32 v14, v8
	s_waitcnt vmcnt(0)
	ds_write2_b64 v9, v[10:11], v[12:13] offset1:1
	s_or_b64 exec, exec, s[82:83]
	s_and_saveexec_b64 s[68:69], vcc
	s_cbranch_execz .LBB81_46
.LBB81_112:                             ;   in Loop: Header=BB81_47 Depth=1
	v_mov_b32_e32 v8, s88
	ds_write_b32 v8, v7
	s_branch .LBB81_46
.LBB81_113:
	s_or_b64 exec, exec, s[72:73]
	v_readlane_b32 s4, v32, 12
	v_readlane_b32 s5, v32, 13
	;; [unrolled: 1-line block ×3, first 2 shown]
	s_ashr_i32 s5, s4, 31
	v_readlane_b32 s10, v32, 6
	v_readlane_b32 s11, v32, 7
	;; [unrolled: 1-line block ×4, first 2 shown]
	s_lshl_b64 s[4:5], s[4:5], 2
	s_mov_b64 s[10:11], s[14:15]
	s_add_u32 s4, s10, s4
	s_addc_u32 s5, s11, s5
	s_load_dwordx2 s[4:5], s[4:5], 0x0
	v_readlane_b32 s9, v32, 5
	v_readlane_b32 s12, v32, 8
	;; [unrolled: 1-line block ×3, first 2 shown]
	s_waitcnt lgkmcnt(0)
	s_sub_i32 s18, s5, s4
	v_cmp_gt_i32_e32 vcc, s18, v0
	s_and_saveexec_b64 s[6:7], vcc
	s_cbranch_execz .LBB81_128
; %bb.114:
	s_sub_i32 s10, s4, s74
	s_add_i32 s4, s18, -2
	s_lshr_b32 s5, s4, 1
	s_add_i32 s6, s5, 1
	s_cmp_gt_u32 s18, 1
	s_cselect_b64 s[12:13], -1, 0
	s_and_b32 s19, s18, -2
	s_and_b32 s8, s6, 7
	s_cmp_gt_u32 s4, 13
	s_cselect_b64 s[4:5], -1, 0
	s_and_b32 s20, s6, -8
	s_cmp_lg_u32 s8, 0
	s_cselect_b64 s[6:7], -1, 0
	v_cndmask_b32_e64 v1, 0, 1, s[4:5]
	v_readlane_b32 s24, v32, 0
	s_cmp_lg_u32 s18, s19
	v_cmp_ne_u32_e64 s[4:5], 1, v1
	v_cndmask_b32_e64 v1, 0, 1, s[6:7]
	v_readlane_b32 s25, v32, 1
	v_readlane_b32 s27, v32, 3
	s_mov_b32 s11, 0
	s_cselect_b64 s[14:15], -1, 0
	s_lshl_b32 s21, s8, 3
	s_mov_b64 s[16:17], 0
	v_cmp_ne_u32_e64 s[6:7], 1, v1
	v_mov_b32_e32 v1, s25
	v_mov_b32_e32 v4, s27
	v_readlane_b32 s26, v32, 2
	s_branch .LBB81_116
.LBB81_115:                             ;   in Loop: Header=BB81_116 Depth=1
	v_lshl_add_u32 v3, v0, 4, 0
	v_add_u32_e32 v8, 0x10000, v3
	v_ashrrev_i32_e32 v3, 31, v2
	v_lshlrev_b64 v[6:7], 2, v[2:3]
	v_readlane_b32 s24, v32, 0
	v_add_co_u32_e32 v6, vcc, s24, v6
	s_waitcnt lgkmcnt(0)
	v_add_u32_e32 v5, s74, v5
	v_addc_co_u32_e32 v7, vcc, v1, v7, vcc
	v_readlane_b32 s26, v32, 2
	global_store_dword v[6:7], v5, off
	v_lshlrev_b64 v[2:3], 4, v[2:3]
	ds_read2_b64 v[6:9], v8 offset1:1
	v_add_co_u32_e32 v2, vcc, s26, v2
	v_addc_co_u32_e32 v3, vcc, v4, v3, vcc
	v_add_u32_e32 v0, 0x400, v0
	v_cmp_le_i32_e32 vcc, s18, v0
	s_or_b64 s[16:17], vcc, s[16:17]
	v_readlane_b32 s25, v32, 1
	v_readlane_b32 s27, v32, 3
	s_waitcnt lgkmcnt(0)
	global_store_dwordx4 v[2:3], v[6:9], off
	s_andn2_b64 exec, exec, s[16:17]
	s_cbranch_execz .LBB81_128
.LBB81_116:                             ; =>This Loop Header: Depth=1
                                        ;     Child Loop BB81_119 Depth 2
                                        ;     Child Loop BB81_124 Depth 2
	;; [unrolled: 1-line block ×3, first 2 shown]
	v_lshl_add_u32 v2, v0, 2, 0
	ds_read_b32 v5, v2
	s_and_b64 vcc, exec, s[12:13]
	s_cbranch_vccz .LBB81_121
; %bb.117:                              ;   in Loop: Header=BB81_116 Depth=1
	s_and_b64 vcc, exec, s[4:5]
	s_cbranch_vccnz .LBB81_122
; %bb.118:                              ;   in Loop: Header=BB81_116 Depth=1
	s_mov_b32 s23, 0
	v_mov_b32_e32 v2, s10
	v_mov_b32_e32 v3, 0
	s_mov_b32 s24, s20
	s_mov_b32 s22, 0
.LBB81_119:                             ;   Parent Loop BB81_116 Depth=1
                                        ; =>  This Inner Loop Header: Depth=2
	v_mov_b32_e32 v20, s23
	ds_read2_b32 v[6:7], v20 offset1:1
	ds_read2_b32 v[8:9], v20 offset0:2 offset1:3
	ds_read2_b32 v[10:11], v20 offset0:4 offset1:5
	;; [unrolled: 1-line block ×7, first 2 shown]
	s_waitcnt lgkmcnt(7)
	v_cmp_gt_i32_e32 vcc, v5, v7
	v_cndmask_b32_e64 v7, 0, 1, vcc
	v_cmp_gt_i32_e32 vcc, v5, v6
	s_waitcnt lgkmcnt(5)
	v_cmp_gt_i32_e64 s[8:9], v5, v10
	v_cndmask_b32_e64 v6, 0, 1, vcc
	v_cmp_gt_i32_e32 vcc, v5, v9
	v_cndmask_b32_e64 v9, 0, 1, s[8:9]
	v_cmp_gt_i32_e64 s[8:9], v5, v11
	v_cndmask_b32_e64 v10, 0, 1, s[8:9]
	s_waitcnt lgkmcnt(3)
	v_cmp_gt_i32_e64 s[8:9], v5, v15
	v_cndmask_b32_e64 v11, 0, 1, s[8:9]
	v_cmp_gt_i32_e64 s[8:9], v5, v14
	v_cndmask_b32_e64 v14, 0, 1, s[8:9]
	s_waitcnt lgkmcnt(1)
	v_cmp_gt_i32_e64 s[8:9], v5, v18
	v_cndmask_b32_e64 v15, 0, 1, s[8:9]
	v_cmp_gt_i32_e64 s[8:9], v5, v19
	v_cndmask_b32_e64 v18, 0, 1, s[8:9]
	v_cmp_gt_i32_e64 s[8:9], v5, v8
	v_addc_co_u32_e64 v2, s[8:9], v2, v6, s[8:9]
	v_addc_co_u32_e32 v3, vcc, v3, v7, vcc
	v_cmp_gt_i32_e32 vcc, v5, v12
	v_cmp_gt_i32_e64 s[8:9], v5, v13
	v_addc_co_u32_e64 v3, s[8:9], v3, v10, s[8:9]
	v_addc_co_u32_e32 v2, vcc, v2, v9, vcc
	v_cmp_gt_i32_e32 vcc, v5, v17
	v_cmp_gt_i32_e64 s[8:9], v5, v16
	v_addc_co_u32_e64 v2, s[8:9], v2, v14, s[8:9]
	v_addc_co_u32_e32 v3, vcc, v3, v11, vcc
	s_add_i32 s22, s22, 16
	s_add_i32 s23, s23, 64
	s_add_i32 s24, s24, -8
	s_waitcnt lgkmcnt(0)
	v_cmp_gt_i32_e32 vcc, v5, v20
	v_cmp_gt_i32_e64 s[8:9], v5, v21
	s_cmp_lg_u32 s24, 0
	v_addc_co_u32_e64 v3, s[8:9], v3, v18, s[8:9]
	v_addc_co_u32_e32 v2, vcc, v2, v15, vcc
	s_cbranch_scc1 .LBB81_119
; %bb.120:                              ;   in Loop: Header=BB81_116 Depth=1
	s_and_b64 vcc, exec, s[6:7]
	s_cbranch_vccz .LBB81_123
	s_branch .LBB81_125
.LBB81_121:                             ;   in Loop: Header=BB81_116 Depth=1
	v_mov_b32_e32 v2, s10
	s_mov_b32 s22, 0
	s_cbranch_execz .LBB81_115
	s_branch .LBB81_126
.LBB81_122:                             ;   in Loop: Header=BB81_116 Depth=1
	v_pk_mov_b32 v[2:3], s[10:11], s[10:11] op_sel:[0,1]
	s_mov_b32 s22, 0
	s_and_b64 vcc, exec, s[6:7]
	s_cbranch_vccnz .LBB81_125
.LBB81_123:                             ;   in Loop: Header=BB81_116 Depth=1
	s_lshl_b32 s8, s22, 2
	s_add_i32 s8, s8, 0
	s_mov_b32 s9, s21
.LBB81_124:                             ;   Parent Loop BB81_116 Depth=1
                                        ; =>  This Inner Loop Header: Depth=2
	v_mov_b32_e32 v6, s8
	ds_read2_b32 v[6:7], v6 offset1:1
	s_add_i32 s8, s8, 8
	s_add_i32 s9, s9, -8
	s_cmp_lg_u32 s9, 0
	s_waitcnt lgkmcnt(0)
	v_cmp_gt_i32_e32 vcc, v5, v7
	v_addc_co_u32_e32 v3, vcc, 0, v3, vcc
	v_cmp_gt_i32_e32 vcc, v5, v6
	v_addc_co_u32_e32 v2, vcc, 0, v2, vcc
	s_cbranch_scc1 .LBB81_124
.LBB81_125:                             ;   in Loop: Header=BB81_116 Depth=1
	v_add_u32_e32 v2, v2, v3
	s_mov_b32 s22, s19
	s_mov_b64 s[8:9], s[14:15]
	s_and_b64 vcc, exec, s[8:9]
	s_cbranch_vccz .LBB81_115
.LBB81_126:                             ;   in Loop: Header=BB81_116 Depth=1
	s_lshl_b32 s8, s22, 2
	s_add_i32 s8, s8, 0
.LBB81_127:                             ;   Parent Loop BB81_116 Depth=1
                                        ; =>  This Inner Loop Header: Depth=2
	v_mov_b32_e32 v3, s8
	ds_read_b32 v3, v3
	s_add_i32 s22, s22, 1
	s_add_i32 s8, s8, 4
	s_cmp_ge_i32 s22, s18
	s_waitcnt lgkmcnt(0)
	v_cmp_gt_i32_e32 vcc, v5, v3
	v_addc_co_u32_e32 v2, vcc, 0, v2, vcc
	s_cbranch_scc0 .LBB81_127
	s_branch .LBB81_115
.LBB81_128:
	s_endpgm
	.section	.rodata,"a",@progbits
	.p2align	6, 0x0
	.amdhsa_kernel _ZN9rocsparseL26csrgemm_fill_block_per_rowILj1024ELj64ELj16384ELj137ELj32Eii21rocsparse_complex_numIdEEEvT5_PKS3_S5_NS_24const_host_device_scalarIT6_EEPKT4_S5_PKS7_SB_S5_SD_S8_SB_S5_SD_SB_PS3_PS7_21rocsparse_index_base_SG_SG_SG_bbb
		.amdhsa_group_segment_fixed_size 0
		.amdhsa_private_segment_fixed_size 40
		.amdhsa_kernarg_size 172
		.amdhsa_user_sgpr_count 8
		.amdhsa_user_sgpr_private_segment_buffer 1
		.amdhsa_user_sgpr_dispatch_ptr 0
		.amdhsa_user_sgpr_queue_ptr 0
		.amdhsa_user_sgpr_kernarg_segment_ptr 1
		.amdhsa_user_sgpr_dispatch_id 0
		.amdhsa_user_sgpr_flat_scratch_init 1
		.amdhsa_user_sgpr_kernarg_preload_length 0
		.amdhsa_user_sgpr_kernarg_preload_offset 0
		.amdhsa_user_sgpr_private_segment_size 0
		.amdhsa_uses_dynamic_stack 0
		.amdhsa_system_sgpr_private_segment_wavefront_offset 1
		.amdhsa_system_sgpr_workgroup_id_x 1
		.amdhsa_system_sgpr_workgroup_id_y 0
		.amdhsa_system_sgpr_workgroup_id_z 0
		.amdhsa_system_sgpr_workgroup_info 0
		.amdhsa_system_vgpr_workitem_id 0
		.amdhsa_next_free_vgpr 33
		.amdhsa_next_free_sgpr 100
		.amdhsa_accum_offset 36
		.amdhsa_reserve_vcc 1
		.amdhsa_reserve_flat_scratch 1
		.amdhsa_float_round_mode_32 0
		.amdhsa_float_round_mode_16_64 0
		.amdhsa_float_denorm_mode_32 3
		.amdhsa_float_denorm_mode_16_64 3
		.amdhsa_dx10_clamp 1
		.amdhsa_ieee_mode 1
		.amdhsa_fp16_overflow 0
		.amdhsa_tg_split 0
		.amdhsa_exception_fp_ieee_invalid_op 0
		.amdhsa_exception_fp_denorm_src 0
		.amdhsa_exception_fp_ieee_div_zero 0
		.amdhsa_exception_fp_ieee_overflow 0
		.amdhsa_exception_fp_ieee_underflow 0
		.amdhsa_exception_fp_ieee_inexact 0
		.amdhsa_exception_int_div_zero 0
	.end_amdhsa_kernel
	.section	.text._ZN9rocsparseL26csrgemm_fill_block_per_rowILj1024ELj64ELj16384ELj137ELj32Eii21rocsparse_complex_numIdEEEvT5_PKS3_S5_NS_24const_host_device_scalarIT6_EEPKT4_S5_PKS7_SB_S5_SD_S8_SB_S5_SD_SB_PS3_PS7_21rocsparse_index_base_SG_SG_SG_bbb,"axG",@progbits,_ZN9rocsparseL26csrgemm_fill_block_per_rowILj1024ELj64ELj16384ELj137ELj32Eii21rocsparse_complex_numIdEEEvT5_PKS3_S5_NS_24const_host_device_scalarIT6_EEPKT4_S5_PKS7_SB_S5_SD_S8_SB_S5_SD_SB_PS3_PS7_21rocsparse_index_base_SG_SG_SG_bbb,comdat
.Lfunc_end81:
	.size	_ZN9rocsparseL26csrgemm_fill_block_per_rowILj1024ELj64ELj16384ELj137ELj32Eii21rocsparse_complex_numIdEEEvT5_PKS3_S5_NS_24const_host_device_scalarIT6_EEPKT4_S5_PKS7_SB_S5_SD_S8_SB_S5_SD_SB_PS3_PS7_21rocsparse_index_base_SG_SG_SG_bbb, .Lfunc_end81-_ZN9rocsparseL26csrgemm_fill_block_per_rowILj1024ELj64ELj16384ELj137ELj32Eii21rocsparse_complex_numIdEEEvT5_PKS3_S5_NS_24const_host_device_scalarIT6_EEPKT4_S5_PKS7_SB_S5_SD_S8_SB_S5_SD_SB_PS3_PS7_21rocsparse_index_base_SG_SG_SG_bbb
                                        ; -- End function
	.section	.AMDGPU.csdata,"",@progbits
; Kernel info:
; codeLenInByte = 5640
; NumSgprs: 106
; NumVgprs: 33
; NumAgprs: 0
; TotalNumVgprs: 33
; ScratchSize: 40
; MemoryBound: 0
; FloatMode: 240
; IeeeMode: 1
; LDSByteSize: 0 bytes/workgroup (compile time only)
; SGPRBlocks: 13
; VGPRBlocks: 4
; NumSGPRsForWavesPerEU: 106
; NumVGPRsForWavesPerEU: 33
; AccumOffset: 36
; Occupancy: 7
; WaveLimiterHint : 1
; COMPUTE_PGM_RSRC2:SCRATCH_EN: 1
; COMPUTE_PGM_RSRC2:USER_SGPR: 8
; COMPUTE_PGM_RSRC2:TRAP_HANDLER: 0
; COMPUTE_PGM_RSRC2:TGID_X_EN: 1
; COMPUTE_PGM_RSRC2:TGID_Y_EN: 0
; COMPUTE_PGM_RSRC2:TGID_Z_EN: 0
; COMPUTE_PGM_RSRC2:TIDIG_COMP_CNT: 0
; COMPUTE_PGM_RSRC3_GFX90A:ACCUM_OFFSET: 8
; COMPUTE_PGM_RSRC3_GFX90A:TG_SPLIT: 0
	.section	.text._ZN9rocsparseL26csrgemm_fill_block_per_rowILj1024ELj64ELj16384ELj137ELj64Eii21rocsparse_complex_numIdEEEvT5_PKS3_S5_NS_24const_host_device_scalarIT6_EEPKT4_S5_PKS7_SB_S5_SD_S8_SB_S5_SD_SB_PS3_PS7_21rocsparse_index_base_SG_SG_SG_bbb,"axG",@progbits,_ZN9rocsparseL26csrgemm_fill_block_per_rowILj1024ELj64ELj16384ELj137ELj64Eii21rocsparse_complex_numIdEEEvT5_PKS3_S5_NS_24const_host_device_scalarIT6_EEPKT4_S5_PKS7_SB_S5_SD_S8_SB_S5_SD_SB_PS3_PS7_21rocsparse_index_base_SG_SG_SG_bbb,comdat
	.globl	_ZN9rocsparseL26csrgemm_fill_block_per_rowILj1024ELj64ELj16384ELj137ELj64Eii21rocsparse_complex_numIdEEEvT5_PKS3_S5_NS_24const_host_device_scalarIT6_EEPKT4_S5_PKS7_SB_S5_SD_S8_SB_S5_SD_SB_PS3_PS7_21rocsparse_index_base_SG_SG_SG_bbb ; -- Begin function _ZN9rocsparseL26csrgemm_fill_block_per_rowILj1024ELj64ELj16384ELj137ELj64Eii21rocsparse_complex_numIdEEEvT5_PKS3_S5_NS_24const_host_device_scalarIT6_EEPKT4_S5_PKS7_SB_S5_SD_S8_SB_S5_SD_SB_PS3_PS7_21rocsparse_index_base_SG_SG_SG_bbb
	.p2align	8
	.type	_ZN9rocsparseL26csrgemm_fill_block_per_rowILj1024ELj64ELj16384ELj137ELj64Eii21rocsparse_complex_numIdEEEvT5_PKS3_S5_NS_24const_host_device_scalarIT6_EEPKT4_S5_PKS7_SB_S5_SD_S8_SB_S5_SD_SB_PS3_PS7_21rocsparse_index_base_SG_SG_SG_bbb,@function
_ZN9rocsparseL26csrgemm_fill_block_per_rowILj1024ELj64ELj16384ELj137ELj64Eii21rocsparse_complex_numIdEEEvT5_PKS3_S5_NS_24const_host_device_scalarIT6_EEPKT4_S5_PKS7_SB_S5_SD_S8_SB_S5_SD_SB_PS3_PS7_21rocsparse_index_base_SG_SG_SG_bbb: ; @_ZN9rocsparseL26csrgemm_fill_block_per_rowILj1024ELj64ELj16384ELj137ELj64Eii21rocsparse_complex_numIdEEEvT5_PKS3_S5_NS_24const_host_device_scalarIT6_EEPKT4_S5_PKS7_SB_S5_SD_S8_SB_S5_SD_SB_PS3_PS7_21rocsparse_index_base_SG_SG_SG_bbb
; %bb.0:
	s_add_u32 flat_scratch_lo, s6, s9
	s_addc_u32 flat_scratch_hi, s7, 0
	s_load_dwordx4 s[12:15], s[4:5], 0x18
	s_load_dwordx4 s[28:31], s[4:5], 0x58
	s_add_u32 s0, s0, s9
	s_load_dword s9, s[4:5], 0xa8
	s_load_dwordx4 s[44:47], s[4:5], 0x98
	s_addc_u32 s1, s1, 0
	s_waitcnt lgkmcnt(0)
	v_mov_b32_e32 v1, s13
	buffer_store_dword v1, off, s[0:3], 0 offset:20
	s_bitcmp1_b32 s9, 0
	s_cselect_b64 s[54:55], -1, 0
	s_bitcmp1_b32 s9, 16
	v_mov_b32_e32 v1, s12
	s_cselect_b64 s[6:7], -1, 0
	buffer_store_dword v1, off, s[0:3], 0 offset:16
	v_mov_b32_e32 v1, s29
	buffer_store_dword v1, off, s[0:3], 0 offset:28
	v_mov_b32_e32 v1, s28
	s_xor_b64 s[10:11], s[6:7], -1
	buffer_store_dword v1, off, s[0:3], 0 offset:24
	v_pk_mov_b32 v[2:3], 0, 0
	v_cndmask_b32_e64 v1, 0, 1, s[10:11]
	s_bitcmp0_b32 s9, 0
	v_cmp_ne_u32_e64 s[10:11], 1, v1
	v_pk_mov_b32 v[6:7], v[2:3], v[2:3] op_sel:[0,1]
	v_pk_mov_b32 v[8:9], v[2:3], v[2:3] op_sel:[0,1]
	s_cbranch_scc1 .LBB82_3
; %bb.1:
	s_mov_b64 s[16:17], src_private_base
	s_and_b64 s[18:19], s[6:7], exec
	s_cselect_b32 s16, s17, s13
	v_mov_b32_e32 v1, 16
	v_mov_b32_e32 v4, s12
	v_cndmask_b32_e64 v4, v4, v1, s[6:7]
	v_mov_b32_e32 v5, s16
	flat_load_dwordx2 v[6:7], v[4:5]
	s_and_b64 vcc, exec, s[10:11]
	v_pk_mov_b32 v[8:9], s[14:15], s[14:15] op_sel:[0,1]
	s_cbranch_vccnz .LBB82_3
; %bb.2:
	v_pk_mov_b32 v[4:5], s[12:13], s[12:13] op_sel:[0,1]
	flat_load_dwordx2 v[8:9], v[4:5] offset:8
.LBB82_3:
	s_load_dwordx4 s[48:51], s[4:5], 0x88
	s_load_dwordx8 s[36:43], s[4:5], 0x68
	s_load_dwordx4 s[20:23], s[4:5], 0x48
	s_load_dwordx4 s[24:27], s[4:5], 0x8
	s_load_dwordx8 s[12:19], s[4:5], 0x28
	s_bitcmp1_b32 s9, 8
	s_cselect_b64 s[34:35], -1, 0
	s_bfe_u32 s9, s9, 0x10008
	s_mov_b64 s[52:53], 0
	s_cmp_eq_u32 s9, 0
	v_pk_mov_b32 v[4:5], v[2:3], v[2:3] op_sel:[0,1]
	s_cbranch_scc1 .LBB82_6
; %bb.4:
	s_mov_b64 s[56:57], src_private_base
	s_and_b64 s[58:59], s[6:7], exec
	s_cselect_b32 s9, s57, s29
	v_mov_b32_e32 v1, 24
	v_mov_b32_e32 v2, s28
	v_cndmask_b32_e64 v2, v2, v1, s[6:7]
	v_mov_b32_e32 v3, s9
	flat_load_dwordx2 v[4:5], v[2:3]
	s_and_b64 vcc, exec, s[10:11]
	v_pk_mov_b32 v[2:3], s[30:31], s[30:31] op_sel:[0,1]
	s_cbranch_vccnz .LBB82_6
; %bb.5:
	v_pk_mov_b32 v[2:3], s[28:29], s[28:29] op_sel:[0,1]
	flat_load_dwordx2 v[2:3], v[2:3] offset:8
.LBB82_6:
	s_load_dword s33, s[4:5], 0x0
	v_lshlrev_b32_e32 v10, 4, v0
	s_mov_b32 s4, 0
	v_or_b32_e32 v1, 0xfffffc00, v0
	v_add_u32_e32 v23, 0, v10
	v_lshl_add_u32 v22, v0, 2, 0
	s_mov_b32 s5, s4
	s_mov_b32 s6, s4
	;; [unrolled: 1-line block ×3, first 2 shown]
	v_add_u32_e32 v14, 0x10008, v23
	s_waitcnt lgkmcnt(0)
	v_mov_b32_e32 v15, s33
	v_pk_mov_b32 v[10:11], s[4:5], s[4:5] op_sel:[0,1]
	v_pk_mov_b32 v[12:13], s[6:7], s[6:7] op_sel:[0,1]
	s_movk_i32 s4, 0x3bff
	v_mov_b32_e32 v16, v22
	v_mov_b32_e32 v17, v1
.LBB82_7:                               ; =>This Inner Loop Header: Depth=1
	v_add_u32_e32 v17, 0x400, v17
	v_cmp_lt_u32_e32 vcc, s4, v17
	ds_write_b32 v16, v15
	v_add_u32_e32 v18, -8, v14
	v_add_u32_e32 v14, 0x4000, v14
	v_add_u32_e32 v16, 0x1000, v16
	s_or_b64 s[52:53], vcc, s[52:53]
	ds_write2_b64 v18, v[10:11], v[12:13] offset1:1
	s_andn2_b64 exec, exec, s[52:53]
	s_cbranch_execnz .LBB82_7
; %bb.8:
	s_or_b64 exec, exec, s[52:53]
	s_waitcnt lgkmcnt(0)
	s_barrier
	s_load_dword s4, s[24:25], 0x0
	s_mov_b32 s5, 0
	v_lshrrev_b32_e32 v24, 6, v0
	s_waitcnt lgkmcnt(0)
	s_add_i32 s4, s4, s8
	s_lshl_b64 s[4:5], s[4:5], 2
	s_add_u32 s4, s26, s4
	s_addc_u32 s5, s27, s5
	s_load_dword s52, s[4:5], 0x0
	s_and_b64 vcc, exec, s[54:55]
	s_cbranch_vccz .LBB82_28
; %bb.9:
	s_waitcnt lgkmcnt(0)
	s_ashr_i32 s53, s52, 31
	s_lshl_b64 s[4:5], s[52:53], 2
	s_add_u32 s4, s12, s4
	s_addc_u32 s5, s13, s5
	s_load_dwordx2 s[4:5], s[4:5], 0x0
	v_subrev_u32_e32 v10, s44, v24
	s_waitcnt lgkmcnt(0)
	s_sub_i32 s53, s5, s44
	v_add_u32_e32 v10, s4, v10
	v_cmp_gt_i32_e32 vcc, s53, v10
	s_and_saveexec_b64 s[4:5], vcc
	s_cbranch_execz .LBB82_27
; %bb.10:
	v_and_b32_e32 v11, 63, v0
	v_subrev_u32_e32 v25, s45, v11
	s_mov_b64 s[6:7], 0
	v_mov_b32_e32 v26, s15
	v_mov_b32_e32 v27, s19
	s_movk_i32 s15, 0x89
	s_branch .LBB82_12
.LBB82_11:                              ;   in Loop: Header=BB82_12 Depth=1
	s_or_b64 exec, exec, s[8:9]
	v_add_u32_e32 v10, 16, v10
	v_cmp_le_i32_e32 vcc, s53, v10
	s_or_b64 s[6:7], vcc, s[6:7]
	s_andn2_b64 exec, exec, s[6:7]
	s_cbranch_execz .LBB82_27
.LBB82_12:                              ; =>This Loop Header: Depth=1
                                        ;     Child Loop BB82_15 Depth 2
                                        ;       Child Loop BB82_17 Depth 3
	v_ashrrev_i32_e32 v11, 31, v10
	v_lshlrev_b64 v[12:13], 2, v[10:11]
	v_add_co_u32_e32 v12, vcc, s14, v12
	v_addc_co_u32_e32 v13, vcc, v26, v13, vcc
	global_load_dword v12, v[12:13], off
	s_waitcnt vmcnt(0)
	v_subrev_u32_e32 v12, s44, v12
	v_ashrrev_i32_e32 v13, 31, v12
	v_lshlrev_b64 v[12:13], 2, v[12:13]
	v_add_co_u32_e32 v12, vcc, s18, v12
	v_addc_co_u32_e32 v13, vcc, v27, v13, vcc
	global_load_dwordx2 v[12:13], v[12:13], off
	s_waitcnt vmcnt(0)
	v_subrev_u32_e32 v28, s45, v13
	v_add_u32_e32 v12, v12, v25
	v_cmp_lt_i32_e32 vcc, v12, v28
	s_and_saveexec_b64 s[8:9], vcc
	s_cbranch_execz .LBB82_11
; %bb.13:                               ;   in Loop: Header=BB82_12 Depth=1
	v_lshlrev_b64 v[14:15], 4, v[10:11]
	v_mov_b32_e32 v11, s17
	v_add_co_u32_e32 v14, vcc, s16, v14
	v_addc_co_u32_e32 v15, vcc, v11, v15, vcc
	global_load_dwordx4 v[18:21], v[14:15], off
	s_mov_b64 s[10:11], 0
	s_waitcnt vmcnt(0)
	v_mul_f64 v[14:15], v[20:21], -v[8:9]
	v_mul_f64 v[16:17], v[6:7], v[20:21]
	v_fmac_f64_e32 v[14:15], v[6:7], v[18:19]
	v_fmac_f64_e32 v[16:17], v[8:9], v[18:19]
	s_branch .LBB82_15
.LBB82_14:                              ;   in Loop: Header=BB82_15 Depth=2
	s_or_b64 exec, exec, s[12:13]
	v_add_u32_e32 v12, 64, v12
	v_cmp_ge_i32_e32 vcc, v12, v28
	s_or_b64 s[10:11], vcc, s[10:11]
	s_andn2_b64 exec, exec, s[10:11]
	s_cbranch_execz .LBB82_11
.LBB82_15:                              ;   Parent Loop BB82_12 Depth=1
                                        ; =>  This Loop Header: Depth=2
                                        ;       Child Loop BB82_17 Depth 3
	v_ashrrev_i32_e32 v13, 31, v12
	v_lshlrev_b64 v[18:19], 2, v[12:13]
	v_mov_b32_e32 v11, s21
	v_add_co_u32_e32 v18, vcc, s20, v18
	v_addc_co_u32_e32 v19, vcc, v11, v19, vcc
	global_load_dword v11, v[18:19], off
	v_lshlrev_b64 v[18:19], 4, v[12:13]
	v_mov_b32_e32 v13, s23
	v_add_co_u32_e32 v18, vcc, s22, v18
	v_addc_co_u32_e32 v19, vcc, v13, v19, vcc
	global_load_dwordx4 v[30:33], v[18:19], off
	s_mov_b64 s[12:13], 0
	s_waitcnt vmcnt(1)
	v_subrev_u32_e32 v11, s45, v11
	v_mul_lo_u32 v13, v11, s15
	v_and_b32_e32 v13, 0x3fff, v13
	s_waitcnt vmcnt(0)
	v_mul_f64 v[18:19], v[32:33], -v[16:17]
	v_mul_f64 v[20:21], v[14:15], v[32:33]
	v_fmac_f64_e32 v[18:19], v[14:15], v[30:31]
	v_fmac_f64_e32 v[20:21], v[16:17], v[30:31]
	s_branch .LBB82_17
.LBB82_16:                              ;   in Loop: Header=BB82_17 Depth=3
	s_or_b64 exec, exec, s[24:25]
	s_xor_b64 s[24:25], s[26:27], -1
	s_and_b64 s[24:25], exec, s[24:25]
	s_or_b64 s[12:13], s[24:25], s[12:13]
	s_andn2_b64 exec, exec, s[12:13]
	s_cbranch_execz .LBB82_14
.LBB82_17:                              ;   Parent Loop BB82_12 Depth=1
                                        ;     Parent Loop BB82_15 Depth=2
                                        ; =>    This Inner Loop Header: Depth=3
	v_lshl_add_u32 v29, v13, 2, 0
	ds_read_b32 v30, v29
                                        ; implicit-def: $sgpr26_sgpr27
	s_waitcnt lgkmcnt(0)
	v_cmp_ne_u32_e32 vcc, v30, v11
	s_and_saveexec_b64 s[24:25], vcc
	s_xor_b64 s[24:25], exec, s[24:25]
	s_cbranch_execz .LBB82_25
; %bb.18:                               ;   in Loop: Header=BB82_17 Depth=3
	v_cmp_ne_u32_e32 vcc, s33, v30
                                        ; implicit-def: $sgpr26_sgpr27
	s_and_saveexec_b64 s[28:29], vcc
	s_xor_b64 s[28:29], exec, s[28:29]
; %bb.19:                               ;   in Loop: Header=BB82_17 Depth=3
	v_add_u32_e32 v13, 1, v13
	v_and_b32_e32 v13, 0x3fff, v13
	s_mov_b64 s[26:27], -1
                                        ; implicit-def: $vgpr29
; %bb.20:                               ;   in Loop: Header=BB82_17 Depth=3
	s_andn2_saveexec_b64 s[28:29], s[28:29]
	s_cbranch_execz .LBB82_24
; %bb.21:                               ;   in Loop: Header=BB82_17 Depth=3
	v_mov_b32_e32 v30, s33
	ds_cmpst_rtn_b32 v29, v29, v30, v11
	s_mov_b64 s[54:55], -1
	s_waitcnt lgkmcnt(0)
	v_cmp_eq_u32_e32 vcc, s33, v29
	s_and_saveexec_b64 s[30:31], vcc
	s_cbranch_execz .LBB82_23
; %bb.22:                               ;   in Loop: Header=BB82_17 Depth=3
	v_lshl_add_u32 v29, v13, 4, 0
	v_add_u32_e32 v29, 0x10000, v29
	ds_add_f64 v29, v[18:19]
	ds_add_f64 v29, v[20:21] offset:8
	s_xor_b64 s[54:55], exec, -1
.LBB82_23:                              ;   in Loop: Header=BB82_17 Depth=3
	s_or_b64 exec, exec, s[30:31]
	s_andn2_b64 s[26:27], s[26:27], exec
	s_and_b64 s[30:31], s[54:55], exec
	s_or_b64 s[26:27], s[26:27], s[30:31]
.LBB82_24:                              ;   in Loop: Header=BB82_17 Depth=3
	s_or_b64 exec, exec, s[28:29]
	s_and_b64 s[26:27], s[26:27], exec
.LBB82_25:                              ;   in Loop: Header=BB82_17 Depth=3
	s_andn2_saveexec_b64 s[24:25], s[24:25]
	s_cbranch_execz .LBB82_16
; %bb.26:                               ;   in Loop: Header=BB82_17 Depth=3
	v_lshl_add_u32 v29, v13, 4, 0
	v_add_u32_e32 v29, 0x10000, v29
	ds_add_f64 v29, v[18:19]
	ds_add_f64 v29, v[20:21] offset:8
	s_andn2_b64 s[26:27], s[26:27], exec
	s_branch .LBB82_16
.LBB82_27:
	s_or_b64 exec, exec, s[4:5]
.LBB82_28:
	s_andn2_b64 vcc, exec, s[34:35]
	s_cbranch_vccnz .LBB82_45
; %bb.29:
	s_waitcnt lgkmcnt(0)
	s_ashr_i32 s53, s52, 31
	s_lshl_b64 s[4:5], s[52:53], 2
	s_add_u32 s4, s36, s4
	s_addc_u32 s5, s37, s5
	s_load_dwordx2 s[4:5], s[4:5], 0x0
	s_waitcnt vmcnt(0)
	v_subrev_u32_e32 v6, s47, v0
	s_waitcnt lgkmcnt(0)
	s_sub_i32 s20, s5, s47
	v_add_u32_e32 v6, s4, v6
	v_cmp_gt_i32_e32 vcc, s20, v6
	s_and_saveexec_b64 s[4:5], vcc
	s_cbranch_execz .LBB82_44
; %bb.30:
	s_mov_b64 s[6:7], 0
	v_mov_b32_e32 v12, s39
	v_mov_b32_e32 v13, s41
	s_movk_i32 s21, 0x89
	s_branch .LBB82_32
.LBB82_31:                              ;   in Loop: Header=BB82_32 Depth=1
	s_or_b64 exec, exec, s[8:9]
	v_add_u32_e32 v6, 0x400, v6
	v_cmp_le_i32_e32 vcc, s20, v6
	s_or_b64 s[6:7], vcc, s[6:7]
	s_andn2_b64 exec, exec, s[6:7]
	s_cbranch_execz .LBB82_44
.LBB82_32:                              ; =>This Loop Header: Depth=1
                                        ;     Child Loop BB82_34 Depth 2
	v_ashrrev_i32_e32 v7, 31, v6
	v_lshlrev_b64 v[8:9], 2, v[6:7]
	v_add_co_u32_e32 v8, vcc, s38, v8
	v_addc_co_u32_e32 v9, vcc, v12, v9, vcc
	global_load_dword v10, v[8:9], off
	v_lshlrev_b64 v[8:9], 4, v[6:7]
	v_add_co_u32_e32 v8, vcc, s40, v8
	v_addc_co_u32_e32 v9, vcc, v13, v9, vcc
	global_load_dwordx4 v[14:17], v[8:9], off
	s_mov_b64 s[8:9], 0
	s_waitcnt vmcnt(1)
	v_subrev_u32_e32 v7, s47, v10
	s_waitcnt vmcnt(0)
	v_mul_f64 v[8:9], v[16:17], -v[2:3]
	v_mul_f64 v[10:11], v[4:5], v[16:17]
	v_fmac_f64_e32 v[8:9], v[4:5], v[14:15]
	v_fmac_f64_e32 v[10:11], v[2:3], v[14:15]
	v_mul_lo_u32 v14, v7, s21
	v_and_b32_e32 v14, 0x3fff, v14
	s_branch .LBB82_34
.LBB82_33:                              ;   in Loop: Header=BB82_34 Depth=2
	s_or_b64 exec, exec, s[10:11]
	s_xor_b64 s[10:11], s[12:13], -1
	s_and_b64 s[10:11], exec, s[10:11]
	s_or_b64 s[8:9], s[10:11], s[8:9]
	s_andn2_b64 exec, exec, s[8:9]
	s_cbranch_execz .LBB82_31
.LBB82_34:                              ;   Parent Loop BB82_32 Depth=1
                                        ; =>  This Inner Loop Header: Depth=2
	v_lshl_add_u32 v15, v14, 2, 0
	ds_read_b32 v16, v15
                                        ; implicit-def: $sgpr12_sgpr13
	s_waitcnt lgkmcnt(0)
	v_cmp_ne_u32_e32 vcc, v16, v7
	s_and_saveexec_b64 s[10:11], vcc
	s_xor_b64 s[10:11], exec, s[10:11]
	s_cbranch_execz .LBB82_42
; %bb.35:                               ;   in Loop: Header=BB82_34 Depth=2
	v_cmp_ne_u32_e32 vcc, s33, v16
                                        ; implicit-def: $sgpr12_sgpr13
	s_and_saveexec_b64 s[14:15], vcc
	s_xor_b64 s[14:15], exec, s[14:15]
; %bb.36:                               ;   in Loop: Header=BB82_34 Depth=2
	v_add_u32_e32 v14, 1, v14
	v_and_b32_e32 v14, 0x3fff, v14
	s_mov_b64 s[12:13], -1
                                        ; implicit-def: $vgpr15
; %bb.37:                               ;   in Loop: Header=BB82_34 Depth=2
	s_andn2_saveexec_b64 s[14:15], s[14:15]
	s_cbranch_execz .LBB82_41
; %bb.38:                               ;   in Loop: Header=BB82_34 Depth=2
	v_mov_b32_e32 v16, s33
	ds_cmpst_rtn_b32 v15, v15, v16, v7
	s_mov_b64 s[18:19], -1
	s_waitcnt lgkmcnt(0)
	v_cmp_eq_u32_e32 vcc, s33, v15
	s_and_saveexec_b64 s[16:17], vcc
	s_cbranch_execz .LBB82_40
; %bb.39:                               ;   in Loop: Header=BB82_34 Depth=2
	v_lshl_add_u32 v15, v14, 4, 0
	v_add_u32_e32 v15, 0x10000, v15
	ds_add_f64 v15, v[8:9]
	ds_add_f64 v15, v[10:11] offset:8
	s_xor_b64 s[18:19], exec, -1
.LBB82_40:                              ;   in Loop: Header=BB82_34 Depth=2
	s_or_b64 exec, exec, s[16:17]
	s_andn2_b64 s[12:13], s[12:13], exec
	s_and_b64 s[16:17], s[18:19], exec
	s_or_b64 s[12:13], s[12:13], s[16:17]
.LBB82_41:                              ;   in Loop: Header=BB82_34 Depth=2
	s_or_b64 exec, exec, s[14:15]
	s_and_b64 s[12:13], s[12:13], exec
.LBB82_42:                              ;   in Loop: Header=BB82_34 Depth=2
	s_andn2_saveexec_b64 s[10:11], s[10:11]
	s_cbranch_execz .LBB82_33
; %bb.43:                               ;   in Loop: Header=BB82_34 Depth=2
	v_lshl_add_u32 v15, v14, 4, 0
	v_add_u32_e32 v15, 0x10000, v15
	ds_add_f64 v15, v[8:9]
	ds_add_f64 v15, v[10:11] offset:8
	s_andn2_b64 s[12:13], s[12:13], exec
	s_branch .LBB82_33
.LBB82_44:
	s_or_b64 exec, exec, s[4:5]
.LBB82_45:
	s_waitcnt vmcnt(0)
	v_mbcnt_lo_u32_b32 v2, -1, 0
	v_mbcnt_hi_u32_b32 v2, -1, v2
	v_sub_u32_e32 v2, 63, v2
	s_add_i32 s44, 0, 0x50000
	s_movk_i32 s4, 0x3ff
	s_movk_i32 s6, 0x7f
	;; [unrolled: 1-line block ×15, first 2 shown]
	s_add_i32 s65, 0, 0x5003c
	v_mov_b32_e32 v4, 0
	v_lshrrev_b64 v[2:3], v2, -1
	v_lshl_add_u32 v5, v24, 2, s44
	v_cmp_eq_u32_e32 vcc, s4, v0
	v_cmp_lt_u32_e64 s[4:5], 63, v0
	v_cmp_lt_u32_e64 s[6:7], s6, v0
	;; [unrolled: 1-line block ×15, first 2 shown]
	v_add_u32_e32 v6, 0x10000, v23
	s_mov_b64 s[38:39], 0
	s_add_i32 s45, 0, 0x50004
	s_add_i32 s47, 0, 0x50008
	;; [unrolled: 1-line block ×14, first 2 shown]
	v_mov_b32_e32 v7, s65
	s_movk_i32 s66, 0x3bff
	s_waitcnt lgkmcnt(0)
	s_barrier
	s_branch .LBB82_47
.LBB82_46:                              ;   in Loop: Header=BB82_47 Depth=1
	s_or_b64 exec, exec, s[36:37]
	s_waitcnt lgkmcnt(0)
	s_barrier
	ds_read_b32 v8, v7
	v_add_u32_e32 v1, 0x400, v1
	v_cmp_lt_u32_e64 s[36:37], s66, v1
	v_add_u32_e32 v6, 0x4000, v6
	s_or_b64 s[38:39], s[36:37], s[38:39]
	s_waitcnt lgkmcnt(0)
	v_add_u32_e32 v4, v8, v4
	v_add_u32_e32 v22, 0x1000, v22
	s_andn2_b64 exec, exec, s[38:39]
	s_cbranch_execz .LBB82_81
.LBB82_47:                              ; =>This Inner Loop Header: Depth=1
	ds_read2_b64 v[10:13], v6 offset1:1
	ds_read_b32 v9, v22
	s_waitcnt lgkmcnt(1)
	buffer_store_dword v13, off, s[0:3], 0 offset:12
	buffer_store_dword v12, off, s[0:3], 0 offset:8
	;; [unrolled: 1-line block ×3, first 2 shown]
	buffer_store_dword v10, off, s[0:3], 0
	s_waitcnt lgkmcnt(0)
	v_cmp_gt_i32_e64 s[36:37], s33, v9
	v_and_b32_e32 v10, s36, v2
	s_bcnt1_i32_b64 s40, s[36:37]
	v_and_b32_e32 v8, s37, v3
	v_bcnt_u32_b32 v10, v10, 0
	v_bcnt_u32_b32 v8, v8, v10
	v_mov_b32_e32 v10, s40
	s_barrier
	ds_write_b32 v5, v10
	s_waitcnt lgkmcnt(0)
	s_barrier
	s_and_saveexec_b64 s[40:41], s[4:5]
	s_cbranch_execnz .LBB82_64
; %bb.48:                               ;   in Loop: Header=BB82_47 Depth=1
	s_or_b64 exec, exec, s[40:41]
	s_and_saveexec_b64 s[40:41], s[6:7]
	s_cbranch_execnz .LBB82_65
.LBB82_49:                              ;   in Loop: Header=BB82_47 Depth=1
	s_or_b64 exec, exec, s[40:41]
	s_and_saveexec_b64 s[40:41], s[8:9]
	s_cbranch_execnz .LBB82_66
.LBB82_50:                              ;   in Loop: Header=BB82_47 Depth=1
	s_or_b64 exec, exec, s[40:41]
	s_and_saveexec_b64 s[40:41], s[10:11]
	s_cbranch_execnz .LBB82_67
.LBB82_51:                              ;   in Loop: Header=BB82_47 Depth=1
	s_or_b64 exec, exec, s[40:41]
	s_and_saveexec_b64 s[40:41], s[12:13]
	s_cbranch_execnz .LBB82_68
.LBB82_52:                              ;   in Loop: Header=BB82_47 Depth=1
	s_or_b64 exec, exec, s[40:41]
	s_and_saveexec_b64 s[40:41], s[14:15]
	s_cbranch_execnz .LBB82_69
.LBB82_53:                              ;   in Loop: Header=BB82_47 Depth=1
	s_or_b64 exec, exec, s[40:41]
	s_and_saveexec_b64 s[40:41], s[16:17]
	s_cbranch_execnz .LBB82_70
.LBB82_54:                              ;   in Loop: Header=BB82_47 Depth=1
	s_or_b64 exec, exec, s[40:41]
	s_and_saveexec_b64 s[40:41], s[18:19]
	s_cbranch_execnz .LBB82_71
.LBB82_55:                              ;   in Loop: Header=BB82_47 Depth=1
	s_or_b64 exec, exec, s[40:41]
	s_and_saveexec_b64 s[40:41], s[20:21]
	s_cbranch_execnz .LBB82_72
.LBB82_56:                              ;   in Loop: Header=BB82_47 Depth=1
	s_or_b64 exec, exec, s[40:41]
	s_and_saveexec_b64 s[40:41], s[22:23]
	s_cbranch_execnz .LBB82_73
.LBB82_57:                              ;   in Loop: Header=BB82_47 Depth=1
	s_or_b64 exec, exec, s[40:41]
	s_and_saveexec_b64 s[40:41], s[24:25]
	s_cbranch_execnz .LBB82_74
.LBB82_58:                              ;   in Loop: Header=BB82_47 Depth=1
	s_or_b64 exec, exec, s[40:41]
	s_and_saveexec_b64 s[40:41], s[26:27]
	s_cbranch_execnz .LBB82_75
.LBB82_59:                              ;   in Loop: Header=BB82_47 Depth=1
	s_or_b64 exec, exec, s[40:41]
	s_and_saveexec_b64 s[40:41], s[28:29]
	s_cbranch_execnz .LBB82_76
.LBB82_60:                              ;   in Loop: Header=BB82_47 Depth=1
	s_or_b64 exec, exec, s[40:41]
	s_and_saveexec_b64 s[40:41], s[30:31]
	s_cbranch_execnz .LBB82_77
.LBB82_61:                              ;   in Loop: Header=BB82_47 Depth=1
	s_or_b64 exec, exec, s[40:41]
	s_and_saveexec_b64 s[40:41], s[34:35]
	s_cbranch_execnz .LBB82_78
.LBB82_62:                              ;   in Loop: Header=BB82_47 Depth=1
	s_or_b64 exec, exec, s[40:41]
	s_and_saveexec_b64 s[40:41], s[36:37]
	s_cbranch_execnz .LBB82_79
.LBB82_63:                              ;   in Loop: Header=BB82_47 Depth=1
	s_or_b64 exec, exec, s[40:41]
	s_and_saveexec_b64 s[36:37], vcc
	s_cbranch_execz .LBB82_46
	s_branch .LBB82_80
.LBB82_64:                              ;   in Loop: Header=BB82_47 Depth=1
	v_mov_b32_e32 v10, s44
	ds_read_b32 v10, v10
	s_waitcnt lgkmcnt(0)
	v_add_u32_e32 v8, v10, v8
	s_or_b64 exec, exec, s[40:41]
	s_and_saveexec_b64 s[40:41], s[6:7]
	s_cbranch_execz .LBB82_49
.LBB82_65:                              ;   in Loop: Header=BB82_47 Depth=1
	v_mov_b32_e32 v10, s45
	ds_read_b32 v10, v10
	s_waitcnt lgkmcnt(0)
	v_add_u32_e32 v8, v10, v8
	s_or_b64 exec, exec, s[40:41]
	s_and_saveexec_b64 s[40:41], s[8:9]
	s_cbranch_execz .LBB82_50
.LBB82_66:                              ;   in Loop: Header=BB82_47 Depth=1
	v_mov_b32_e32 v10, s47
	ds_read_b32 v10, v10
	s_waitcnt lgkmcnt(0)
	v_add_u32_e32 v8, v10, v8
	s_or_b64 exec, exec, s[40:41]
	s_and_saveexec_b64 s[40:41], s[10:11]
	s_cbranch_execz .LBB82_51
.LBB82_67:                              ;   in Loop: Header=BB82_47 Depth=1
	v_mov_b32_e32 v10, s53
	ds_read_b32 v10, v10
	s_waitcnt lgkmcnt(0)
	v_add_u32_e32 v8, v10, v8
	s_or_b64 exec, exec, s[40:41]
	s_and_saveexec_b64 s[40:41], s[12:13]
	s_cbranch_execz .LBB82_52
.LBB82_68:                              ;   in Loop: Header=BB82_47 Depth=1
	v_mov_b32_e32 v10, s54
	ds_read_b32 v10, v10
	s_waitcnt lgkmcnt(0)
	v_add_u32_e32 v8, v10, v8
	s_or_b64 exec, exec, s[40:41]
	s_and_saveexec_b64 s[40:41], s[14:15]
	s_cbranch_execz .LBB82_53
.LBB82_69:                              ;   in Loop: Header=BB82_47 Depth=1
	v_mov_b32_e32 v10, s55
	ds_read_b32 v10, v10
	s_waitcnt lgkmcnt(0)
	v_add_u32_e32 v8, v10, v8
	s_or_b64 exec, exec, s[40:41]
	s_and_saveexec_b64 s[40:41], s[16:17]
	s_cbranch_execz .LBB82_54
.LBB82_70:                              ;   in Loop: Header=BB82_47 Depth=1
	v_mov_b32_e32 v10, s56
	ds_read_b32 v10, v10
	s_waitcnt lgkmcnt(0)
	v_add_u32_e32 v8, v10, v8
	s_or_b64 exec, exec, s[40:41]
	s_and_saveexec_b64 s[40:41], s[18:19]
	s_cbranch_execz .LBB82_55
.LBB82_71:                              ;   in Loop: Header=BB82_47 Depth=1
	v_mov_b32_e32 v10, s57
	ds_read_b32 v10, v10
	s_waitcnt lgkmcnt(0)
	v_add_u32_e32 v8, v10, v8
	s_or_b64 exec, exec, s[40:41]
	s_and_saveexec_b64 s[40:41], s[20:21]
	s_cbranch_execz .LBB82_56
.LBB82_72:                              ;   in Loop: Header=BB82_47 Depth=1
	v_mov_b32_e32 v10, s58
	ds_read_b32 v10, v10
	s_waitcnt lgkmcnt(0)
	v_add_u32_e32 v8, v10, v8
	s_or_b64 exec, exec, s[40:41]
	s_and_saveexec_b64 s[40:41], s[22:23]
	s_cbranch_execz .LBB82_57
.LBB82_73:                              ;   in Loop: Header=BB82_47 Depth=1
	v_mov_b32_e32 v10, s59
	ds_read_b32 v10, v10
	s_waitcnt lgkmcnt(0)
	v_add_u32_e32 v8, v10, v8
	s_or_b64 exec, exec, s[40:41]
	s_and_saveexec_b64 s[40:41], s[24:25]
	s_cbranch_execz .LBB82_58
.LBB82_74:                              ;   in Loop: Header=BB82_47 Depth=1
	v_mov_b32_e32 v10, s60
	ds_read_b32 v10, v10
	s_waitcnt lgkmcnt(0)
	v_add_u32_e32 v8, v10, v8
	s_or_b64 exec, exec, s[40:41]
	s_and_saveexec_b64 s[40:41], s[26:27]
	s_cbranch_execz .LBB82_59
.LBB82_75:                              ;   in Loop: Header=BB82_47 Depth=1
	v_mov_b32_e32 v10, s61
	ds_read_b32 v10, v10
	s_waitcnt lgkmcnt(0)
	v_add_u32_e32 v8, v10, v8
	s_or_b64 exec, exec, s[40:41]
	s_and_saveexec_b64 s[40:41], s[28:29]
	s_cbranch_execz .LBB82_60
.LBB82_76:                              ;   in Loop: Header=BB82_47 Depth=1
	v_mov_b32_e32 v10, s62
	ds_read_b32 v10, v10
	s_waitcnt lgkmcnt(0)
	v_add_u32_e32 v8, v10, v8
	s_or_b64 exec, exec, s[40:41]
	s_and_saveexec_b64 s[40:41], s[30:31]
	s_cbranch_execz .LBB82_61
.LBB82_77:                              ;   in Loop: Header=BB82_47 Depth=1
	v_mov_b32_e32 v10, s63
	ds_read_b32 v10, v10
	s_waitcnt lgkmcnt(0)
	v_add_u32_e32 v8, v10, v8
	s_or_b64 exec, exec, s[40:41]
	s_and_saveexec_b64 s[40:41], s[34:35]
	s_cbranch_execz .LBB82_62
.LBB82_78:                              ;   in Loop: Header=BB82_47 Depth=1
	v_mov_b32_e32 v10, s64
	ds_read_b32 v10, v10
	s_waitcnt lgkmcnt(0)
	v_add_u32_e32 v8, v10, v8
	s_or_b64 exec, exec, s[40:41]
	s_and_saveexec_b64 s[40:41], s[36:37]
	s_cbranch_execz .LBB82_63
.LBB82_79:                              ;   in Loop: Header=BB82_47 Depth=1
	buffer_load_dword v10, off, s[0:3], 0
	buffer_load_dword v11, off, s[0:3], 0 offset:4
	buffer_load_dword v12, off, s[0:3], 0 offset:8
	;; [unrolled: 1-line block ×3, first 2 shown]
	v_add3_u32 v14, v4, -1, v8
	v_lshl_add_u32 v15, v14, 2, 0
	v_lshl_add_u32 v14, v14, 4, 0
	v_add_u32_e32 v14, 0x10000, v14
	ds_write_b32 v15, v9
	s_waitcnt vmcnt(0)
	ds_write2_b64 v14, v[10:11], v[12:13] offset1:1
	s_or_b64 exec, exec, s[40:41]
	s_and_saveexec_b64 s[36:37], vcc
	s_cbranch_execz .LBB82_46
.LBB82_80:                              ;   in Loop: Header=BB82_47 Depth=1
	v_mov_b32_e32 v9, s65
	ds_write_b32 v9, v8
	s_branch .LBB82_46
.LBB82_81:
	s_or_b64 exec, exec, s[38:39]
	s_ashr_i32 s53, s52, 31
	s_lshl_b64 s[4:5], s[52:53], 2
	s_add_u32 s4, s42, s4
	s_addc_u32 s5, s43, s5
	s_load_dwordx2 s[4:5], s[4:5], 0x0
	s_waitcnt lgkmcnt(0)
	s_sub_i32 s18, s5, s4
	v_cmp_gt_i32_e32 vcc, s18, v0
	s_and_saveexec_b64 s[6:7], vcc
	s_cbranch_execz .LBB82_96
; %bb.82:
	s_sub_i32 s10, s4, s46
	s_add_i32 s4, s18, -2
	s_lshr_b32 s5, s4, 1
	s_add_i32 s6, s5, 1
	s_cmp_gt_u32 s18, 1
	s_cselect_b64 s[12:13], -1, 0
	s_and_b32 s19, s18, -2
	s_and_b32 s8, s6, 7
	s_cmp_gt_u32 s4, 13
	s_cselect_b64 s[4:5], -1, 0
	s_and_b32 s20, s6, -8
	s_cmp_lg_u32 s8, 0
	s_cselect_b64 s[6:7], -1, 0
	v_cndmask_b32_e64 v1, 0, 1, s[4:5]
	s_cmp_lg_u32 s18, s19
	v_cmp_ne_u32_e64 s[4:5], 1, v1
	v_cndmask_b32_e64 v1, 0, 1, s[6:7]
	s_mov_b32 s11, 0
	s_cselect_b64 s[14:15], -1, 0
	s_lshl_b32 s21, s8, 3
	s_mov_b64 s[16:17], 0
	v_cmp_ne_u32_e64 s[6:7], 1, v1
	v_mov_b32_e32 v1, s49
	v_mov_b32_e32 v4, s51
	s_branch .LBB82_84
.LBB82_83:                              ;   in Loop: Header=BB82_84 Depth=1
	v_lshl_add_u32 v3, v0, 4, 0
	v_add_u32_e32 v8, 0x10000, v3
	v_ashrrev_i32_e32 v3, 31, v2
	v_lshlrev_b64 v[6:7], 2, v[2:3]
	v_add_co_u32_e32 v6, vcc, s48, v6
	s_waitcnt lgkmcnt(0)
	v_add_u32_e32 v5, s46, v5
	v_addc_co_u32_e32 v7, vcc, v1, v7, vcc
	global_store_dword v[6:7], v5, off
	v_lshlrev_b64 v[2:3], 4, v[2:3]
	ds_read2_b64 v[6:9], v8 offset1:1
	v_add_co_u32_e32 v2, vcc, s50, v2
	v_addc_co_u32_e32 v3, vcc, v4, v3, vcc
	v_add_u32_e32 v0, 0x400, v0
	v_cmp_le_i32_e32 vcc, s18, v0
	s_or_b64 s[16:17], vcc, s[16:17]
	s_waitcnt lgkmcnt(0)
	global_store_dwordx4 v[2:3], v[6:9], off
	s_andn2_b64 exec, exec, s[16:17]
	s_cbranch_execz .LBB82_96
.LBB82_84:                              ; =>This Loop Header: Depth=1
                                        ;     Child Loop BB82_87 Depth 2
                                        ;     Child Loop BB82_92 Depth 2
	;; [unrolled: 1-line block ×3, first 2 shown]
	v_lshl_add_u32 v2, v0, 2, 0
	ds_read_b32 v5, v2
	s_and_b64 vcc, exec, s[12:13]
	s_cbranch_vccz .LBB82_89
; %bb.85:                               ;   in Loop: Header=BB82_84 Depth=1
	s_and_b64 vcc, exec, s[4:5]
	s_cbranch_vccnz .LBB82_90
; %bb.86:                               ;   in Loop: Header=BB82_84 Depth=1
	s_mov_b32 s23, 0
	v_mov_b32_e32 v2, s10
	v_mov_b32_e32 v3, 0
	s_mov_b32 s24, s20
	s_mov_b32 s22, 0
.LBB82_87:                              ;   Parent Loop BB82_84 Depth=1
                                        ; =>  This Inner Loop Header: Depth=2
	v_mov_b32_e32 v20, s23
	ds_read2_b32 v[6:7], v20 offset1:1
	ds_read2_b32 v[8:9], v20 offset0:2 offset1:3
	ds_read2_b32 v[10:11], v20 offset0:4 offset1:5
	;; [unrolled: 1-line block ×7, first 2 shown]
	s_waitcnt lgkmcnt(7)
	v_cmp_gt_i32_e32 vcc, v5, v7
	v_cndmask_b32_e64 v7, 0, 1, vcc
	v_cmp_gt_i32_e32 vcc, v5, v6
	s_waitcnt lgkmcnt(5)
	v_cmp_gt_i32_e64 s[8:9], v5, v10
	v_cndmask_b32_e64 v6, 0, 1, vcc
	v_cmp_gt_i32_e32 vcc, v5, v9
	v_cndmask_b32_e64 v9, 0, 1, s[8:9]
	v_cmp_gt_i32_e64 s[8:9], v5, v11
	v_cndmask_b32_e64 v10, 0, 1, s[8:9]
	s_waitcnt lgkmcnt(3)
	v_cmp_gt_i32_e64 s[8:9], v5, v15
	v_cndmask_b32_e64 v11, 0, 1, s[8:9]
	v_cmp_gt_i32_e64 s[8:9], v5, v14
	v_cndmask_b32_e64 v14, 0, 1, s[8:9]
	s_waitcnt lgkmcnt(1)
	v_cmp_gt_i32_e64 s[8:9], v5, v18
	v_cndmask_b32_e64 v15, 0, 1, s[8:9]
	v_cmp_gt_i32_e64 s[8:9], v5, v19
	v_cndmask_b32_e64 v18, 0, 1, s[8:9]
	v_cmp_gt_i32_e64 s[8:9], v5, v8
	v_addc_co_u32_e64 v2, s[8:9], v2, v6, s[8:9]
	v_addc_co_u32_e32 v3, vcc, v3, v7, vcc
	v_cmp_gt_i32_e32 vcc, v5, v12
	v_cmp_gt_i32_e64 s[8:9], v5, v13
	v_addc_co_u32_e64 v3, s[8:9], v3, v10, s[8:9]
	v_addc_co_u32_e32 v2, vcc, v2, v9, vcc
	v_cmp_gt_i32_e32 vcc, v5, v17
	v_cmp_gt_i32_e64 s[8:9], v5, v16
	v_addc_co_u32_e64 v2, s[8:9], v2, v14, s[8:9]
	v_addc_co_u32_e32 v3, vcc, v3, v11, vcc
	s_add_i32 s22, s22, 16
	s_add_i32 s23, s23, 64
	s_add_i32 s24, s24, -8
	s_waitcnt lgkmcnt(0)
	v_cmp_gt_i32_e32 vcc, v5, v20
	v_cmp_gt_i32_e64 s[8:9], v5, v21
	s_cmp_lg_u32 s24, 0
	v_addc_co_u32_e64 v3, s[8:9], v3, v18, s[8:9]
	v_addc_co_u32_e32 v2, vcc, v2, v15, vcc
	s_cbranch_scc1 .LBB82_87
; %bb.88:                               ;   in Loop: Header=BB82_84 Depth=1
	s_and_b64 vcc, exec, s[6:7]
	s_cbranch_vccz .LBB82_91
	s_branch .LBB82_93
.LBB82_89:                              ;   in Loop: Header=BB82_84 Depth=1
	v_mov_b32_e32 v2, s10
	s_mov_b32 s22, 0
	s_cbranch_execz .LBB82_83
	s_branch .LBB82_94
.LBB82_90:                              ;   in Loop: Header=BB82_84 Depth=1
	v_pk_mov_b32 v[2:3], s[10:11], s[10:11] op_sel:[0,1]
	s_mov_b32 s22, 0
	s_and_b64 vcc, exec, s[6:7]
	s_cbranch_vccnz .LBB82_93
.LBB82_91:                              ;   in Loop: Header=BB82_84 Depth=1
	s_lshl_b32 s8, s22, 2
	s_add_i32 s8, s8, 0
	s_mov_b32 s9, s21
.LBB82_92:                              ;   Parent Loop BB82_84 Depth=1
                                        ; =>  This Inner Loop Header: Depth=2
	v_mov_b32_e32 v6, s8
	ds_read2_b32 v[6:7], v6 offset1:1
	s_add_i32 s8, s8, 8
	s_add_i32 s9, s9, -8
	s_cmp_lg_u32 s9, 0
	s_waitcnt lgkmcnt(0)
	v_cmp_gt_i32_e32 vcc, v5, v7
	v_addc_co_u32_e32 v3, vcc, 0, v3, vcc
	v_cmp_gt_i32_e32 vcc, v5, v6
	v_addc_co_u32_e32 v2, vcc, 0, v2, vcc
	s_cbranch_scc1 .LBB82_92
.LBB82_93:                              ;   in Loop: Header=BB82_84 Depth=1
	v_add_u32_e32 v2, v2, v3
	s_mov_b32 s22, s19
	s_mov_b64 s[8:9], s[14:15]
	s_and_b64 vcc, exec, s[8:9]
	s_cbranch_vccz .LBB82_83
.LBB82_94:                              ;   in Loop: Header=BB82_84 Depth=1
	s_lshl_b32 s8, s22, 2
	s_add_i32 s8, s8, 0
.LBB82_95:                              ;   Parent Loop BB82_84 Depth=1
                                        ; =>  This Inner Loop Header: Depth=2
	v_mov_b32_e32 v3, s8
	ds_read_b32 v3, v3
	s_add_i32 s22, s22, 1
	s_add_i32 s8, s8, 4
	s_cmp_ge_i32 s22, s18
	s_waitcnt lgkmcnt(0)
	v_cmp_gt_i32_e32 vcc, v5, v3
	v_addc_co_u32_e32 v2, vcc, 0, v2, vcc
	s_cbranch_scc0 .LBB82_95
	s_branch .LBB82_83
.LBB82_96:
	s_endpgm
	.section	.rodata,"a",@progbits
	.p2align	6, 0x0
	.amdhsa_kernel _ZN9rocsparseL26csrgemm_fill_block_per_rowILj1024ELj64ELj16384ELj137ELj64Eii21rocsparse_complex_numIdEEEvT5_PKS3_S5_NS_24const_host_device_scalarIT6_EEPKT4_S5_PKS7_SB_S5_SD_S8_SB_S5_SD_SB_PS3_PS7_21rocsparse_index_base_SG_SG_SG_bbb
		.amdhsa_group_segment_fixed_size 0
		.amdhsa_private_segment_fixed_size 40
		.amdhsa_kernarg_size 172
		.amdhsa_user_sgpr_count 8
		.amdhsa_user_sgpr_private_segment_buffer 1
		.amdhsa_user_sgpr_dispatch_ptr 0
		.amdhsa_user_sgpr_queue_ptr 0
		.amdhsa_user_sgpr_kernarg_segment_ptr 1
		.amdhsa_user_sgpr_dispatch_id 0
		.amdhsa_user_sgpr_flat_scratch_init 1
		.amdhsa_user_sgpr_kernarg_preload_length 0
		.amdhsa_user_sgpr_kernarg_preload_offset 0
		.amdhsa_user_sgpr_private_segment_size 0
		.amdhsa_uses_dynamic_stack 0
		.amdhsa_system_sgpr_private_segment_wavefront_offset 1
		.amdhsa_system_sgpr_workgroup_id_x 1
		.amdhsa_system_sgpr_workgroup_id_y 0
		.amdhsa_system_sgpr_workgroup_id_z 0
		.amdhsa_system_sgpr_workgroup_info 0
		.amdhsa_system_vgpr_workitem_id 0
		.amdhsa_next_free_vgpr 34
		.amdhsa_next_free_sgpr 67
		.amdhsa_accum_offset 36
		.amdhsa_reserve_vcc 1
		.amdhsa_reserve_flat_scratch 1
		.amdhsa_float_round_mode_32 0
		.amdhsa_float_round_mode_16_64 0
		.amdhsa_float_denorm_mode_32 3
		.amdhsa_float_denorm_mode_16_64 3
		.amdhsa_dx10_clamp 1
		.amdhsa_ieee_mode 1
		.amdhsa_fp16_overflow 0
		.amdhsa_tg_split 0
		.amdhsa_exception_fp_ieee_invalid_op 0
		.amdhsa_exception_fp_denorm_src 0
		.amdhsa_exception_fp_ieee_div_zero 0
		.amdhsa_exception_fp_ieee_overflow 0
		.amdhsa_exception_fp_ieee_underflow 0
		.amdhsa_exception_fp_ieee_inexact 0
		.amdhsa_exception_int_div_zero 0
	.end_amdhsa_kernel
	.section	.text._ZN9rocsparseL26csrgemm_fill_block_per_rowILj1024ELj64ELj16384ELj137ELj64Eii21rocsparse_complex_numIdEEEvT5_PKS3_S5_NS_24const_host_device_scalarIT6_EEPKT4_S5_PKS7_SB_S5_SD_S8_SB_S5_SD_SB_PS3_PS7_21rocsparse_index_base_SG_SG_SG_bbb,"axG",@progbits,_ZN9rocsparseL26csrgemm_fill_block_per_rowILj1024ELj64ELj16384ELj137ELj64Eii21rocsparse_complex_numIdEEEvT5_PKS3_S5_NS_24const_host_device_scalarIT6_EEPKT4_S5_PKS7_SB_S5_SD_S8_SB_S5_SD_SB_PS3_PS7_21rocsparse_index_base_SG_SG_SG_bbb,comdat
.Lfunc_end82:
	.size	_ZN9rocsparseL26csrgemm_fill_block_per_rowILj1024ELj64ELj16384ELj137ELj64Eii21rocsparse_complex_numIdEEEvT5_PKS3_S5_NS_24const_host_device_scalarIT6_EEPKT4_S5_PKS7_SB_S5_SD_S8_SB_S5_SD_SB_PS3_PS7_21rocsparse_index_base_SG_SG_SG_bbb, .Lfunc_end82-_ZN9rocsparseL26csrgemm_fill_block_per_rowILj1024ELj64ELj16384ELj137ELj64Eii21rocsparse_complex_numIdEEEvT5_PKS3_S5_NS_24const_host_device_scalarIT6_EEPKT4_S5_PKS7_SB_S5_SD_S8_SB_S5_SD_SB_PS3_PS7_21rocsparse_index_base_SG_SG_SG_bbb
                                        ; -- End function
	.section	.AMDGPU.csdata,"",@progbits
; Kernel info:
; codeLenInByte = 3924
; NumSgprs: 73
; NumVgprs: 34
; NumAgprs: 0
; TotalNumVgprs: 34
; ScratchSize: 40
; MemoryBound: 0
; FloatMode: 240
; IeeeMode: 1
; LDSByteSize: 0 bytes/workgroup (compile time only)
; SGPRBlocks: 9
; VGPRBlocks: 4
; NumSGPRsForWavesPerEU: 73
; NumVGPRsForWavesPerEU: 34
; AccumOffset: 36
; Occupancy: 8
; WaveLimiterHint : 1
; COMPUTE_PGM_RSRC2:SCRATCH_EN: 1
; COMPUTE_PGM_RSRC2:USER_SGPR: 8
; COMPUTE_PGM_RSRC2:TRAP_HANDLER: 0
; COMPUTE_PGM_RSRC2:TGID_X_EN: 1
; COMPUTE_PGM_RSRC2:TGID_Y_EN: 0
; COMPUTE_PGM_RSRC2:TGID_Z_EN: 0
; COMPUTE_PGM_RSRC2:TIDIG_COMP_CNT: 0
; COMPUTE_PGM_RSRC3_GFX90A:ACCUM_OFFSET: 8
; COMPUTE_PGM_RSRC3_GFX90A:TG_SPLIT: 0
	.section	.text._ZN9rocsparseL26csrgemm_fill_block_per_rowILj1024ELj64ELj32768ELj137ELj32Eii21rocsparse_complex_numIdEEEvT5_PKS3_S5_NS_24const_host_device_scalarIT6_EEPKT4_S5_PKS7_SB_S5_SD_S8_SB_S5_SD_SB_PS3_PS7_21rocsparse_index_base_SG_SG_SG_bbb,"axG",@progbits,_ZN9rocsparseL26csrgemm_fill_block_per_rowILj1024ELj64ELj32768ELj137ELj32Eii21rocsparse_complex_numIdEEEvT5_PKS3_S5_NS_24const_host_device_scalarIT6_EEPKT4_S5_PKS7_SB_S5_SD_S8_SB_S5_SD_SB_PS3_PS7_21rocsparse_index_base_SG_SG_SG_bbb,comdat
	.globl	_ZN9rocsparseL26csrgemm_fill_block_per_rowILj1024ELj64ELj32768ELj137ELj32Eii21rocsparse_complex_numIdEEEvT5_PKS3_S5_NS_24const_host_device_scalarIT6_EEPKT4_S5_PKS7_SB_S5_SD_S8_SB_S5_SD_SB_PS3_PS7_21rocsparse_index_base_SG_SG_SG_bbb ; -- Begin function _ZN9rocsparseL26csrgemm_fill_block_per_rowILj1024ELj64ELj32768ELj137ELj32Eii21rocsparse_complex_numIdEEEvT5_PKS3_S5_NS_24const_host_device_scalarIT6_EEPKT4_S5_PKS7_SB_S5_SD_S8_SB_S5_SD_SB_PS3_PS7_21rocsparse_index_base_SG_SG_SG_bbb
	.p2align	8
	.type	_ZN9rocsparseL26csrgemm_fill_block_per_rowILj1024ELj64ELj32768ELj137ELj32Eii21rocsparse_complex_numIdEEEvT5_PKS3_S5_NS_24const_host_device_scalarIT6_EEPKT4_S5_PKS7_SB_S5_SD_S8_SB_S5_SD_SB_PS3_PS7_21rocsparse_index_base_SG_SG_SG_bbb,@function
_ZN9rocsparseL26csrgemm_fill_block_per_rowILj1024ELj64ELj32768ELj137ELj32Eii21rocsparse_complex_numIdEEEvT5_PKS3_S5_NS_24const_host_device_scalarIT6_EEPKT4_S5_PKS7_SB_S5_SD_S8_SB_S5_SD_SB_PS3_PS7_21rocsparse_index_base_SG_SG_SG_bbb: ; @_ZN9rocsparseL26csrgemm_fill_block_per_rowILj1024ELj64ELj32768ELj137ELj32Eii21rocsparse_complex_numIdEEEvT5_PKS3_S5_NS_24const_host_device_scalarIT6_EEPKT4_S5_PKS7_SB_S5_SD_S8_SB_S5_SD_SB_PS3_PS7_21rocsparse_index_base_SG_SG_SG_bbb
; %bb.0:
	s_add_u32 flat_scratch_lo, s6, s9
	s_addc_u32 flat_scratch_hi, s7, 0
	s_load_dwordx4 s[12:15], s[4:5], 0x18
	s_load_dwordx4 s[28:31], s[4:5], 0x58
	s_add_u32 s0, s0, s9
	s_load_dword s9, s[4:5], 0xa8
	s_load_dwordx4 s[72:75], s[4:5], 0x98
	s_addc_u32 s1, s1, 0
	s_waitcnt lgkmcnt(0)
	v_mov_b32_e32 v1, s13
	buffer_store_dword v1, off, s[0:3], 0 offset:20
	s_bitcmp1_b32 s9, 0
	s_cselect_b64 s[36:37], -1, 0
	s_bitcmp1_b32 s9, 16
	v_mov_b32_e32 v1, s12
	s_cselect_b64 s[6:7], -1, 0
	buffer_store_dword v1, off, s[0:3], 0 offset:16
	v_mov_b32_e32 v1, s29
	buffer_store_dword v1, off, s[0:3], 0 offset:28
	v_mov_b32_e32 v1, s28
	s_xor_b64 s[10:11], s[6:7], -1
	buffer_store_dword v1, off, s[0:3], 0 offset:24
	v_pk_mov_b32 v[2:3], 0, 0
	v_cndmask_b32_e64 v1, 0, 1, s[10:11]
	s_bitcmp0_b32 s9, 0
	v_cmp_ne_u32_e64 s[10:11], 1, v1
	v_pk_mov_b32 v[6:7], v[2:3], v[2:3] op_sel:[0,1]
	v_pk_mov_b32 v[8:9], v[2:3], v[2:3] op_sel:[0,1]
	s_cbranch_scc1 .LBB83_3
; %bb.1:
	s_mov_b64 s[16:17], src_private_base
	s_and_b64 s[18:19], s[6:7], exec
	s_cselect_b32 s16, s17, s13
	v_mov_b32_e32 v1, 16
	v_mov_b32_e32 v4, s12
	v_cndmask_b32_e64 v4, v4, v1, s[6:7]
	v_mov_b32_e32 v5, s16
	flat_load_dwordx2 v[6:7], v[4:5]
	s_and_b64 vcc, exec, s[10:11]
	v_pk_mov_b32 v[8:9], s[14:15], s[14:15] op_sel:[0,1]
	s_cbranch_vccnz .LBB83_3
; %bb.2:
	v_pk_mov_b32 v[4:5], s[12:13], s[12:13] op_sel:[0,1]
	flat_load_dwordx2 v[8:9], v[4:5] offset:8
.LBB83_3:
	s_load_dwordx4 s[12:15], s[4:5], 0x88
                                        ; implicit-def: $vgpr32 : SGPR spill to VGPR lane
	s_bitcmp1_b32 s9, 8
	s_cselect_b64 s[34:35], -1, 0
	s_bfe_u32 s9, s9, 0x10008
	s_mov_b64 s[38:39], 0
	s_waitcnt lgkmcnt(0)
	v_writelane_b32 v32, s12, 0
	v_writelane_b32 v32, s13, 1
	v_writelane_b32 v32, s14, 2
	v_writelane_b32 v32, s15, 3
	s_load_dwordx8 s[12:19], s[4:5], 0x68
	s_cmp_eq_u32 s9, 0
	v_pk_mov_b32 v[4:5], v[2:3], v[2:3] op_sel:[0,1]
	s_waitcnt lgkmcnt(0)
	v_writelane_b32 v32, s12, 4
	v_writelane_b32 v32, s13, 5
	;; [unrolled: 1-line block ×8, first 2 shown]
	s_load_dwordx4 s[20:23], s[4:5], 0x48
	s_load_dwordx4 s[24:27], s[4:5], 0x8
	s_load_dwordx8 s[12:19], s[4:5], 0x28
	s_cbranch_scc1 .LBB83_6
; %bb.4:
	s_mov_b64 s[40:41], src_private_base
	s_and_b64 s[42:43], s[6:7], exec
	s_cselect_b32 s9, s41, s29
	v_mov_b32_e32 v1, 24
	v_mov_b32_e32 v2, s28
	v_cndmask_b32_e64 v2, v2, v1, s[6:7]
	v_mov_b32_e32 v3, s9
	flat_load_dwordx2 v[4:5], v[2:3]
	s_and_b64 vcc, exec, s[10:11]
	v_pk_mov_b32 v[2:3], s[30:31], s[30:31] op_sel:[0,1]
	s_cbranch_vccnz .LBB83_6
; %bb.5:
	v_pk_mov_b32 v[2:3], s[28:29], s[28:29] op_sel:[0,1]
	flat_load_dwordx2 v[2:3], v[2:3] offset:8
.LBB83_6:
	s_load_dword s33, s[4:5], 0x0
	v_lshlrev_b32_e32 v10, 4, v0
	s_mov_b32 s4, 0
	v_or_b32_e32 v1, 0xfffffc00, v0
	v_add_u32_e32 v23, 0, v10
	v_lshl_add_u32 v22, v0, 2, 0
	s_mov_b32 s5, s4
	s_mov_b32 s6, s4
	;; [unrolled: 1-line block ×3, first 2 shown]
	v_add_u32_e32 v14, 0x20008, v23
	s_waitcnt lgkmcnt(0)
	v_mov_b32_e32 v15, s33
	v_pk_mov_b32 v[10:11], s[4:5], s[4:5] op_sel:[0,1]
	v_pk_mov_b32 v[12:13], s[6:7], s[6:7] op_sel:[0,1]
	s_movk_i32 s4, 0x7bff
	v_mov_b32_e32 v16, v22
	v_mov_b32_e32 v17, v1
.LBB83_7:                               ; =>This Inner Loop Header: Depth=1
	v_add_u32_e32 v17, 0x400, v17
	v_cmp_lt_u32_e32 vcc, s4, v17
	ds_write_b32 v16, v15
	v_add_u32_e32 v18, -8, v14
	v_add_u32_e32 v14, 0x4000, v14
	v_add_u32_e32 v16, 0x1000, v16
	s_or_b64 s[38:39], vcc, s[38:39]
	ds_write2_b64 v18, v[10:11], v[12:13] offset1:1
	s_andn2_b64 exec, exec, s[38:39]
	s_cbranch_execnz .LBB83_7
; %bb.8:
	s_or_b64 exec, exec, s[38:39]
	s_waitcnt lgkmcnt(0)
	s_barrier
	s_load_dword s4, s[24:25], 0x0
	s_mov_b32 s5, 0
	s_waitcnt lgkmcnt(0)
	s_add_i32 s4, s4, s8
	s_lshl_b64 s[4:5], s[4:5], 2
	s_add_u32 s4, s26, s4
	s_addc_u32 s5, s27, s5
	s_load_dword s4, s[4:5], 0x0
	s_and_b64 vcc, exec, s[36:37]
	s_waitcnt lgkmcnt(0)
	v_writelane_b32 v32, s4, 12
	v_writelane_b32 v32, s5, 13
	s_cbranch_vccz .LBB83_28
; %bb.9:
	v_readlane_b32 s4, v32, 12
	v_readlane_b32 s5, v32, 13
	s_mov_b32 s6, s4
	s_ashr_i32 s7, s4, 31
	v_writelane_b32 v32, s4, 12
	v_writelane_b32 v32, s5, 13
	s_lshl_b64 s[4:5], s[6:7], 2
	s_add_u32 s4, s12, s4
	s_addc_u32 s5, s13, s5
	s_load_dwordx2 s[4:5], s[4:5], 0x0
	v_lshrrev_b32_e32 v10, 6, v0
	v_subrev_u32_e32 v10, s72, v10
	s_waitcnt lgkmcnt(0)
	s_sub_i32 s38, s5, s72
	v_add_u32_e32 v10, s4, v10
	v_cmp_gt_i32_e32 vcc, s38, v10
	s_and_saveexec_b64 s[4:5], vcc
	s_cbranch_execz .LBB83_27
; %bb.10:
	v_and_b32_e32 v11, 63, v0
	v_subrev_u32_e32 v24, s73, v11
	s_mov_b64 s[6:7], 0
	v_mov_b32_e32 v25, s15
	v_mov_b32_e32 v26, s19
	s_movk_i32 s15, 0x89
	s_branch .LBB83_12
.LBB83_11:                              ;   in Loop: Header=BB83_12 Depth=1
	s_or_b64 exec, exec, s[8:9]
	v_add_u32_e32 v10, 16, v10
	v_cmp_le_i32_e32 vcc, s38, v10
	s_or_b64 s[6:7], vcc, s[6:7]
	s_andn2_b64 exec, exec, s[6:7]
	s_cbranch_execz .LBB83_27
.LBB83_12:                              ; =>This Loop Header: Depth=1
                                        ;     Child Loop BB83_15 Depth 2
                                        ;       Child Loop BB83_17 Depth 3
	v_ashrrev_i32_e32 v11, 31, v10
	v_lshlrev_b64 v[12:13], 2, v[10:11]
	v_add_co_u32_e32 v12, vcc, s14, v12
	v_addc_co_u32_e32 v13, vcc, v25, v13, vcc
	global_load_dword v12, v[12:13], off
	s_waitcnt vmcnt(0)
	v_subrev_u32_e32 v12, s72, v12
	v_ashrrev_i32_e32 v13, 31, v12
	v_lshlrev_b64 v[12:13], 2, v[12:13]
	v_add_co_u32_e32 v12, vcc, s18, v12
	v_addc_co_u32_e32 v13, vcc, v26, v13, vcc
	global_load_dwordx2 v[12:13], v[12:13], off
	s_waitcnt vmcnt(0)
	v_subrev_u32_e32 v27, s73, v13
	v_add_u32_e32 v12, v12, v24
	v_cmp_lt_i32_e32 vcc, v12, v27
	s_and_saveexec_b64 s[8:9], vcc
	s_cbranch_execz .LBB83_11
; %bb.13:                               ;   in Loop: Header=BB83_12 Depth=1
	v_lshlrev_b64 v[14:15], 4, v[10:11]
	v_mov_b32_e32 v11, s17
	v_add_co_u32_e32 v14, vcc, s16, v14
	v_addc_co_u32_e32 v15, vcc, v11, v15, vcc
	global_load_dwordx4 v[18:21], v[14:15], off
	s_mov_b64 s[10:11], 0
	s_waitcnt vmcnt(0)
	v_mul_f64 v[14:15], v[20:21], -v[8:9]
	v_mul_f64 v[16:17], v[6:7], v[20:21]
	v_fmac_f64_e32 v[14:15], v[6:7], v[18:19]
	v_fmac_f64_e32 v[16:17], v[8:9], v[18:19]
	s_branch .LBB83_15
.LBB83_14:                              ;   in Loop: Header=BB83_15 Depth=2
	s_or_b64 exec, exec, s[12:13]
	v_add_u32_e32 v12, 64, v12
	v_cmp_ge_i32_e32 vcc, v12, v27
	s_or_b64 s[10:11], vcc, s[10:11]
	s_andn2_b64 exec, exec, s[10:11]
	s_cbranch_execz .LBB83_11
.LBB83_15:                              ;   Parent Loop BB83_12 Depth=1
                                        ; =>  This Loop Header: Depth=2
                                        ;       Child Loop BB83_17 Depth 3
	v_ashrrev_i32_e32 v13, 31, v12
	v_lshlrev_b64 v[18:19], 2, v[12:13]
	v_mov_b32_e32 v11, s21
	v_add_co_u32_e32 v18, vcc, s20, v18
	v_addc_co_u32_e32 v19, vcc, v11, v19, vcc
	global_load_dword v11, v[18:19], off
	v_lshlrev_b64 v[18:19], 4, v[12:13]
	v_mov_b32_e32 v13, s23
	v_add_co_u32_e32 v18, vcc, s22, v18
	v_addc_co_u32_e32 v19, vcc, v13, v19, vcc
	global_load_dwordx4 v[28:31], v[18:19], off
	s_mov_b64 s[12:13], 0
	s_waitcnt vmcnt(1)
	v_subrev_u32_e32 v11, s73, v11
	v_mul_lo_u32 v13, v11, s15
	v_and_b32_e32 v13, 0x7fff, v13
	s_waitcnt vmcnt(0)
	v_mul_f64 v[18:19], v[30:31], -v[16:17]
	v_mul_f64 v[20:21], v[14:15], v[30:31]
	v_fmac_f64_e32 v[18:19], v[14:15], v[28:29]
	v_fmac_f64_e32 v[20:21], v[16:17], v[28:29]
	s_branch .LBB83_17
.LBB83_16:                              ;   in Loop: Header=BB83_17 Depth=3
	s_or_b64 exec, exec, s[24:25]
	s_xor_b64 s[24:25], s[26:27], -1
	s_and_b64 s[24:25], exec, s[24:25]
	s_or_b64 s[12:13], s[24:25], s[12:13]
	s_andn2_b64 exec, exec, s[12:13]
	s_cbranch_execz .LBB83_14
.LBB83_17:                              ;   Parent Loop BB83_12 Depth=1
                                        ;     Parent Loop BB83_15 Depth=2
                                        ; =>    This Inner Loop Header: Depth=3
	v_lshl_add_u32 v28, v13, 2, 0
	ds_read_b32 v29, v28
                                        ; implicit-def: $sgpr26_sgpr27
	s_waitcnt lgkmcnt(0)
	v_cmp_ne_u32_e32 vcc, v29, v11
	s_and_saveexec_b64 s[24:25], vcc
	s_xor_b64 s[24:25], exec, s[24:25]
	s_cbranch_execz .LBB83_25
; %bb.18:                               ;   in Loop: Header=BB83_17 Depth=3
	v_cmp_ne_u32_e32 vcc, s33, v29
                                        ; implicit-def: $sgpr26_sgpr27
	s_and_saveexec_b64 s[28:29], vcc
	s_xor_b64 s[28:29], exec, s[28:29]
; %bb.19:                               ;   in Loop: Header=BB83_17 Depth=3
	v_add_u32_e32 v13, 1, v13
	v_and_b32_e32 v13, 0x7fff, v13
	s_mov_b64 s[26:27], -1
                                        ; implicit-def: $vgpr28
; %bb.20:                               ;   in Loop: Header=BB83_17 Depth=3
	s_andn2_saveexec_b64 s[28:29], s[28:29]
	s_cbranch_execz .LBB83_24
; %bb.21:                               ;   in Loop: Header=BB83_17 Depth=3
	v_mov_b32_e32 v29, s33
	ds_cmpst_rtn_b32 v28, v28, v29, v11
	s_mov_b64 s[36:37], -1
	s_waitcnt lgkmcnt(0)
	v_cmp_eq_u32_e32 vcc, s33, v28
	s_and_saveexec_b64 s[30:31], vcc
	s_cbranch_execz .LBB83_23
; %bb.22:                               ;   in Loop: Header=BB83_17 Depth=3
	v_lshl_add_u32 v28, v13, 4, 0
	v_add_u32_e32 v28, 0x20000, v28
	ds_add_f64 v28, v[18:19]
	ds_add_f64 v28, v[20:21] offset:8
	s_xor_b64 s[36:37], exec, -1
.LBB83_23:                              ;   in Loop: Header=BB83_17 Depth=3
	s_or_b64 exec, exec, s[30:31]
	s_andn2_b64 s[26:27], s[26:27], exec
	s_and_b64 s[30:31], s[36:37], exec
	s_or_b64 s[26:27], s[26:27], s[30:31]
.LBB83_24:                              ;   in Loop: Header=BB83_17 Depth=3
	s_or_b64 exec, exec, s[28:29]
	s_and_b64 s[26:27], s[26:27], exec
.LBB83_25:                              ;   in Loop: Header=BB83_17 Depth=3
	s_andn2_saveexec_b64 s[24:25], s[24:25]
	s_cbranch_execz .LBB83_16
; %bb.26:                               ;   in Loop: Header=BB83_17 Depth=3
	v_lshl_add_u32 v28, v13, 4, 0
	v_add_u32_e32 v28, 0x20000, v28
	ds_add_f64 v28, v[18:19]
	ds_add_f64 v28, v[20:21] offset:8
	s_andn2_b64 s[26:27], s[26:27], exec
	s_branch .LBB83_16
.LBB83_27:
	s_or_b64 exec, exec, s[4:5]
.LBB83_28:
	s_andn2_b64 vcc, exec, s[34:35]
	s_cbranch_vccnz .LBB83_45
; %bb.29:
	v_readlane_b32 s4, v32, 12
	v_readlane_b32 s5, v32, 13
	s_mov_b32 s6, s4
	s_ashr_i32 s7, s4, 31
	v_writelane_b32 v32, s4, 12
	v_writelane_b32 v32, s5, 13
	s_lshl_b64 s[4:5], s[6:7], 2
	v_readlane_b32 s8, v32, 4
	v_readlane_b32 s9, v32, 5
	s_add_u32 s4, s8, s4
	s_addc_u32 s5, s9, s5
	s_load_dwordx2 s[4:5], s[4:5], 0x0
	s_waitcnt vmcnt(0)
	v_subrev_u32_e32 v6, s75, v0
	v_readlane_b32 s10, v32, 6
	v_readlane_b32 s11, v32, 7
	;; [unrolled: 1-line block ×3, first 2 shown]
	s_waitcnt lgkmcnt(0)
	s_sub_i32 s20, s5, s75
	v_add_u32_e32 v6, s4, v6
	v_cmp_gt_i32_e32 vcc, s20, v6
	v_readlane_b32 s13, v32, 9
	v_readlane_b32 s14, v32, 10
	;; [unrolled: 1-line block ×3, first 2 shown]
	s_and_saveexec_b64 s[4:5], vcc
	s_cbranch_execz .LBB83_44
; %bb.30:
	v_readlane_b32 s8, v32, 4
	v_readlane_b32 s11, v32, 7
	;; [unrolled: 1-line block ×3, first 2 shown]
	s_mov_b64 s[6:7], 0
	v_mov_b32_e32 v12, s11
	v_mov_b32_e32 v13, s13
	s_movk_i32 s21, 0x89
	v_readlane_b32 s9, v32, 5
	v_readlane_b32 s10, v32, 6
	;; [unrolled: 1-line block ×5, first 2 shown]
	s_branch .LBB83_32
.LBB83_31:                              ;   in Loop: Header=BB83_32 Depth=1
	s_or_b64 exec, exec, s[8:9]
	v_add_u32_e32 v6, 0x400, v6
	v_cmp_le_i32_e32 vcc, s20, v6
	s_or_b64 s[6:7], vcc, s[6:7]
	s_andn2_b64 exec, exec, s[6:7]
	s_cbranch_execz .LBB83_44
.LBB83_32:                              ; =>This Loop Header: Depth=1
                                        ;     Child Loop BB83_34 Depth 2
	v_ashrrev_i32_e32 v7, 31, v6
	v_readlane_b32 s8, v32, 4
	v_lshlrev_b64 v[8:9], 2, v[6:7]
	v_readlane_b32 s10, v32, 6
	v_add_co_u32_e32 v8, vcc, s10, v8
	v_addc_co_u32_e32 v9, vcc, v12, v9, vcc
	v_readlane_b32 s12, v32, 8
	global_load_dword v10, v[8:9], off
	v_lshlrev_b64 v[8:9], 4, v[6:7]
	v_add_co_u32_e32 v8, vcc, s12, v8
	v_addc_co_u32_e32 v9, vcc, v13, v9, vcc
	global_load_dwordx4 v[14:17], v[8:9], off
	v_readlane_b32 s9, v32, 5
	s_mov_b64 s[8:9], 0
	v_readlane_b32 s11, v32, 7
	v_readlane_b32 s13, v32, 9
	;; [unrolled: 1-line block ×4, first 2 shown]
	s_waitcnt vmcnt(1)
	v_subrev_u32_e32 v7, s75, v10
	s_waitcnt vmcnt(0)
	v_mul_f64 v[8:9], v[16:17], -v[2:3]
	v_mul_f64 v[10:11], v[4:5], v[16:17]
	v_fmac_f64_e32 v[8:9], v[4:5], v[14:15]
	v_fmac_f64_e32 v[10:11], v[2:3], v[14:15]
	v_mul_lo_u32 v14, v7, s21
	v_and_b32_e32 v14, 0x7fff, v14
	s_branch .LBB83_34
.LBB83_33:                              ;   in Loop: Header=BB83_34 Depth=2
	s_or_b64 exec, exec, s[10:11]
	s_xor_b64 s[10:11], s[12:13], -1
	s_and_b64 s[10:11], exec, s[10:11]
	s_or_b64 s[8:9], s[10:11], s[8:9]
	s_andn2_b64 exec, exec, s[8:9]
	s_cbranch_execz .LBB83_31
.LBB83_34:                              ;   Parent Loop BB83_32 Depth=1
                                        ; =>  This Inner Loop Header: Depth=2
	v_lshl_add_u32 v15, v14, 2, 0
	ds_read_b32 v16, v15
                                        ; implicit-def: $sgpr12_sgpr13
	s_waitcnt lgkmcnt(0)
	v_cmp_ne_u32_e32 vcc, v16, v7
	s_and_saveexec_b64 s[10:11], vcc
	s_xor_b64 s[10:11], exec, s[10:11]
	s_cbranch_execz .LBB83_42
; %bb.35:                               ;   in Loop: Header=BB83_34 Depth=2
	v_cmp_ne_u32_e32 vcc, s33, v16
                                        ; implicit-def: $sgpr12_sgpr13
	s_and_saveexec_b64 s[14:15], vcc
	s_xor_b64 s[14:15], exec, s[14:15]
; %bb.36:                               ;   in Loop: Header=BB83_34 Depth=2
	v_add_u32_e32 v14, 1, v14
	v_and_b32_e32 v14, 0x7fff, v14
	s_mov_b64 s[12:13], -1
                                        ; implicit-def: $vgpr15
; %bb.37:                               ;   in Loop: Header=BB83_34 Depth=2
	s_andn2_saveexec_b64 s[14:15], s[14:15]
	s_cbranch_execz .LBB83_41
; %bb.38:                               ;   in Loop: Header=BB83_34 Depth=2
	v_mov_b32_e32 v16, s33
	ds_cmpst_rtn_b32 v15, v15, v16, v7
	s_mov_b64 s[18:19], -1
	s_waitcnt lgkmcnt(0)
	v_cmp_eq_u32_e32 vcc, s33, v15
	s_and_saveexec_b64 s[16:17], vcc
	s_cbranch_execz .LBB83_40
; %bb.39:                               ;   in Loop: Header=BB83_34 Depth=2
	v_lshl_add_u32 v15, v14, 4, 0
	v_add_u32_e32 v15, 0x20000, v15
	ds_add_f64 v15, v[8:9]
	ds_add_f64 v15, v[10:11] offset:8
	s_xor_b64 s[18:19], exec, -1
.LBB83_40:                              ;   in Loop: Header=BB83_34 Depth=2
	s_or_b64 exec, exec, s[16:17]
	s_andn2_b64 s[12:13], s[12:13], exec
	s_and_b64 s[16:17], s[18:19], exec
	s_or_b64 s[12:13], s[12:13], s[16:17]
.LBB83_41:                              ;   in Loop: Header=BB83_34 Depth=2
	s_or_b64 exec, exec, s[14:15]
	s_and_b64 s[12:13], s[12:13], exec
.LBB83_42:                              ;   in Loop: Header=BB83_34 Depth=2
	s_andn2_saveexec_b64 s[10:11], s[10:11]
	s_cbranch_execz .LBB83_33
; %bb.43:                               ;   in Loop: Header=BB83_34 Depth=2
	v_lshl_add_u32 v15, v14, 4, 0
	v_add_u32_e32 v15, 0x20000, v15
	ds_add_f64 v15, v[8:9]
	ds_add_f64 v15, v[10:11] offset:8
	s_andn2_b64 s[12:13], s[12:13], exec
	s_branch .LBB83_33
.LBB83_44:
	s_or_b64 exec, exec, s[4:5]
.LBB83_45:
	s_add_i32 s4, 0, 0xa0000
	v_writelane_b32 v32, s4, 14
	s_add_i32 s64, 0, 0xa0004
	v_writelane_b32 v32, s64, 15
	;; [unrolled: 2-line block ×5, first 2 shown]
	s_add_i32 s64, 0, 0xa0014
	s_waitcnt vmcnt(0)
	v_lshrrev_b32_e32 v5, 3, v0
	v_writelane_b32 v32, s64, 19
	s_add_i32 s64, 0, 0xa0018
	v_mbcnt_lo_u32_b32 v2, -1, 0
	v_and_b32_e32 v5, 0x7c, v5
	v_writelane_b32 v32, s64, 20
	s_add_i32 s64, 0, 0xa001c
	v_mbcnt_hi_u32_b32 v2, -1, v2
	v_add_u32_e32 v5, s4, v5
	s_movk_i32 s4, 0x3ff
	v_writelane_b32 v32, s64, 21
	s_add_i32 s64, 0, 0xa0020
	v_sub_u32_e32 v2, 63, v2
	v_cmp_eq_u32_e32 vcc, s4, v0
	s_movk_i32 s4, 0x5f
	s_movk_i32 s6, 0x7f
	s_movk_i32 s8, 0x9f
	s_movk_i32 s10, 0xbf
	s_movk_i32 s12, 0xdf
	s_movk_i32 s14, 0xff
	s_movk_i32 s16, 0x11f
	s_movk_i32 s18, 0x13f
	s_movk_i32 s20, 0x15f
	s_movk_i32 s22, 0x17f
	s_movk_i32 s24, 0x19f
	s_movk_i32 s26, 0x1bf
	s_movk_i32 s28, 0x1df
	s_movk_i32 s30, 0x1ff
	s_movk_i32 s34, 0x21f
	s_movk_i32 s36, 0x23f
	s_movk_i32 s38, 0x25f
	s_movk_i32 s40, 0x27f
	s_movk_i32 s42, 0x29f
	s_movk_i32 s44, 0x2bf
	s_movk_i32 s46, 0x2df
	s_movk_i32 s48, 0x2ff
	s_movk_i32 s50, 0x31f
	s_movk_i32 s52, 0x33f
	s_movk_i32 s54, 0x35f
	s_movk_i32 s56, 0x37f
	s_movk_i32 s58, 0x39f
	s_movk_i32 s60, 0x3bf
	s_movk_i32 s62, 0x3df
	v_writelane_b32 v32, s64, 22
	s_add_i32 s64, 0, 0xa0024
	v_mov_b32_e32 v4, 0
	v_lshrrev_b64 v[2:3], v2, -1
	v_cmp_lt_u32_e64 s[4:5], s4, v0
	v_cmp_lt_u32_e64 s[6:7], s6, v0
	;; [unrolled: 1-line block ×29, first 2 shown]
	v_add_u32_e32 v6, 0x20000, v23
	v_writelane_b32 v32, s64, 23
	s_add_i32 s92, 0, 0xa0028
	s_add_i32 s93, 0, 0xa002c
	;; [unrolled: 1-line block ×22, first 2 shown]
	s_movk_i32 s89, 0x7bff
	v_cmp_lt_u32_e64 s[64:65], 31, v0
	v_cmp_lt_u32_e64 s[66:67], 63, v0
	s_mov_b64 s[72:73], 0
	s_waitcnt lgkmcnt(0)
	s_barrier
	s_branch .LBB83_47
.LBB83_46:                              ;   in Loop: Header=BB83_47 Depth=1
	s_or_b64 exec, exec, s[68:69]
	v_mov_b32_e32 v7, s88
	s_waitcnt lgkmcnt(0)
	s_barrier
	ds_read_b32 v7, v7
	v_add_u32_e32 v1, 0x400, v1
	v_cmp_lt_u32_e64 s[68:69], s89, v1
	v_add_u32_e32 v6, 0x4000, v6
	s_or_b64 s[72:73], s[68:69], s[72:73]
	s_waitcnt lgkmcnt(0)
	v_add_u32_e32 v4, v7, v4
	v_add_u32_e32 v22, 0x1000, v22
	s_andn2_b64 exec, exec, s[72:73]
	s_cbranch_execz .LBB83_113
.LBB83_47:                              ; =>This Inner Loop Header: Depth=1
	ds_read2_b64 v[10:13], v6 offset1:1
	ds_read_b32 v8, v22
	s_waitcnt lgkmcnt(1)
	buffer_store_dword v13, off, s[0:3], 0 offset:12
	buffer_store_dword v12, off, s[0:3], 0 offset:8
	;; [unrolled: 1-line block ×3, first 2 shown]
	buffer_store_dword v10, off, s[0:3], 0
	s_waitcnt lgkmcnt(0)
	v_cmp_gt_i32_e64 s[68:69], s33, v8
	v_and_b32_e32 v9, s68, v2
	s_bcnt1_i32_b64 s82, s[68:69]
	v_and_b32_e32 v7, s69, v3
	v_bcnt_u32_b32 v9, v9, 0
	v_bcnt_u32_b32 v7, v7, v9
	v_mov_b32_e32 v9, s82
	s_barrier
	ds_write_b32 v5, v9
	s_waitcnt lgkmcnt(0)
	s_barrier
	s_and_saveexec_b64 s[82:83], s[64:65]
	s_cbranch_execnz .LBB83_80
; %bb.48:                               ;   in Loop: Header=BB83_47 Depth=1
	s_or_b64 exec, exec, s[82:83]
	s_and_saveexec_b64 s[82:83], s[66:67]
	s_cbranch_execnz .LBB83_81
.LBB83_49:                              ;   in Loop: Header=BB83_47 Depth=1
	s_or_b64 exec, exec, s[82:83]
	s_and_saveexec_b64 s[82:83], s[4:5]
	s_cbranch_execnz .LBB83_82
.LBB83_50:                              ;   in Loop: Header=BB83_47 Depth=1
	s_or_b64 exec, exec, s[82:83]
	s_and_saveexec_b64 s[82:83], s[6:7]
	s_cbranch_execnz .LBB83_83
.LBB83_51:                              ;   in Loop: Header=BB83_47 Depth=1
	s_or_b64 exec, exec, s[82:83]
	s_and_saveexec_b64 s[82:83], s[8:9]
	s_cbranch_execnz .LBB83_84
.LBB83_52:                              ;   in Loop: Header=BB83_47 Depth=1
	s_or_b64 exec, exec, s[82:83]
	s_and_saveexec_b64 s[82:83], s[10:11]
	s_cbranch_execnz .LBB83_85
.LBB83_53:                              ;   in Loop: Header=BB83_47 Depth=1
	s_or_b64 exec, exec, s[82:83]
	s_and_saveexec_b64 s[82:83], s[12:13]
	s_cbranch_execnz .LBB83_86
.LBB83_54:                              ;   in Loop: Header=BB83_47 Depth=1
	s_or_b64 exec, exec, s[82:83]
	s_and_saveexec_b64 s[82:83], s[14:15]
	s_cbranch_execnz .LBB83_87
.LBB83_55:                              ;   in Loop: Header=BB83_47 Depth=1
	s_or_b64 exec, exec, s[82:83]
	s_and_saveexec_b64 s[82:83], s[16:17]
	s_cbranch_execnz .LBB83_88
.LBB83_56:                              ;   in Loop: Header=BB83_47 Depth=1
	s_or_b64 exec, exec, s[82:83]
	s_and_saveexec_b64 s[82:83], s[18:19]
	s_cbranch_execnz .LBB83_89
.LBB83_57:                              ;   in Loop: Header=BB83_47 Depth=1
	s_or_b64 exec, exec, s[82:83]
	s_and_saveexec_b64 s[82:83], s[20:21]
	s_cbranch_execnz .LBB83_90
.LBB83_58:                              ;   in Loop: Header=BB83_47 Depth=1
	s_or_b64 exec, exec, s[82:83]
	s_and_saveexec_b64 s[82:83], s[22:23]
	s_cbranch_execnz .LBB83_91
.LBB83_59:                              ;   in Loop: Header=BB83_47 Depth=1
	s_or_b64 exec, exec, s[82:83]
	s_and_saveexec_b64 s[82:83], s[24:25]
	s_cbranch_execnz .LBB83_92
.LBB83_60:                              ;   in Loop: Header=BB83_47 Depth=1
	s_or_b64 exec, exec, s[82:83]
	s_and_saveexec_b64 s[82:83], s[26:27]
	s_cbranch_execnz .LBB83_93
.LBB83_61:                              ;   in Loop: Header=BB83_47 Depth=1
	s_or_b64 exec, exec, s[82:83]
	s_and_saveexec_b64 s[82:83], s[28:29]
	s_cbranch_execnz .LBB83_94
.LBB83_62:                              ;   in Loop: Header=BB83_47 Depth=1
	s_or_b64 exec, exec, s[82:83]
	s_and_saveexec_b64 s[82:83], s[30:31]
	s_cbranch_execnz .LBB83_95
.LBB83_63:                              ;   in Loop: Header=BB83_47 Depth=1
	s_or_b64 exec, exec, s[82:83]
	s_and_saveexec_b64 s[82:83], s[34:35]
	s_cbranch_execnz .LBB83_96
.LBB83_64:                              ;   in Loop: Header=BB83_47 Depth=1
	s_or_b64 exec, exec, s[82:83]
	s_and_saveexec_b64 s[82:83], s[36:37]
	s_cbranch_execnz .LBB83_97
.LBB83_65:                              ;   in Loop: Header=BB83_47 Depth=1
	s_or_b64 exec, exec, s[82:83]
	s_and_saveexec_b64 s[82:83], s[38:39]
	s_cbranch_execnz .LBB83_98
.LBB83_66:                              ;   in Loop: Header=BB83_47 Depth=1
	s_or_b64 exec, exec, s[82:83]
	s_and_saveexec_b64 s[82:83], s[40:41]
	s_cbranch_execnz .LBB83_99
.LBB83_67:                              ;   in Loop: Header=BB83_47 Depth=1
	s_or_b64 exec, exec, s[82:83]
	s_and_saveexec_b64 s[82:83], s[42:43]
	s_cbranch_execnz .LBB83_100
.LBB83_68:                              ;   in Loop: Header=BB83_47 Depth=1
	s_or_b64 exec, exec, s[82:83]
	s_and_saveexec_b64 s[82:83], s[44:45]
	s_cbranch_execnz .LBB83_101
.LBB83_69:                              ;   in Loop: Header=BB83_47 Depth=1
	s_or_b64 exec, exec, s[82:83]
	s_and_saveexec_b64 s[82:83], s[46:47]
	s_cbranch_execnz .LBB83_102
.LBB83_70:                              ;   in Loop: Header=BB83_47 Depth=1
	s_or_b64 exec, exec, s[82:83]
	s_and_saveexec_b64 s[82:83], s[48:49]
	s_cbranch_execnz .LBB83_103
.LBB83_71:                              ;   in Loop: Header=BB83_47 Depth=1
	s_or_b64 exec, exec, s[82:83]
	s_and_saveexec_b64 s[82:83], s[50:51]
	s_cbranch_execnz .LBB83_104
.LBB83_72:                              ;   in Loop: Header=BB83_47 Depth=1
	s_or_b64 exec, exec, s[82:83]
	s_and_saveexec_b64 s[82:83], s[52:53]
	s_cbranch_execnz .LBB83_105
.LBB83_73:                              ;   in Loop: Header=BB83_47 Depth=1
	s_or_b64 exec, exec, s[82:83]
	s_and_saveexec_b64 s[82:83], s[54:55]
	s_cbranch_execnz .LBB83_106
.LBB83_74:                              ;   in Loop: Header=BB83_47 Depth=1
	s_or_b64 exec, exec, s[82:83]
	s_and_saveexec_b64 s[82:83], s[56:57]
	s_cbranch_execnz .LBB83_107
.LBB83_75:                              ;   in Loop: Header=BB83_47 Depth=1
	s_or_b64 exec, exec, s[82:83]
	s_and_saveexec_b64 s[82:83], s[58:59]
	s_cbranch_execnz .LBB83_108
.LBB83_76:                              ;   in Loop: Header=BB83_47 Depth=1
	s_or_b64 exec, exec, s[82:83]
	s_and_saveexec_b64 s[82:83], s[60:61]
	s_cbranch_execnz .LBB83_109
.LBB83_77:                              ;   in Loop: Header=BB83_47 Depth=1
	s_or_b64 exec, exec, s[82:83]
	s_and_saveexec_b64 s[82:83], s[62:63]
	s_cbranch_execnz .LBB83_110
.LBB83_78:                              ;   in Loop: Header=BB83_47 Depth=1
	s_or_b64 exec, exec, s[82:83]
	s_and_saveexec_b64 s[82:83], s[68:69]
	s_cbranch_execnz .LBB83_111
.LBB83_79:                              ;   in Loop: Header=BB83_47 Depth=1
	s_or_b64 exec, exec, s[82:83]
	s_and_saveexec_b64 s[68:69], vcc
	s_cbranch_execz .LBB83_46
	s_branch .LBB83_112
.LBB83_80:                              ;   in Loop: Header=BB83_47 Depth=1
	v_readlane_b32 s90, v32, 14
	v_mov_b32_e32 v9, s90
	ds_read_b32 v9, v9
	s_waitcnt lgkmcnt(0)
	v_add_u32_e32 v7, v9, v7
	s_or_b64 exec, exec, s[82:83]
	s_and_saveexec_b64 s[82:83], s[66:67]
	s_cbranch_execz .LBB83_49
.LBB83_81:                              ;   in Loop: Header=BB83_47 Depth=1
	v_readlane_b32 s90, v32, 15
	v_mov_b32_e32 v9, s90
	ds_read_b32 v9, v9
	s_waitcnt lgkmcnt(0)
	v_add_u32_e32 v7, v9, v7
	s_or_b64 exec, exec, s[82:83]
	s_and_saveexec_b64 s[82:83], s[4:5]
	s_cbranch_execz .LBB83_50
.LBB83_82:                              ;   in Loop: Header=BB83_47 Depth=1
	v_readlane_b32 s90, v32, 16
	v_mov_b32_e32 v9, s90
	ds_read_b32 v9, v9
	s_waitcnt lgkmcnt(0)
	v_add_u32_e32 v7, v9, v7
	s_or_b64 exec, exec, s[82:83]
	s_and_saveexec_b64 s[82:83], s[6:7]
	s_cbranch_execz .LBB83_51
.LBB83_83:                              ;   in Loop: Header=BB83_47 Depth=1
	v_readlane_b32 s90, v32, 17
	v_mov_b32_e32 v9, s90
	ds_read_b32 v9, v9
	s_waitcnt lgkmcnt(0)
	v_add_u32_e32 v7, v9, v7
	s_or_b64 exec, exec, s[82:83]
	s_and_saveexec_b64 s[82:83], s[8:9]
	s_cbranch_execz .LBB83_52
.LBB83_84:                              ;   in Loop: Header=BB83_47 Depth=1
	v_readlane_b32 s90, v32, 18
	v_mov_b32_e32 v9, s90
	ds_read_b32 v9, v9
	s_waitcnt lgkmcnt(0)
	v_add_u32_e32 v7, v9, v7
	s_or_b64 exec, exec, s[82:83]
	s_and_saveexec_b64 s[82:83], s[10:11]
	s_cbranch_execz .LBB83_53
.LBB83_85:                              ;   in Loop: Header=BB83_47 Depth=1
	v_readlane_b32 s90, v32, 19
	v_mov_b32_e32 v9, s90
	ds_read_b32 v9, v9
	s_waitcnt lgkmcnt(0)
	v_add_u32_e32 v7, v9, v7
	s_or_b64 exec, exec, s[82:83]
	s_and_saveexec_b64 s[82:83], s[12:13]
	s_cbranch_execz .LBB83_54
.LBB83_86:                              ;   in Loop: Header=BB83_47 Depth=1
	v_readlane_b32 s90, v32, 20
	v_mov_b32_e32 v9, s90
	ds_read_b32 v9, v9
	s_waitcnt lgkmcnt(0)
	v_add_u32_e32 v7, v9, v7
	s_or_b64 exec, exec, s[82:83]
	s_and_saveexec_b64 s[82:83], s[14:15]
	s_cbranch_execz .LBB83_55
.LBB83_87:                              ;   in Loop: Header=BB83_47 Depth=1
	v_readlane_b32 s90, v32, 21
	v_mov_b32_e32 v9, s90
	ds_read_b32 v9, v9
	s_waitcnt lgkmcnt(0)
	v_add_u32_e32 v7, v9, v7
	s_or_b64 exec, exec, s[82:83]
	s_and_saveexec_b64 s[82:83], s[16:17]
	s_cbranch_execz .LBB83_56
.LBB83_88:                              ;   in Loop: Header=BB83_47 Depth=1
	v_readlane_b32 s90, v32, 22
	v_mov_b32_e32 v9, s90
	ds_read_b32 v9, v9
	s_waitcnt lgkmcnt(0)
	v_add_u32_e32 v7, v9, v7
	s_or_b64 exec, exec, s[82:83]
	s_and_saveexec_b64 s[82:83], s[18:19]
	s_cbranch_execz .LBB83_57
.LBB83_89:                              ;   in Loop: Header=BB83_47 Depth=1
	v_readlane_b32 s90, v32, 23
	v_mov_b32_e32 v9, s90
	ds_read_b32 v9, v9
	s_waitcnt lgkmcnt(0)
	v_add_u32_e32 v7, v9, v7
	s_or_b64 exec, exec, s[82:83]
	s_and_saveexec_b64 s[82:83], s[20:21]
	s_cbranch_execz .LBB83_58
.LBB83_90:                              ;   in Loop: Header=BB83_47 Depth=1
	v_mov_b32_e32 v9, s92
	ds_read_b32 v9, v9
	s_waitcnt lgkmcnt(0)
	v_add_u32_e32 v7, v9, v7
	s_or_b64 exec, exec, s[82:83]
	s_and_saveexec_b64 s[82:83], s[22:23]
	s_cbranch_execz .LBB83_59
.LBB83_91:                              ;   in Loop: Header=BB83_47 Depth=1
	v_mov_b32_e32 v9, s93
	ds_read_b32 v9, v9
	s_waitcnt lgkmcnt(0)
	v_add_u32_e32 v7, v9, v7
	s_or_b64 exec, exec, s[82:83]
	s_and_saveexec_b64 s[82:83], s[24:25]
	s_cbranch_execz .LBB83_60
.LBB83_92:                              ;   in Loop: Header=BB83_47 Depth=1
	v_mov_b32_e32 v9, s94
	ds_read_b32 v9, v9
	s_waitcnt lgkmcnt(0)
	v_add_u32_e32 v7, v9, v7
	s_or_b64 exec, exec, s[82:83]
	s_and_saveexec_b64 s[82:83], s[26:27]
	s_cbranch_execz .LBB83_61
.LBB83_93:                              ;   in Loop: Header=BB83_47 Depth=1
	v_mov_b32_e32 v9, s95
	ds_read_b32 v9, v9
	s_waitcnt lgkmcnt(0)
	v_add_u32_e32 v7, v9, v7
	s_or_b64 exec, exec, s[82:83]
	s_and_saveexec_b64 s[82:83], s[28:29]
	s_cbranch_execz .LBB83_62
.LBB83_94:                              ;   in Loop: Header=BB83_47 Depth=1
	v_mov_b32_e32 v9, s96
	ds_read_b32 v9, v9
	s_waitcnt lgkmcnt(0)
	v_add_u32_e32 v7, v9, v7
	s_or_b64 exec, exec, s[82:83]
	s_and_saveexec_b64 s[82:83], s[30:31]
	s_cbranch_execz .LBB83_63
.LBB83_95:                              ;   in Loop: Header=BB83_47 Depth=1
	v_mov_b32_e32 v9, s97
	ds_read_b32 v9, v9
	s_waitcnt lgkmcnt(0)
	v_add_u32_e32 v7, v9, v7
	s_or_b64 exec, exec, s[82:83]
	s_and_saveexec_b64 s[82:83], s[34:35]
	s_cbranch_execz .LBB83_64
.LBB83_96:                              ;   in Loop: Header=BB83_47 Depth=1
	v_mov_b32_e32 v9, s98
	ds_read_b32 v9, v9
	s_waitcnt lgkmcnt(0)
	v_add_u32_e32 v7, v9, v7
	s_or_b64 exec, exec, s[82:83]
	s_and_saveexec_b64 s[82:83], s[36:37]
	s_cbranch_execz .LBB83_65
.LBB83_97:                              ;   in Loop: Header=BB83_47 Depth=1
	v_mov_b32_e32 v9, s99
	ds_read_b32 v9, v9
	s_waitcnt lgkmcnt(0)
	v_add_u32_e32 v7, v9, v7
	s_or_b64 exec, exec, s[82:83]
	s_and_saveexec_b64 s[82:83], s[38:39]
	s_cbranch_execz .LBB83_66
.LBB83_98:                              ;   in Loop: Header=BB83_47 Depth=1
	v_mov_b32_e32 v9, s80
	ds_read_b32 v9, v9
	s_waitcnt lgkmcnt(0)
	v_add_u32_e32 v7, v9, v7
	s_or_b64 exec, exec, s[82:83]
	s_and_saveexec_b64 s[82:83], s[40:41]
	s_cbranch_execz .LBB83_67
.LBB83_99:                              ;   in Loop: Header=BB83_47 Depth=1
	v_mov_b32_e32 v9, s70
	ds_read_b32 v9, v9
	s_waitcnt lgkmcnt(0)
	v_add_u32_e32 v7, v9, v7
	s_or_b64 exec, exec, s[82:83]
	s_and_saveexec_b64 s[82:83], s[42:43]
	s_cbranch_execz .LBB83_68
.LBB83_100:                             ;   in Loop: Header=BB83_47 Depth=1
	v_mov_b32_e32 v9, s71
	ds_read_b32 v9, v9
	s_waitcnt lgkmcnt(0)
	v_add_u32_e32 v7, v9, v7
	s_or_b64 exec, exec, s[82:83]
	s_and_saveexec_b64 s[82:83], s[44:45]
	s_cbranch_execz .LBB83_69
.LBB83_101:                             ;   in Loop: Header=BB83_47 Depth=1
	v_mov_b32_e32 v9, s76
	ds_read_b32 v9, v9
	s_waitcnt lgkmcnt(0)
	v_add_u32_e32 v7, v9, v7
	s_or_b64 exec, exec, s[82:83]
	s_and_saveexec_b64 s[82:83], s[46:47]
	s_cbranch_execz .LBB83_70
.LBB83_102:                             ;   in Loop: Header=BB83_47 Depth=1
	v_mov_b32_e32 v9, s77
	ds_read_b32 v9, v9
	s_waitcnt lgkmcnt(0)
	v_add_u32_e32 v7, v9, v7
	s_or_b64 exec, exec, s[82:83]
	s_and_saveexec_b64 s[82:83], s[48:49]
	s_cbranch_execz .LBB83_71
.LBB83_103:                             ;   in Loop: Header=BB83_47 Depth=1
	v_mov_b32_e32 v9, s78
	ds_read_b32 v9, v9
	s_waitcnt lgkmcnt(0)
	v_add_u32_e32 v7, v9, v7
	s_or_b64 exec, exec, s[82:83]
	s_and_saveexec_b64 s[82:83], s[50:51]
	s_cbranch_execz .LBB83_72
.LBB83_104:                             ;   in Loop: Header=BB83_47 Depth=1
	v_mov_b32_e32 v9, s79
	ds_read_b32 v9, v9
	s_waitcnt lgkmcnt(0)
	v_add_u32_e32 v7, v9, v7
	s_or_b64 exec, exec, s[82:83]
	s_and_saveexec_b64 s[82:83], s[52:53]
	s_cbranch_execz .LBB83_73
.LBB83_105:                             ;   in Loop: Header=BB83_47 Depth=1
	v_mov_b32_e32 v9, s75
	ds_read_b32 v9, v9
	s_waitcnt lgkmcnt(0)
	v_add_u32_e32 v7, v9, v7
	s_or_b64 exec, exec, s[82:83]
	s_and_saveexec_b64 s[82:83], s[54:55]
	s_cbranch_execz .LBB83_74
.LBB83_106:                             ;   in Loop: Header=BB83_47 Depth=1
	v_mov_b32_e32 v9, s81
	ds_read_b32 v9, v9
	s_waitcnt lgkmcnt(0)
	v_add_u32_e32 v7, v9, v7
	s_or_b64 exec, exec, s[82:83]
	s_and_saveexec_b64 s[82:83], s[56:57]
	s_cbranch_execz .LBB83_75
.LBB83_107:                             ;   in Loop: Header=BB83_47 Depth=1
	v_mov_b32_e32 v9, s84
	ds_read_b32 v9, v9
	s_waitcnt lgkmcnt(0)
	v_add_u32_e32 v7, v9, v7
	s_or_b64 exec, exec, s[82:83]
	s_and_saveexec_b64 s[82:83], s[58:59]
	s_cbranch_execz .LBB83_76
.LBB83_108:                             ;   in Loop: Header=BB83_47 Depth=1
	v_mov_b32_e32 v9, s85
	ds_read_b32 v9, v9
	s_waitcnt lgkmcnt(0)
	v_add_u32_e32 v7, v9, v7
	s_or_b64 exec, exec, s[82:83]
	s_and_saveexec_b64 s[82:83], s[60:61]
	s_cbranch_execz .LBB83_77
.LBB83_109:                             ;   in Loop: Header=BB83_47 Depth=1
	v_mov_b32_e32 v9, s86
	ds_read_b32 v9, v9
	s_waitcnt lgkmcnt(0)
	v_add_u32_e32 v7, v9, v7
	s_or_b64 exec, exec, s[82:83]
	s_and_saveexec_b64 s[82:83], s[62:63]
	s_cbranch_execz .LBB83_78
.LBB83_110:                             ;   in Loop: Header=BB83_47 Depth=1
	v_mov_b32_e32 v9, s87
	ds_read_b32 v9, v9
	s_waitcnt lgkmcnt(0)
	v_add_u32_e32 v7, v9, v7
	s_or_b64 exec, exec, s[82:83]
	s_and_saveexec_b64 s[82:83], s[68:69]
	s_cbranch_execz .LBB83_79
.LBB83_111:                             ;   in Loop: Header=BB83_47 Depth=1
	buffer_load_dword v10, off, s[0:3], 0
	buffer_load_dword v11, off, s[0:3], 0 offset:4
	buffer_load_dword v12, off, s[0:3], 0 offset:8
	;; [unrolled: 1-line block ×3, first 2 shown]
	v_add3_u32 v9, v4, -1, v7
	v_lshl_add_u32 v14, v9, 2, 0
	v_lshl_add_u32 v9, v9, 4, 0
	v_add_u32_e32 v9, 0x20000, v9
	ds_write_b32 v14, v8
	s_waitcnt vmcnt(0)
	ds_write2_b64 v9, v[10:11], v[12:13] offset1:1
	s_or_b64 exec, exec, s[82:83]
	s_and_saveexec_b64 s[68:69], vcc
	s_cbranch_execz .LBB83_46
.LBB83_112:                             ;   in Loop: Header=BB83_47 Depth=1
	v_mov_b32_e32 v8, s88
	ds_write_b32 v8, v7
	s_branch .LBB83_46
.LBB83_113:
	s_or_b64 exec, exec, s[72:73]
	v_readlane_b32 s4, v32, 12
	v_readlane_b32 s5, v32, 13
	v_readlane_b32 s8, v32, 4
	s_ashr_i32 s5, s4, 31
	v_readlane_b32 s10, v32, 6
	v_readlane_b32 s11, v32, 7
	;; [unrolled: 1-line block ×4, first 2 shown]
	s_lshl_b64 s[4:5], s[4:5], 2
	s_mov_b64 s[10:11], s[14:15]
	s_add_u32 s4, s10, s4
	s_addc_u32 s5, s11, s5
	s_load_dwordx2 s[4:5], s[4:5], 0x0
	v_readlane_b32 s9, v32, 5
	v_readlane_b32 s12, v32, 8
	;; [unrolled: 1-line block ×3, first 2 shown]
	s_waitcnt lgkmcnt(0)
	s_sub_i32 s18, s5, s4
	v_cmp_gt_i32_e32 vcc, s18, v0
	s_and_saveexec_b64 s[6:7], vcc
	s_cbranch_execz .LBB83_128
; %bb.114:
	s_sub_i32 s10, s4, s74
	s_add_i32 s4, s18, -2
	s_lshr_b32 s5, s4, 1
	s_add_i32 s6, s5, 1
	s_cmp_gt_u32 s18, 1
	s_cselect_b64 s[12:13], -1, 0
	s_and_b32 s19, s18, -2
	s_and_b32 s8, s6, 7
	s_cmp_gt_u32 s4, 13
	s_cselect_b64 s[4:5], -1, 0
	s_and_b32 s20, s6, -8
	s_cmp_lg_u32 s8, 0
	s_cselect_b64 s[6:7], -1, 0
	v_cndmask_b32_e64 v1, 0, 1, s[4:5]
	v_readlane_b32 s24, v32, 0
	s_cmp_lg_u32 s18, s19
	v_cmp_ne_u32_e64 s[4:5], 1, v1
	v_cndmask_b32_e64 v1, 0, 1, s[6:7]
	v_readlane_b32 s25, v32, 1
	v_readlane_b32 s27, v32, 3
	s_mov_b32 s11, 0
	s_cselect_b64 s[14:15], -1, 0
	s_lshl_b32 s21, s8, 3
	s_mov_b64 s[16:17], 0
	v_cmp_ne_u32_e64 s[6:7], 1, v1
	v_mov_b32_e32 v1, s25
	v_mov_b32_e32 v4, s27
	v_readlane_b32 s26, v32, 2
	s_branch .LBB83_116
.LBB83_115:                             ;   in Loop: Header=BB83_116 Depth=1
	v_lshl_add_u32 v3, v0, 4, 0
	v_add_u32_e32 v8, 0x20000, v3
	v_ashrrev_i32_e32 v3, 31, v2
	v_lshlrev_b64 v[6:7], 2, v[2:3]
	v_readlane_b32 s24, v32, 0
	v_add_co_u32_e32 v6, vcc, s24, v6
	s_waitcnt lgkmcnt(0)
	v_add_u32_e32 v5, s74, v5
	v_addc_co_u32_e32 v7, vcc, v1, v7, vcc
	v_readlane_b32 s26, v32, 2
	global_store_dword v[6:7], v5, off
	v_lshlrev_b64 v[2:3], 4, v[2:3]
	ds_read2_b64 v[6:9], v8 offset1:1
	v_add_co_u32_e32 v2, vcc, s26, v2
	v_addc_co_u32_e32 v3, vcc, v4, v3, vcc
	v_add_u32_e32 v0, 0x400, v0
	v_cmp_le_i32_e32 vcc, s18, v0
	s_or_b64 s[16:17], vcc, s[16:17]
	v_readlane_b32 s25, v32, 1
	v_readlane_b32 s27, v32, 3
	s_waitcnt lgkmcnt(0)
	global_store_dwordx4 v[2:3], v[6:9], off
	s_andn2_b64 exec, exec, s[16:17]
	s_cbranch_execz .LBB83_128
.LBB83_116:                             ; =>This Loop Header: Depth=1
                                        ;     Child Loop BB83_119 Depth 2
                                        ;     Child Loop BB83_124 Depth 2
	;; [unrolled: 1-line block ×3, first 2 shown]
	v_lshl_add_u32 v2, v0, 2, 0
	ds_read_b32 v5, v2
	s_and_b64 vcc, exec, s[12:13]
	s_cbranch_vccz .LBB83_121
; %bb.117:                              ;   in Loop: Header=BB83_116 Depth=1
	s_and_b64 vcc, exec, s[4:5]
	s_cbranch_vccnz .LBB83_122
; %bb.118:                              ;   in Loop: Header=BB83_116 Depth=1
	s_mov_b32 s23, 0
	v_mov_b32_e32 v2, s10
	v_mov_b32_e32 v3, 0
	s_mov_b32 s24, s20
	s_mov_b32 s22, 0
.LBB83_119:                             ;   Parent Loop BB83_116 Depth=1
                                        ; =>  This Inner Loop Header: Depth=2
	v_mov_b32_e32 v20, s23
	ds_read2_b32 v[6:7], v20 offset1:1
	ds_read2_b32 v[8:9], v20 offset0:2 offset1:3
	ds_read2_b32 v[10:11], v20 offset0:4 offset1:5
	;; [unrolled: 1-line block ×7, first 2 shown]
	s_waitcnt lgkmcnt(7)
	v_cmp_gt_i32_e32 vcc, v5, v7
	v_cndmask_b32_e64 v7, 0, 1, vcc
	v_cmp_gt_i32_e32 vcc, v5, v6
	s_waitcnt lgkmcnt(5)
	v_cmp_gt_i32_e64 s[8:9], v5, v10
	v_cndmask_b32_e64 v6, 0, 1, vcc
	v_cmp_gt_i32_e32 vcc, v5, v9
	v_cndmask_b32_e64 v9, 0, 1, s[8:9]
	v_cmp_gt_i32_e64 s[8:9], v5, v11
	v_cndmask_b32_e64 v10, 0, 1, s[8:9]
	s_waitcnt lgkmcnt(3)
	v_cmp_gt_i32_e64 s[8:9], v5, v15
	v_cndmask_b32_e64 v11, 0, 1, s[8:9]
	v_cmp_gt_i32_e64 s[8:9], v5, v14
	v_cndmask_b32_e64 v14, 0, 1, s[8:9]
	s_waitcnt lgkmcnt(1)
	v_cmp_gt_i32_e64 s[8:9], v5, v18
	v_cndmask_b32_e64 v15, 0, 1, s[8:9]
	v_cmp_gt_i32_e64 s[8:9], v5, v19
	v_cndmask_b32_e64 v18, 0, 1, s[8:9]
	v_cmp_gt_i32_e64 s[8:9], v5, v8
	v_addc_co_u32_e64 v2, s[8:9], v2, v6, s[8:9]
	v_addc_co_u32_e32 v3, vcc, v3, v7, vcc
	v_cmp_gt_i32_e32 vcc, v5, v12
	v_cmp_gt_i32_e64 s[8:9], v5, v13
	v_addc_co_u32_e64 v3, s[8:9], v3, v10, s[8:9]
	v_addc_co_u32_e32 v2, vcc, v2, v9, vcc
	v_cmp_gt_i32_e32 vcc, v5, v17
	v_cmp_gt_i32_e64 s[8:9], v5, v16
	v_addc_co_u32_e64 v2, s[8:9], v2, v14, s[8:9]
	v_addc_co_u32_e32 v3, vcc, v3, v11, vcc
	s_add_i32 s22, s22, 16
	s_add_i32 s23, s23, 64
	s_add_i32 s24, s24, -8
	s_waitcnt lgkmcnt(0)
	v_cmp_gt_i32_e32 vcc, v5, v20
	v_cmp_gt_i32_e64 s[8:9], v5, v21
	s_cmp_lg_u32 s24, 0
	v_addc_co_u32_e64 v3, s[8:9], v3, v18, s[8:9]
	v_addc_co_u32_e32 v2, vcc, v2, v15, vcc
	s_cbranch_scc1 .LBB83_119
; %bb.120:                              ;   in Loop: Header=BB83_116 Depth=1
	s_and_b64 vcc, exec, s[6:7]
	s_cbranch_vccz .LBB83_123
	s_branch .LBB83_125
.LBB83_121:                             ;   in Loop: Header=BB83_116 Depth=1
	v_mov_b32_e32 v2, s10
	s_mov_b32 s22, 0
	s_cbranch_execz .LBB83_115
	s_branch .LBB83_126
.LBB83_122:                             ;   in Loop: Header=BB83_116 Depth=1
	v_pk_mov_b32 v[2:3], s[10:11], s[10:11] op_sel:[0,1]
	s_mov_b32 s22, 0
	s_and_b64 vcc, exec, s[6:7]
	s_cbranch_vccnz .LBB83_125
.LBB83_123:                             ;   in Loop: Header=BB83_116 Depth=1
	s_lshl_b32 s8, s22, 2
	s_add_i32 s8, s8, 0
	s_mov_b32 s9, s21
.LBB83_124:                             ;   Parent Loop BB83_116 Depth=1
                                        ; =>  This Inner Loop Header: Depth=2
	v_mov_b32_e32 v6, s8
	ds_read2_b32 v[6:7], v6 offset1:1
	s_add_i32 s8, s8, 8
	s_add_i32 s9, s9, -8
	s_cmp_lg_u32 s9, 0
	s_waitcnt lgkmcnt(0)
	v_cmp_gt_i32_e32 vcc, v5, v7
	v_addc_co_u32_e32 v3, vcc, 0, v3, vcc
	v_cmp_gt_i32_e32 vcc, v5, v6
	v_addc_co_u32_e32 v2, vcc, 0, v2, vcc
	s_cbranch_scc1 .LBB83_124
.LBB83_125:                             ;   in Loop: Header=BB83_116 Depth=1
	v_add_u32_e32 v2, v2, v3
	s_mov_b32 s22, s19
	s_mov_b64 s[8:9], s[14:15]
	s_and_b64 vcc, exec, s[8:9]
	s_cbranch_vccz .LBB83_115
.LBB83_126:                             ;   in Loop: Header=BB83_116 Depth=1
	s_lshl_b32 s8, s22, 2
	s_add_i32 s8, s8, 0
.LBB83_127:                             ;   Parent Loop BB83_116 Depth=1
                                        ; =>  This Inner Loop Header: Depth=2
	v_mov_b32_e32 v3, s8
	ds_read_b32 v3, v3
	s_add_i32 s22, s22, 1
	s_add_i32 s8, s8, 4
	s_cmp_ge_i32 s22, s18
	s_waitcnt lgkmcnt(0)
	v_cmp_gt_i32_e32 vcc, v5, v3
	v_addc_co_u32_e32 v2, vcc, 0, v2, vcc
	s_cbranch_scc0 .LBB83_127
	s_branch .LBB83_115
.LBB83_128:
	s_endpgm
	.section	.rodata,"a",@progbits
	.p2align	6, 0x0
	.amdhsa_kernel _ZN9rocsparseL26csrgemm_fill_block_per_rowILj1024ELj64ELj32768ELj137ELj32Eii21rocsparse_complex_numIdEEEvT5_PKS3_S5_NS_24const_host_device_scalarIT6_EEPKT4_S5_PKS7_SB_S5_SD_S8_SB_S5_SD_SB_PS3_PS7_21rocsparse_index_base_SG_SG_SG_bbb
		.amdhsa_group_segment_fixed_size 0
		.amdhsa_private_segment_fixed_size 40
		.amdhsa_kernarg_size 172
		.amdhsa_user_sgpr_count 8
		.amdhsa_user_sgpr_private_segment_buffer 1
		.amdhsa_user_sgpr_dispatch_ptr 0
		.amdhsa_user_sgpr_queue_ptr 0
		.amdhsa_user_sgpr_kernarg_segment_ptr 1
		.amdhsa_user_sgpr_dispatch_id 0
		.amdhsa_user_sgpr_flat_scratch_init 1
		.amdhsa_user_sgpr_kernarg_preload_length 0
		.amdhsa_user_sgpr_kernarg_preload_offset 0
		.amdhsa_user_sgpr_private_segment_size 0
		.amdhsa_uses_dynamic_stack 0
		.amdhsa_system_sgpr_private_segment_wavefront_offset 1
		.amdhsa_system_sgpr_workgroup_id_x 1
		.amdhsa_system_sgpr_workgroup_id_y 0
		.amdhsa_system_sgpr_workgroup_id_z 0
		.amdhsa_system_sgpr_workgroup_info 0
		.amdhsa_system_vgpr_workitem_id 0
		.amdhsa_next_free_vgpr 33
		.amdhsa_next_free_sgpr 100
		.amdhsa_accum_offset 36
		.amdhsa_reserve_vcc 1
		.amdhsa_reserve_flat_scratch 1
		.amdhsa_float_round_mode_32 0
		.amdhsa_float_round_mode_16_64 0
		.amdhsa_float_denorm_mode_32 3
		.amdhsa_float_denorm_mode_16_64 3
		.amdhsa_dx10_clamp 1
		.amdhsa_ieee_mode 1
		.amdhsa_fp16_overflow 0
		.amdhsa_tg_split 0
		.amdhsa_exception_fp_ieee_invalid_op 0
		.amdhsa_exception_fp_denorm_src 0
		.amdhsa_exception_fp_ieee_div_zero 0
		.amdhsa_exception_fp_ieee_overflow 0
		.amdhsa_exception_fp_ieee_underflow 0
		.amdhsa_exception_fp_ieee_inexact 0
		.amdhsa_exception_int_div_zero 0
	.end_amdhsa_kernel
	.section	.text._ZN9rocsparseL26csrgemm_fill_block_per_rowILj1024ELj64ELj32768ELj137ELj32Eii21rocsparse_complex_numIdEEEvT5_PKS3_S5_NS_24const_host_device_scalarIT6_EEPKT4_S5_PKS7_SB_S5_SD_S8_SB_S5_SD_SB_PS3_PS7_21rocsparse_index_base_SG_SG_SG_bbb,"axG",@progbits,_ZN9rocsparseL26csrgemm_fill_block_per_rowILj1024ELj64ELj32768ELj137ELj32Eii21rocsparse_complex_numIdEEEvT5_PKS3_S5_NS_24const_host_device_scalarIT6_EEPKT4_S5_PKS7_SB_S5_SD_S8_SB_S5_SD_SB_PS3_PS7_21rocsparse_index_base_SG_SG_SG_bbb,comdat
.Lfunc_end83:
	.size	_ZN9rocsparseL26csrgemm_fill_block_per_rowILj1024ELj64ELj32768ELj137ELj32Eii21rocsparse_complex_numIdEEEvT5_PKS3_S5_NS_24const_host_device_scalarIT6_EEPKT4_S5_PKS7_SB_S5_SD_S8_SB_S5_SD_SB_PS3_PS7_21rocsparse_index_base_SG_SG_SG_bbb, .Lfunc_end83-_ZN9rocsparseL26csrgemm_fill_block_per_rowILj1024ELj64ELj32768ELj137ELj32Eii21rocsparse_complex_numIdEEEvT5_PKS3_S5_NS_24const_host_device_scalarIT6_EEPKT4_S5_PKS7_SB_S5_SD_S8_SB_S5_SD_SB_PS3_PS7_21rocsparse_index_base_SG_SG_SG_bbb
                                        ; -- End function
	.section	.AMDGPU.csdata,"",@progbits
; Kernel info:
; codeLenInByte = 5640
; NumSgprs: 106
; NumVgprs: 33
; NumAgprs: 0
; TotalNumVgprs: 33
; ScratchSize: 40
; MemoryBound: 0
; FloatMode: 240
; IeeeMode: 1
; LDSByteSize: 0 bytes/workgroup (compile time only)
; SGPRBlocks: 13
; VGPRBlocks: 4
; NumSGPRsForWavesPerEU: 106
; NumVGPRsForWavesPerEU: 33
; AccumOffset: 36
; Occupancy: 7
; WaveLimiterHint : 1
; COMPUTE_PGM_RSRC2:SCRATCH_EN: 1
; COMPUTE_PGM_RSRC2:USER_SGPR: 8
; COMPUTE_PGM_RSRC2:TRAP_HANDLER: 0
; COMPUTE_PGM_RSRC2:TGID_X_EN: 1
; COMPUTE_PGM_RSRC2:TGID_Y_EN: 0
; COMPUTE_PGM_RSRC2:TGID_Z_EN: 0
; COMPUTE_PGM_RSRC2:TIDIG_COMP_CNT: 0
; COMPUTE_PGM_RSRC3_GFX90A:ACCUM_OFFSET: 8
; COMPUTE_PGM_RSRC3_GFX90A:TG_SPLIT: 0
	.section	.text._ZN9rocsparseL26csrgemm_fill_block_per_rowILj1024ELj64ELj32768ELj137ELj64Eii21rocsparse_complex_numIdEEEvT5_PKS3_S5_NS_24const_host_device_scalarIT6_EEPKT4_S5_PKS7_SB_S5_SD_S8_SB_S5_SD_SB_PS3_PS7_21rocsparse_index_base_SG_SG_SG_bbb,"axG",@progbits,_ZN9rocsparseL26csrgemm_fill_block_per_rowILj1024ELj64ELj32768ELj137ELj64Eii21rocsparse_complex_numIdEEEvT5_PKS3_S5_NS_24const_host_device_scalarIT6_EEPKT4_S5_PKS7_SB_S5_SD_S8_SB_S5_SD_SB_PS3_PS7_21rocsparse_index_base_SG_SG_SG_bbb,comdat
	.globl	_ZN9rocsparseL26csrgemm_fill_block_per_rowILj1024ELj64ELj32768ELj137ELj64Eii21rocsparse_complex_numIdEEEvT5_PKS3_S5_NS_24const_host_device_scalarIT6_EEPKT4_S5_PKS7_SB_S5_SD_S8_SB_S5_SD_SB_PS3_PS7_21rocsparse_index_base_SG_SG_SG_bbb ; -- Begin function _ZN9rocsparseL26csrgemm_fill_block_per_rowILj1024ELj64ELj32768ELj137ELj64Eii21rocsparse_complex_numIdEEEvT5_PKS3_S5_NS_24const_host_device_scalarIT6_EEPKT4_S5_PKS7_SB_S5_SD_S8_SB_S5_SD_SB_PS3_PS7_21rocsparse_index_base_SG_SG_SG_bbb
	.p2align	8
	.type	_ZN9rocsparseL26csrgemm_fill_block_per_rowILj1024ELj64ELj32768ELj137ELj64Eii21rocsparse_complex_numIdEEEvT5_PKS3_S5_NS_24const_host_device_scalarIT6_EEPKT4_S5_PKS7_SB_S5_SD_S8_SB_S5_SD_SB_PS3_PS7_21rocsparse_index_base_SG_SG_SG_bbb,@function
_ZN9rocsparseL26csrgemm_fill_block_per_rowILj1024ELj64ELj32768ELj137ELj64Eii21rocsparse_complex_numIdEEEvT5_PKS3_S5_NS_24const_host_device_scalarIT6_EEPKT4_S5_PKS7_SB_S5_SD_S8_SB_S5_SD_SB_PS3_PS7_21rocsparse_index_base_SG_SG_SG_bbb: ; @_ZN9rocsparseL26csrgemm_fill_block_per_rowILj1024ELj64ELj32768ELj137ELj64Eii21rocsparse_complex_numIdEEEvT5_PKS3_S5_NS_24const_host_device_scalarIT6_EEPKT4_S5_PKS7_SB_S5_SD_S8_SB_S5_SD_SB_PS3_PS7_21rocsparse_index_base_SG_SG_SG_bbb
; %bb.0:
	s_add_u32 flat_scratch_lo, s6, s9
	s_addc_u32 flat_scratch_hi, s7, 0
	s_load_dwordx4 s[12:15], s[4:5], 0x18
	s_load_dwordx4 s[28:31], s[4:5], 0x58
	s_add_u32 s0, s0, s9
	s_load_dword s9, s[4:5], 0xa8
	s_load_dwordx4 s[44:47], s[4:5], 0x98
	s_addc_u32 s1, s1, 0
	s_waitcnt lgkmcnt(0)
	v_mov_b32_e32 v1, s13
	buffer_store_dword v1, off, s[0:3], 0 offset:20
	s_bitcmp1_b32 s9, 0
	s_cselect_b64 s[54:55], -1, 0
	s_bitcmp1_b32 s9, 16
	v_mov_b32_e32 v1, s12
	s_cselect_b64 s[6:7], -1, 0
	buffer_store_dword v1, off, s[0:3], 0 offset:16
	v_mov_b32_e32 v1, s29
	buffer_store_dword v1, off, s[0:3], 0 offset:28
	v_mov_b32_e32 v1, s28
	s_xor_b64 s[10:11], s[6:7], -1
	buffer_store_dword v1, off, s[0:3], 0 offset:24
	v_pk_mov_b32 v[2:3], 0, 0
	v_cndmask_b32_e64 v1, 0, 1, s[10:11]
	s_bitcmp0_b32 s9, 0
	v_cmp_ne_u32_e64 s[10:11], 1, v1
	v_pk_mov_b32 v[6:7], v[2:3], v[2:3] op_sel:[0,1]
	v_pk_mov_b32 v[8:9], v[2:3], v[2:3] op_sel:[0,1]
	s_cbranch_scc1 .LBB84_3
; %bb.1:
	s_mov_b64 s[16:17], src_private_base
	s_and_b64 s[18:19], s[6:7], exec
	s_cselect_b32 s16, s17, s13
	v_mov_b32_e32 v1, 16
	v_mov_b32_e32 v4, s12
	v_cndmask_b32_e64 v4, v4, v1, s[6:7]
	v_mov_b32_e32 v5, s16
	flat_load_dwordx2 v[6:7], v[4:5]
	s_and_b64 vcc, exec, s[10:11]
	v_pk_mov_b32 v[8:9], s[14:15], s[14:15] op_sel:[0,1]
	s_cbranch_vccnz .LBB84_3
; %bb.2:
	v_pk_mov_b32 v[4:5], s[12:13], s[12:13] op_sel:[0,1]
	flat_load_dwordx2 v[8:9], v[4:5] offset:8
.LBB84_3:
	s_load_dwordx4 s[48:51], s[4:5], 0x88
	s_load_dwordx8 s[36:43], s[4:5], 0x68
	s_load_dwordx4 s[20:23], s[4:5], 0x48
	s_load_dwordx4 s[24:27], s[4:5], 0x8
	s_load_dwordx8 s[12:19], s[4:5], 0x28
	s_bitcmp1_b32 s9, 8
	s_cselect_b64 s[34:35], -1, 0
	s_bfe_u32 s9, s9, 0x10008
	s_mov_b64 s[52:53], 0
	s_cmp_eq_u32 s9, 0
	v_pk_mov_b32 v[4:5], v[2:3], v[2:3] op_sel:[0,1]
	s_cbranch_scc1 .LBB84_6
; %bb.4:
	s_mov_b64 s[56:57], src_private_base
	s_and_b64 s[58:59], s[6:7], exec
	s_cselect_b32 s9, s57, s29
	v_mov_b32_e32 v1, 24
	v_mov_b32_e32 v2, s28
	v_cndmask_b32_e64 v2, v2, v1, s[6:7]
	v_mov_b32_e32 v3, s9
	flat_load_dwordx2 v[4:5], v[2:3]
	s_and_b64 vcc, exec, s[10:11]
	v_pk_mov_b32 v[2:3], s[30:31], s[30:31] op_sel:[0,1]
	s_cbranch_vccnz .LBB84_6
; %bb.5:
	v_pk_mov_b32 v[2:3], s[28:29], s[28:29] op_sel:[0,1]
	flat_load_dwordx2 v[2:3], v[2:3] offset:8
.LBB84_6:
	s_load_dword s33, s[4:5], 0x0
	v_lshlrev_b32_e32 v10, 4, v0
	s_mov_b32 s4, 0
	v_or_b32_e32 v1, 0xfffffc00, v0
	v_add_u32_e32 v23, 0, v10
	v_lshl_add_u32 v22, v0, 2, 0
	s_mov_b32 s5, s4
	s_mov_b32 s6, s4
	;; [unrolled: 1-line block ×3, first 2 shown]
	v_add_u32_e32 v14, 0x20008, v23
	s_waitcnt lgkmcnt(0)
	v_mov_b32_e32 v15, s33
	v_pk_mov_b32 v[10:11], s[4:5], s[4:5] op_sel:[0,1]
	v_pk_mov_b32 v[12:13], s[6:7], s[6:7] op_sel:[0,1]
	s_movk_i32 s4, 0x7bff
	v_mov_b32_e32 v16, v22
	v_mov_b32_e32 v17, v1
.LBB84_7:                               ; =>This Inner Loop Header: Depth=1
	v_add_u32_e32 v17, 0x400, v17
	v_cmp_lt_u32_e32 vcc, s4, v17
	ds_write_b32 v16, v15
	v_add_u32_e32 v18, -8, v14
	v_add_u32_e32 v14, 0x4000, v14
	v_add_u32_e32 v16, 0x1000, v16
	s_or_b64 s[52:53], vcc, s[52:53]
	ds_write2_b64 v18, v[10:11], v[12:13] offset1:1
	s_andn2_b64 exec, exec, s[52:53]
	s_cbranch_execnz .LBB84_7
; %bb.8:
	s_or_b64 exec, exec, s[52:53]
	s_waitcnt lgkmcnt(0)
	s_barrier
	s_load_dword s4, s[24:25], 0x0
	s_mov_b32 s5, 0
	v_lshrrev_b32_e32 v24, 6, v0
	s_waitcnt lgkmcnt(0)
	s_add_i32 s4, s4, s8
	s_lshl_b64 s[4:5], s[4:5], 2
	s_add_u32 s4, s26, s4
	s_addc_u32 s5, s27, s5
	s_load_dword s52, s[4:5], 0x0
	s_and_b64 vcc, exec, s[54:55]
	s_cbranch_vccz .LBB84_28
; %bb.9:
	s_waitcnt lgkmcnt(0)
	s_ashr_i32 s53, s52, 31
	s_lshl_b64 s[4:5], s[52:53], 2
	s_add_u32 s4, s12, s4
	s_addc_u32 s5, s13, s5
	s_load_dwordx2 s[4:5], s[4:5], 0x0
	v_subrev_u32_e32 v10, s44, v24
	s_waitcnt lgkmcnt(0)
	s_sub_i32 s53, s5, s44
	v_add_u32_e32 v10, s4, v10
	v_cmp_gt_i32_e32 vcc, s53, v10
	s_and_saveexec_b64 s[4:5], vcc
	s_cbranch_execz .LBB84_27
; %bb.10:
	v_and_b32_e32 v11, 63, v0
	v_subrev_u32_e32 v25, s45, v11
	s_mov_b64 s[6:7], 0
	v_mov_b32_e32 v26, s15
	v_mov_b32_e32 v27, s19
	s_movk_i32 s15, 0x89
	s_branch .LBB84_12
.LBB84_11:                              ;   in Loop: Header=BB84_12 Depth=1
	s_or_b64 exec, exec, s[8:9]
	v_add_u32_e32 v10, 16, v10
	v_cmp_le_i32_e32 vcc, s53, v10
	s_or_b64 s[6:7], vcc, s[6:7]
	s_andn2_b64 exec, exec, s[6:7]
	s_cbranch_execz .LBB84_27
.LBB84_12:                              ; =>This Loop Header: Depth=1
                                        ;     Child Loop BB84_15 Depth 2
                                        ;       Child Loop BB84_17 Depth 3
	v_ashrrev_i32_e32 v11, 31, v10
	v_lshlrev_b64 v[12:13], 2, v[10:11]
	v_add_co_u32_e32 v12, vcc, s14, v12
	v_addc_co_u32_e32 v13, vcc, v26, v13, vcc
	global_load_dword v12, v[12:13], off
	s_waitcnt vmcnt(0)
	v_subrev_u32_e32 v12, s44, v12
	v_ashrrev_i32_e32 v13, 31, v12
	v_lshlrev_b64 v[12:13], 2, v[12:13]
	v_add_co_u32_e32 v12, vcc, s18, v12
	v_addc_co_u32_e32 v13, vcc, v27, v13, vcc
	global_load_dwordx2 v[12:13], v[12:13], off
	s_waitcnt vmcnt(0)
	v_subrev_u32_e32 v28, s45, v13
	v_add_u32_e32 v12, v12, v25
	v_cmp_lt_i32_e32 vcc, v12, v28
	s_and_saveexec_b64 s[8:9], vcc
	s_cbranch_execz .LBB84_11
; %bb.13:                               ;   in Loop: Header=BB84_12 Depth=1
	v_lshlrev_b64 v[14:15], 4, v[10:11]
	v_mov_b32_e32 v11, s17
	v_add_co_u32_e32 v14, vcc, s16, v14
	v_addc_co_u32_e32 v15, vcc, v11, v15, vcc
	global_load_dwordx4 v[18:21], v[14:15], off
	s_mov_b64 s[10:11], 0
	s_waitcnt vmcnt(0)
	v_mul_f64 v[14:15], v[20:21], -v[8:9]
	v_mul_f64 v[16:17], v[6:7], v[20:21]
	v_fmac_f64_e32 v[14:15], v[6:7], v[18:19]
	v_fmac_f64_e32 v[16:17], v[8:9], v[18:19]
	s_branch .LBB84_15
.LBB84_14:                              ;   in Loop: Header=BB84_15 Depth=2
	s_or_b64 exec, exec, s[12:13]
	v_add_u32_e32 v12, 64, v12
	v_cmp_ge_i32_e32 vcc, v12, v28
	s_or_b64 s[10:11], vcc, s[10:11]
	s_andn2_b64 exec, exec, s[10:11]
	s_cbranch_execz .LBB84_11
.LBB84_15:                              ;   Parent Loop BB84_12 Depth=1
                                        ; =>  This Loop Header: Depth=2
                                        ;       Child Loop BB84_17 Depth 3
	v_ashrrev_i32_e32 v13, 31, v12
	v_lshlrev_b64 v[18:19], 2, v[12:13]
	v_mov_b32_e32 v11, s21
	v_add_co_u32_e32 v18, vcc, s20, v18
	v_addc_co_u32_e32 v19, vcc, v11, v19, vcc
	global_load_dword v11, v[18:19], off
	v_lshlrev_b64 v[18:19], 4, v[12:13]
	v_mov_b32_e32 v13, s23
	v_add_co_u32_e32 v18, vcc, s22, v18
	v_addc_co_u32_e32 v19, vcc, v13, v19, vcc
	global_load_dwordx4 v[30:33], v[18:19], off
	s_mov_b64 s[12:13], 0
	s_waitcnt vmcnt(1)
	v_subrev_u32_e32 v11, s45, v11
	v_mul_lo_u32 v13, v11, s15
	v_and_b32_e32 v13, 0x7fff, v13
	s_waitcnt vmcnt(0)
	v_mul_f64 v[18:19], v[32:33], -v[16:17]
	v_mul_f64 v[20:21], v[14:15], v[32:33]
	v_fmac_f64_e32 v[18:19], v[14:15], v[30:31]
	v_fmac_f64_e32 v[20:21], v[16:17], v[30:31]
	s_branch .LBB84_17
.LBB84_16:                              ;   in Loop: Header=BB84_17 Depth=3
	s_or_b64 exec, exec, s[24:25]
	s_xor_b64 s[24:25], s[26:27], -1
	s_and_b64 s[24:25], exec, s[24:25]
	s_or_b64 s[12:13], s[24:25], s[12:13]
	s_andn2_b64 exec, exec, s[12:13]
	s_cbranch_execz .LBB84_14
.LBB84_17:                              ;   Parent Loop BB84_12 Depth=1
                                        ;     Parent Loop BB84_15 Depth=2
                                        ; =>    This Inner Loop Header: Depth=3
	v_lshl_add_u32 v29, v13, 2, 0
	ds_read_b32 v30, v29
                                        ; implicit-def: $sgpr26_sgpr27
	s_waitcnt lgkmcnt(0)
	v_cmp_ne_u32_e32 vcc, v30, v11
	s_and_saveexec_b64 s[24:25], vcc
	s_xor_b64 s[24:25], exec, s[24:25]
	s_cbranch_execz .LBB84_25
; %bb.18:                               ;   in Loop: Header=BB84_17 Depth=3
	v_cmp_ne_u32_e32 vcc, s33, v30
                                        ; implicit-def: $sgpr26_sgpr27
	s_and_saveexec_b64 s[28:29], vcc
	s_xor_b64 s[28:29], exec, s[28:29]
; %bb.19:                               ;   in Loop: Header=BB84_17 Depth=3
	v_add_u32_e32 v13, 1, v13
	v_and_b32_e32 v13, 0x7fff, v13
	s_mov_b64 s[26:27], -1
                                        ; implicit-def: $vgpr29
; %bb.20:                               ;   in Loop: Header=BB84_17 Depth=3
	s_andn2_saveexec_b64 s[28:29], s[28:29]
	s_cbranch_execz .LBB84_24
; %bb.21:                               ;   in Loop: Header=BB84_17 Depth=3
	v_mov_b32_e32 v30, s33
	ds_cmpst_rtn_b32 v29, v29, v30, v11
	s_mov_b64 s[54:55], -1
	s_waitcnt lgkmcnt(0)
	v_cmp_eq_u32_e32 vcc, s33, v29
	s_and_saveexec_b64 s[30:31], vcc
	s_cbranch_execz .LBB84_23
; %bb.22:                               ;   in Loop: Header=BB84_17 Depth=3
	v_lshl_add_u32 v29, v13, 4, 0
	v_add_u32_e32 v29, 0x20000, v29
	ds_add_f64 v29, v[18:19]
	ds_add_f64 v29, v[20:21] offset:8
	s_xor_b64 s[54:55], exec, -1
.LBB84_23:                              ;   in Loop: Header=BB84_17 Depth=3
	s_or_b64 exec, exec, s[30:31]
	s_andn2_b64 s[26:27], s[26:27], exec
	s_and_b64 s[30:31], s[54:55], exec
	s_or_b64 s[26:27], s[26:27], s[30:31]
.LBB84_24:                              ;   in Loop: Header=BB84_17 Depth=3
	s_or_b64 exec, exec, s[28:29]
	s_and_b64 s[26:27], s[26:27], exec
.LBB84_25:                              ;   in Loop: Header=BB84_17 Depth=3
	s_andn2_saveexec_b64 s[24:25], s[24:25]
	s_cbranch_execz .LBB84_16
; %bb.26:                               ;   in Loop: Header=BB84_17 Depth=3
	v_lshl_add_u32 v29, v13, 4, 0
	v_add_u32_e32 v29, 0x20000, v29
	ds_add_f64 v29, v[18:19]
	ds_add_f64 v29, v[20:21] offset:8
	s_andn2_b64 s[26:27], s[26:27], exec
	s_branch .LBB84_16
.LBB84_27:
	s_or_b64 exec, exec, s[4:5]
.LBB84_28:
	s_andn2_b64 vcc, exec, s[34:35]
	s_cbranch_vccnz .LBB84_45
; %bb.29:
	s_waitcnt lgkmcnt(0)
	s_ashr_i32 s53, s52, 31
	s_lshl_b64 s[4:5], s[52:53], 2
	s_add_u32 s4, s36, s4
	s_addc_u32 s5, s37, s5
	s_load_dwordx2 s[4:5], s[4:5], 0x0
	s_waitcnt vmcnt(0)
	v_subrev_u32_e32 v6, s47, v0
	s_waitcnt lgkmcnt(0)
	s_sub_i32 s20, s5, s47
	v_add_u32_e32 v6, s4, v6
	v_cmp_gt_i32_e32 vcc, s20, v6
	s_and_saveexec_b64 s[4:5], vcc
	s_cbranch_execz .LBB84_44
; %bb.30:
	s_mov_b64 s[6:7], 0
	v_mov_b32_e32 v12, s39
	v_mov_b32_e32 v13, s41
	s_movk_i32 s21, 0x89
	s_branch .LBB84_32
.LBB84_31:                              ;   in Loop: Header=BB84_32 Depth=1
	s_or_b64 exec, exec, s[8:9]
	v_add_u32_e32 v6, 0x400, v6
	v_cmp_le_i32_e32 vcc, s20, v6
	s_or_b64 s[6:7], vcc, s[6:7]
	s_andn2_b64 exec, exec, s[6:7]
	s_cbranch_execz .LBB84_44
.LBB84_32:                              ; =>This Loop Header: Depth=1
                                        ;     Child Loop BB84_34 Depth 2
	v_ashrrev_i32_e32 v7, 31, v6
	v_lshlrev_b64 v[8:9], 2, v[6:7]
	v_add_co_u32_e32 v8, vcc, s38, v8
	v_addc_co_u32_e32 v9, vcc, v12, v9, vcc
	global_load_dword v10, v[8:9], off
	v_lshlrev_b64 v[8:9], 4, v[6:7]
	v_add_co_u32_e32 v8, vcc, s40, v8
	v_addc_co_u32_e32 v9, vcc, v13, v9, vcc
	global_load_dwordx4 v[14:17], v[8:9], off
	s_mov_b64 s[8:9], 0
	s_waitcnt vmcnt(1)
	v_subrev_u32_e32 v7, s47, v10
	s_waitcnt vmcnt(0)
	v_mul_f64 v[8:9], v[16:17], -v[2:3]
	v_mul_f64 v[10:11], v[4:5], v[16:17]
	v_fmac_f64_e32 v[8:9], v[4:5], v[14:15]
	v_fmac_f64_e32 v[10:11], v[2:3], v[14:15]
	v_mul_lo_u32 v14, v7, s21
	v_and_b32_e32 v14, 0x7fff, v14
	s_branch .LBB84_34
.LBB84_33:                              ;   in Loop: Header=BB84_34 Depth=2
	s_or_b64 exec, exec, s[10:11]
	s_xor_b64 s[10:11], s[12:13], -1
	s_and_b64 s[10:11], exec, s[10:11]
	s_or_b64 s[8:9], s[10:11], s[8:9]
	s_andn2_b64 exec, exec, s[8:9]
	s_cbranch_execz .LBB84_31
.LBB84_34:                              ;   Parent Loop BB84_32 Depth=1
                                        ; =>  This Inner Loop Header: Depth=2
	v_lshl_add_u32 v15, v14, 2, 0
	ds_read_b32 v16, v15
                                        ; implicit-def: $sgpr12_sgpr13
	s_waitcnt lgkmcnt(0)
	v_cmp_ne_u32_e32 vcc, v16, v7
	s_and_saveexec_b64 s[10:11], vcc
	s_xor_b64 s[10:11], exec, s[10:11]
	s_cbranch_execz .LBB84_42
; %bb.35:                               ;   in Loop: Header=BB84_34 Depth=2
	v_cmp_ne_u32_e32 vcc, s33, v16
                                        ; implicit-def: $sgpr12_sgpr13
	s_and_saveexec_b64 s[14:15], vcc
	s_xor_b64 s[14:15], exec, s[14:15]
; %bb.36:                               ;   in Loop: Header=BB84_34 Depth=2
	v_add_u32_e32 v14, 1, v14
	v_and_b32_e32 v14, 0x7fff, v14
	s_mov_b64 s[12:13], -1
                                        ; implicit-def: $vgpr15
; %bb.37:                               ;   in Loop: Header=BB84_34 Depth=2
	s_andn2_saveexec_b64 s[14:15], s[14:15]
	s_cbranch_execz .LBB84_41
; %bb.38:                               ;   in Loop: Header=BB84_34 Depth=2
	v_mov_b32_e32 v16, s33
	ds_cmpst_rtn_b32 v15, v15, v16, v7
	s_mov_b64 s[18:19], -1
	s_waitcnt lgkmcnt(0)
	v_cmp_eq_u32_e32 vcc, s33, v15
	s_and_saveexec_b64 s[16:17], vcc
	s_cbranch_execz .LBB84_40
; %bb.39:                               ;   in Loop: Header=BB84_34 Depth=2
	v_lshl_add_u32 v15, v14, 4, 0
	v_add_u32_e32 v15, 0x20000, v15
	ds_add_f64 v15, v[8:9]
	ds_add_f64 v15, v[10:11] offset:8
	s_xor_b64 s[18:19], exec, -1
.LBB84_40:                              ;   in Loop: Header=BB84_34 Depth=2
	s_or_b64 exec, exec, s[16:17]
	s_andn2_b64 s[12:13], s[12:13], exec
	s_and_b64 s[16:17], s[18:19], exec
	s_or_b64 s[12:13], s[12:13], s[16:17]
.LBB84_41:                              ;   in Loop: Header=BB84_34 Depth=2
	s_or_b64 exec, exec, s[14:15]
	s_and_b64 s[12:13], s[12:13], exec
.LBB84_42:                              ;   in Loop: Header=BB84_34 Depth=2
	s_andn2_saveexec_b64 s[10:11], s[10:11]
	s_cbranch_execz .LBB84_33
; %bb.43:                               ;   in Loop: Header=BB84_34 Depth=2
	v_lshl_add_u32 v15, v14, 4, 0
	v_add_u32_e32 v15, 0x20000, v15
	ds_add_f64 v15, v[8:9]
	ds_add_f64 v15, v[10:11] offset:8
	s_andn2_b64 s[12:13], s[12:13], exec
	s_branch .LBB84_33
.LBB84_44:
	s_or_b64 exec, exec, s[4:5]
.LBB84_45:
	s_waitcnt vmcnt(0)
	v_mbcnt_lo_u32_b32 v2, -1, 0
	v_mbcnt_hi_u32_b32 v2, -1, v2
	v_sub_u32_e32 v2, 63, v2
	s_add_i32 s44, 0, 0xa0000
	s_movk_i32 s4, 0x3ff
	s_movk_i32 s6, 0x7f
	;; [unrolled: 1-line block ×15, first 2 shown]
	s_add_i32 s65, 0, 0xa003c
	v_mov_b32_e32 v4, 0
	v_lshrrev_b64 v[2:3], v2, -1
	v_lshl_add_u32 v5, v24, 2, s44
	v_cmp_eq_u32_e32 vcc, s4, v0
	v_cmp_lt_u32_e64 s[4:5], 63, v0
	v_cmp_lt_u32_e64 s[6:7], s6, v0
	;; [unrolled: 1-line block ×15, first 2 shown]
	v_add_u32_e32 v6, 0x20000, v23
	s_mov_b64 s[38:39], 0
	s_add_i32 s45, 0, 0xa0004
	s_add_i32 s47, 0, 0xa0008
	;; [unrolled: 1-line block ×14, first 2 shown]
	v_mov_b32_e32 v7, s65
	s_movk_i32 s66, 0x7bff
	s_waitcnt lgkmcnt(0)
	s_barrier
	s_branch .LBB84_47
.LBB84_46:                              ;   in Loop: Header=BB84_47 Depth=1
	s_or_b64 exec, exec, s[36:37]
	s_waitcnt lgkmcnt(0)
	s_barrier
	ds_read_b32 v8, v7
	v_add_u32_e32 v1, 0x400, v1
	v_cmp_lt_u32_e64 s[36:37], s66, v1
	v_add_u32_e32 v6, 0x4000, v6
	s_or_b64 s[38:39], s[36:37], s[38:39]
	s_waitcnt lgkmcnt(0)
	v_add_u32_e32 v4, v8, v4
	v_add_u32_e32 v22, 0x1000, v22
	s_andn2_b64 exec, exec, s[38:39]
	s_cbranch_execz .LBB84_81
.LBB84_47:                              ; =>This Inner Loop Header: Depth=1
	ds_read2_b64 v[10:13], v6 offset1:1
	ds_read_b32 v9, v22
	s_waitcnt lgkmcnt(1)
	buffer_store_dword v13, off, s[0:3], 0 offset:12
	buffer_store_dword v12, off, s[0:3], 0 offset:8
	buffer_store_dword v11, off, s[0:3], 0 offset:4
	buffer_store_dword v10, off, s[0:3], 0
	s_waitcnt lgkmcnt(0)
	v_cmp_gt_i32_e64 s[36:37], s33, v9
	v_and_b32_e32 v10, s36, v2
	s_bcnt1_i32_b64 s40, s[36:37]
	v_and_b32_e32 v8, s37, v3
	v_bcnt_u32_b32 v10, v10, 0
	v_bcnt_u32_b32 v8, v8, v10
	v_mov_b32_e32 v10, s40
	s_barrier
	ds_write_b32 v5, v10
	s_waitcnt lgkmcnt(0)
	s_barrier
	s_and_saveexec_b64 s[40:41], s[4:5]
	s_cbranch_execnz .LBB84_64
; %bb.48:                               ;   in Loop: Header=BB84_47 Depth=1
	s_or_b64 exec, exec, s[40:41]
	s_and_saveexec_b64 s[40:41], s[6:7]
	s_cbranch_execnz .LBB84_65
.LBB84_49:                              ;   in Loop: Header=BB84_47 Depth=1
	s_or_b64 exec, exec, s[40:41]
	s_and_saveexec_b64 s[40:41], s[8:9]
	s_cbranch_execnz .LBB84_66
.LBB84_50:                              ;   in Loop: Header=BB84_47 Depth=1
	s_or_b64 exec, exec, s[40:41]
	s_and_saveexec_b64 s[40:41], s[10:11]
	s_cbranch_execnz .LBB84_67
.LBB84_51:                              ;   in Loop: Header=BB84_47 Depth=1
	s_or_b64 exec, exec, s[40:41]
	s_and_saveexec_b64 s[40:41], s[12:13]
	s_cbranch_execnz .LBB84_68
.LBB84_52:                              ;   in Loop: Header=BB84_47 Depth=1
	s_or_b64 exec, exec, s[40:41]
	s_and_saveexec_b64 s[40:41], s[14:15]
	s_cbranch_execnz .LBB84_69
.LBB84_53:                              ;   in Loop: Header=BB84_47 Depth=1
	s_or_b64 exec, exec, s[40:41]
	s_and_saveexec_b64 s[40:41], s[16:17]
	s_cbranch_execnz .LBB84_70
.LBB84_54:                              ;   in Loop: Header=BB84_47 Depth=1
	s_or_b64 exec, exec, s[40:41]
	s_and_saveexec_b64 s[40:41], s[18:19]
	s_cbranch_execnz .LBB84_71
.LBB84_55:                              ;   in Loop: Header=BB84_47 Depth=1
	s_or_b64 exec, exec, s[40:41]
	s_and_saveexec_b64 s[40:41], s[20:21]
	s_cbranch_execnz .LBB84_72
.LBB84_56:                              ;   in Loop: Header=BB84_47 Depth=1
	s_or_b64 exec, exec, s[40:41]
	s_and_saveexec_b64 s[40:41], s[22:23]
	s_cbranch_execnz .LBB84_73
.LBB84_57:                              ;   in Loop: Header=BB84_47 Depth=1
	s_or_b64 exec, exec, s[40:41]
	s_and_saveexec_b64 s[40:41], s[24:25]
	s_cbranch_execnz .LBB84_74
.LBB84_58:                              ;   in Loop: Header=BB84_47 Depth=1
	s_or_b64 exec, exec, s[40:41]
	s_and_saveexec_b64 s[40:41], s[26:27]
	s_cbranch_execnz .LBB84_75
.LBB84_59:                              ;   in Loop: Header=BB84_47 Depth=1
	s_or_b64 exec, exec, s[40:41]
	s_and_saveexec_b64 s[40:41], s[28:29]
	s_cbranch_execnz .LBB84_76
.LBB84_60:                              ;   in Loop: Header=BB84_47 Depth=1
	s_or_b64 exec, exec, s[40:41]
	s_and_saveexec_b64 s[40:41], s[30:31]
	s_cbranch_execnz .LBB84_77
.LBB84_61:                              ;   in Loop: Header=BB84_47 Depth=1
	s_or_b64 exec, exec, s[40:41]
	s_and_saveexec_b64 s[40:41], s[34:35]
	s_cbranch_execnz .LBB84_78
.LBB84_62:                              ;   in Loop: Header=BB84_47 Depth=1
	s_or_b64 exec, exec, s[40:41]
	s_and_saveexec_b64 s[40:41], s[36:37]
	s_cbranch_execnz .LBB84_79
.LBB84_63:                              ;   in Loop: Header=BB84_47 Depth=1
	s_or_b64 exec, exec, s[40:41]
	s_and_saveexec_b64 s[36:37], vcc
	s_cbranch_execz .LBB84_46
	s_branch .LBB84_80
.LBB84_64:                              ;   in Loop: Header=BB84_47 Depth=1
	v_mov_b32_e32 v10, s44
	ds_read_b32 v10, v10
	s_waitcnt lgkmcnt(0)
	v_add_u32_e32 v8, v10, v8
	s_or_b64 exec, exec, s[40:41]
	s_and_saveexec_b64 s[40:41], s[6:7]
	s_cbranch_execz .LBB84_49
.LBB84_65:                              ;   in Loop: Header=BB84_47 Depth=1
	v_mov_b32_e32 v10, s45
	ds_read_b32 v10, v10
	s_waitcnt lgkmcnt(0)
	v_add_u32_e32 v8, v10, v8
	s_or_b64 exec, exec, s[40:41]
	s_and_saveexec_b64 s[40:41], s[8:9]
	s_cbranch_execz .LBB84_50
.LBB84_66:                              ;   in Loop: Header=BB84_47 Depth=1
	v_mov_b32_e32 v10, s47
	ds_read_b32 v10, v10
	s_waitcnt lgkmcnt(0)
	v_add_u32_e32 v8, v10, v8
	s_or_b64 exec, exec, s[40:41]
	s_and_saveexec_b64 s[40:41], s[10:11]
	s_cbranch_execz .LBB84_51
.LBB84_67:                              ;   in Loop: Header=BB84_47 Depth=1
	v_mov_b32_e32 v10, s53
	ds_read_b32 v10, v10
	s_waitcnt lgkmcnt(0)
	v_add_u32_e32 v8, v10, v8
	s_or_b64 exec, exec, s[40:41]
	s_and_saveexec_b64 s[40:41], s[12:13]
	s_cbranch_execz .LBB84_52
.LBB84_68:                              ;   in Loop: Header=BB84_47 Depth=1
	v_mov_b32_e32 v10, s54
	ds_read_b32 v10, v10
	s_waitcnt lgkmcnt(0)
	v_add_u32_e32 v8, v10, v8
	s_or_b64 exec, exec, s[40:41]
	s_and_saveexec_b64 s[40:41], s[14:15]
	s_cbranch_execz .LBB84_53
.LBB84_69:                              ;   in Loop: Header=BB84_47 Depth=1
	v_mov_b32_e32 v10, s55
	ds_read_b32 v10, v10
	s_waitcnt lgkmcnt(0)
	v_add_u32_e32 v8, v10, v8
	s_or_b64 exec, exec, s[40:41]
	s_and_saveexec_b64 s[40:41], s[16:17]
	s_cbranch_execz .LBB84_54
.LBB84_70:                              ;   in Loop: Header=BB84_47 Depth=1
	v_mov_b32_e32 v10, s56
	ds_read_b32 v10, v10
	s_waitcnt lgkmcnt(0)
	v_add_u32_e32 v8, v10, v8
	s_or_b64 exec, exec, s[40:41]
	s_and_saveexec_b64 s[40:41], s[18:19]
	s_cbranch_execz .LBB84_55
.LBB84_71:                              ;   in Loop: Header=BB84_47 Depth=1
	v_mov_b32_e32 v10, s57
	ds_read_b32 v10, v10
	s_waitcnt lgkmcnt(0)
	v_add_u32_e32 v8, v10, v8
	s_or_b64 exec, exec, s[40:41]
	s_and_saveexec_b64 s[40:41], s[20:21]
	s_cbranch_execz .LBB84_56
.LBB84_72:                              ;   in Loop: Header=BB84_47 Depth=1
	v_mov_b32_e32 v10, s58
	ds_read_b32 v10, v10
	s_waitcnt lgkmcnt(0)
	v_add_u32_e32 v8, v10, v8
	s_or_b64 exec, exec, s[40:41]
	s_and_saveexec_b64 s[40:41], s[22:23]
	s_cbranch_execz .LBB84_57
.LBB84_73:                              ;   in Loop: Header=BB84_47 Depth=1
	v_mov_b32_e32 v10, s59
	ds_read_b32 v10, v10
	s_waitcnt lgkmcnt(0)
	v_add_u32_e32 v8, v10, v8
	s_or_b64 exec, exec, s[40:41]
	s_and_saveexec_b64 s[40:41], s[24:25]
	s_cbranch_execz .LBB84_58
.LBB84_74:                              ;   in Loop: Header=BB84_47 Depth=1
	v_mov_b32_e32 v10, s60
	ds_read_b32 v10, v10
	s_waitcnt lgkmcnt(0)
	v_add_u32_e32 v8, v10, v8
	s_or_b64 exec, exec, s[40:41]
	s_and_saveexec_b64 s[40:41], s[26:27]
	s_cbranch_execz .LBB84_59
.LBB84_75:                              ;   in Loop: Header=BB84_47 Depth=1
	v_mov_b32_e32 v10, s61
	ds_read_b32 v10, v10
	s_waitcnt lgkmcnt(0)
	v_add_u32_e32 v8, v10, v8
	s_or_b64 exec, exec, s[40:41]
	s_and_saveexec_b64 s[40:41], s[28:29]
	s_cbranch_execz .LBB84_60
.LBB84_76:                              ;   in Loop: Header=BB84_47 Depth=1
	v_mov_b32_e32 v10, s62
	ds_read_b32 v10, v10
	s_waitcnt lgkmcnt(0)
	v_add_u32_e32 v8, v10, v8
	s_or_b64 exec, exec, s[40:41]
	s_and_saveexec_b64 s[40:41], s[30:31]
	s_cbranch_execz .LBB84_61
.LBB84_77:                              ;   in Loop: Header=BB84_47 Depth=1
	v_mov_b32_e32 v10, s63
	ds_read_b32 v10, v10
	s_waitcnt lgkmcnt(0)
	v_add_u32_e32 v8, v10, v8
	s_or_b64 exec, exec, s[40:41]
	s_and_saveexec_b64 s[40:41], s[34:35]
	s_cbranch_execz .LBB84_62
.LBB84_78:                              ;   in Loop: Header=BB84_47 Depth=1
	v_mov_b32_e32 v10, s64
	ds_read_b32 v10, v10
	s_waitcnt lgkmcnt(0)
	v_add_u32_e32 v8, v10, v8
	s_or_b64 exec, exec, s[40:41]
	s_and_saveexec_b64 s[40:41], s[36:37]
	s_cbranch_execz .LBB84_63
.LBB84_79:                              ;   in Loop: Header=BB84_47 Depth=1
	buffer_load_dword v10, off, s[0:3], 0
	buffer_load_dword v11, off, s[0:3], 0 offset:4
	buffer_load_dword v12, off, s[0:3], 0 offset:8
	;; [unrolled: 1-line block ×3, first 2 shown]
	v_add3_u32 v14, v4, -1, v8
	v_lshl_add_u32 v15, v14, 2, 0
	v_lshl_add_u32 v14, v14, 4, 0
	v_add_u32_e32 v14, 0x20000, v14
	ds_write_b32 v15, v9
	s_waitcnt vmcnt(0)
	ds_write2_b64 v14, v[10:11], v[12:13] offset1:1
	s_or_b64 exec, exec, s[40:41]
	s_and_saveexec_b64 s[36:37], vcc
	s_cbranch_execz .LBB84_46
.LBB84_80:                              ;   in Loop: Header=BB84_47 Depth=1
	v_mov_b32_e32 v9, s65
	ds_write_b32 v9, v8
	s_branch .LBB84_46
.LBB84_81:
	s_or_b64 exec, exec, s[38:39]
	s_ashr_i32 s53, s52, 31
	s_lshl_b64 s[4:5], s[52:53], 2
	s_add_u32 s4, s42, s4
	s_addc_u32 s5, s43, s5
	s_load_dwordx2 s[4:5], s[4:5], 0x0
	s_waitcnt lgkmcnt(0)
	s_sub_i32 s18, s5, s4
	v_cmp_gt_i32_e32 vcc, s18, v0
	s_and_saveexec_b64 s[6:7], vcc
	s_cbranch_execz .LBB84_96
; %bb.82:
	s_sub_i32 s10, s4, s46
	s_add_i32 s4, s18, -2
	s_lshr_b32 s5, s4, 1
	s_add_i32 s6, s5, 1
	s_cmp_gt_u32 s18, 1
	s_cselect_b64 s[12:13], -1, 0
	s_and_b32 s19, s18, -2
	s_and_b32 s8, s6, 7
	s_cmp_gt_u32 s4, 13
	s_cselect_b64 s[4:5], -1, 0
	s_and_b32 s20, s6, -8
	s_cmp_lg_u32 s8, 0
	s_cselect_b64 s[6:7], -1, 0
	v_cndmask_b32_e64 v1, 0, 1, s[4:5]
	s_cmp_lg_u32 s18, s19
	v_cmp_ne_u32_e64 s[4:5], 1, v1
	v_cndmask_b32_e64 v1, 0, 1, s[6:7]
	s_mov_b32 s11, 0
	s_cselect_b64 s[14:15], -1, 0
	s_lshl_b32 s21, s8, 3
	s_mov_b64 s[16:17], 0
	v_cmp_ne_u32_e64 s[6:7], 1, v1
	v_mov_b32_e32 v1, s49
	v_mov_b32_e32 v4, s51
	s_branch .LBB84_84
.LBB84_83:                              ;   in Loop: Header=BB84_84 Depth=1
	v_lshl_add_u32 v3, v0, 4, 0
	v_add_u32_e32 v8, 0x20000, v3
	v_ashrrev_i32_e32 v3, 31, v2
	v_lshlrev_b64 v[6:7], 2, v[2:3]
	v_add_co_u32_e32 v6, vcc, s48, v6
	s_waitcnt lgkmcnt(0)
	v_add_u32_e32 v5, s46, v5
	v_addc_co_u32_e32 v7, vcc, v1, v7, vcc
	global_store_dword v[6:7], v5, off
	v_lshlrev_b64 v[2:3], 4, v[2:3]
	ds_read2_b64 v[6:9], v8 offset1:1
	v_add_co_u32_e32 v2, vcc, s50, v2
	v_addc_co_u32_e32 v3, vcc, v4, v3, vcc
	v_add_u32_e32 v0, 0x400, v0
	v_cmp_le_i32_e32 vcc, s18, v0
	s_or_b64 s[16:17], vcc, s[16:17]
	s_waitcnt lgkmcnt(0)
	global_store_dwordx4 v[2:3], v[6:9], off
	s_andn2_b64 exec, exec, s[16:17]
	s_cbranch_execz .LBB84_96
.LBB84_84:                              ; =>This Loop Header: Depth=1
                                        ;     Child Loop BB84_87 Depth 2
                                        ;     Child Loop BB84_92 Depth 2
	;; [unrolled: 1-line block ×3, first 2 shown]
	v_lshl_add_u32 v2, v0, 2, 0
	ds_read_b32 v5, v2
	s_and_b64 vcc, exec, s[12:13]
	s_cbranch_vccz .LBB84_89
; %bb.85:                               ;   in Loop: Header=BB84_84 Depth=1
	s_and_b64 vcc, exec, s[4:5]
	s_cbranch_vccnz .LBB84_90
; %bb.86:                               ;   in Loop: Header=BB84_84 Depth=1
	s_mov_b32 s23, 0
	v_mov_b32_e32 v2, s10
	v_mov_b32_e32 v3, 0
	s_mov_b32 s24, s20
	s_mov_b32 s22, 0
.LBB84_87:                              ;   Parent Loop BB84_84 Depth=1
                                        ; =>  This Inner Loop Header: Depth=2
	v_mov_b32_e32 v20, s23
	ds_read2_b32 v[6:7], v20 offset1:1
	ds_read2_b32 v[8:9], v20 offset0:2 offset1:3
	ds_read2_b32 v[10:11], v20 offset0:4 offset1:5
	;; [unrolled: 1-line block ×7, first 2 shown]
	s_waitcnt lgkmcnt(7)
	v_cmp_gt_i32_e32 vcc, v5, v7
	v_cndmask_b32_e64 v7, 0, 1, vcc
	v_cmp_gt_i32_e32 vcc, v5, v6
	s_waitcnt lgkmcnt(5)
	v_cmp_gt_i32_e64 s[8:9], v5, v10
	v_cndmask_b32_e64 v6, 0, 1, vcc
	v_cmp_gt_i32_e32 vcc, v5, v9
	v_cndmask_b32_e64 v9, 0, 1, s[8:9]
	v_cmp_gt_i32_e64 s[8:9], v5, v11
	v_cndmask_b32_e64 v10, 0, 1, s[8:9]
	s_waitcnt lgkmcnt(3)
	v_cmp_gt_i32_e64 s[8:9], v5, v15
	v_cndmask_b32_e64 v11, 0, 1, s[8:9]
	v_cmp_gt_i32_e64 s[8:9], v5, v14
	v_cndmask_b32_e64 v14, 0, 1, s[8:9]
	s_waitcnt lgkmcnt(1)
	v_cmp_gt_i32_e64 s[8:9], v5, v18
	v_cndmask_b32_e64 v15, 0, 1, s[8:9]
	v_cmp_gt_i32_e64 s[8:9], v5, v19
	v_cndmask_b32_e64 v18, 0, 1, s[8:9]
	v_cmp_gt_i32_e64 s[8:9], v5, v8
	v_addc_co_u32_e64 v2, s[8:9], v2, v6, s[8:9]
	v_addc_co_u32_e32 v3, vcc, v3, v7, vcc
	v_cmp_gt_i32_e32 vcc, v5, v12
	v_cmp_gt_i32_e64 s[8:9], v5, v13
	v_addc_co_u32_e64 v3, s[8:9], v3, v10, s[8:9]
	v_addc_co_u32_e32 v2, vcc, v2, v9, vcc
	v_cmp_gt_i32_e32 vcc, v5, v17
	v_cmp_gt_i32_e64 s[8:9], v5, v16
	v_addc_co_u32_e64 v2, s[8:9], v2, v14, s[8:9]
	v_addc_co_u32_e32 v3, vcc, v3, v11, vcc
	s_add_i32 s22, s22, 16
	s_add_i32 s23, s23, 64
	s_add_i32 s24, s24, -8
	s_waitcnt lgkmcnt(0)
	v_cmp_gt_i32_e32 vcc, v5, v20
	v_cmp_gt_i32_e64 s[8:9], v5, v21
	s_cmp_lg_u32 s24, 0
	v_addc_co_u32_e64 v3, s[8:9], v3, v18, s[8:9]
	v_addc_co_u32_e32 v2, vcc, v2, v15, vcc
	s_cbranch_scc1 .LBB84_87
; %bb.88:                               ;   in Loop: Header=BB84_84 Depth=1
	s_and_b64 vcc, exec, s[6:7]
	s_cbranch_vccz .LBB84_91
	s_branch .LBB84_93
.LBB84_89:                              ;   in Loop: Header=BB84_84 Depth=1
	v_mov_b32_e32 v2, s10
	s_mov_b32 s22, 0
	s_cbranch_execz .LBB84_83
	s_branch .LBB84_94
.LBB84_90:                              ;   in Loop: Header=BB84_84 Depth=1
	v_pk_mov_b32 v[2:3], s[10:11], s[10:11] op_sel:[0,1]
	s_mov_b32 s22, 0
	s_and_b64 vcc, exec, s[6:7]
	s_cbranch_vccnz .LBB84_93
.LBB84_91:                              ;   in Loop: Header=BB84_84 Depth=1
	s_lshl_b32 s8, s22, 2
	s_add_i32 s8, s8, 0
	s_mov_b32 s9, s21
.LBB84_92:                              ;   Parent Loop BB84_84 Depth=1
                                        ; =>  This Inner Loop Header: Depth=2
	v_mov_b32_e32 v6, s8
	ds_read2_b32 v[6:7], v6 offset1:1
	s_add_i32 s8, s8, 8
	s_add_i32 s9, s9, -8
	s_cmp_lg_u32 s9, 0
	s_waitcnt lgkmcnt(0)
	v_cmp_gt_i32_e32 vcc, v5, v7
	v_addc_co_u32_e32 v3, vcc, 0, v3, vcc
	v_cmp_gt_i32_e32 vcc, v5, v6
	v_addc_co_u32_e32 v2, vcc, 0, v2, vcc
	s_cbranch_scc1 .LBB84_92
.LBB84_93:                              ;   in Loop: Header=BB84_84 Depth=1
	v_add_u32_e32 v2, v2, v3
	s_mov_b32 s22, s19
	s_mov_b64 s[8:9], s[14:15]
	s_and_b64 vcc, exec, s[8:9]
	s_cbranch_vccz .LBB84_83
.LBB84_94:                              ;   in Loop: Header=BB84_84 Depth=1
	s_lshl_b32 s8, s22, 2
	s_add_i32 s8, s8, 0
.LBB84_95:                              ;   Parent Loop BB84_84 Depth=1
                                        ; =>  This Inner Loop Header: Depth=2
	v_mov_b32_e32 v3, s8
	ds_read_b32 v3, v3
	s_add_i32 s22, s22, 1
	s_add_i32 s8, s8, 4
	s_cmp_ge_i32 s22, s18
	s_waitcnt lgkmcnt(0)
	v_cmp_gt_i32_e32 vcc, v5, v3
	v_addc_co_u32_e32 v2, vcc, 0, v2, vcc
	s_cbranch_scc0 .LBB84_95
	s_branch .LBB84_83
.LBB84_96:
	s_endpgm
	.section	.rodata,"a",@progbits
	.p2align	6, 0x0
	.amdhsa_kernel _ZN9rocsparseL26csrgemm_fill_block_per_rowILj1024ELj64ELj32768ELj137ELj64Eii21rocsparse_complex_numIdEEEvT5_PKS3_S5_NS_24const_host_device_scalarIT6_EEPKT4_S5_PKS7_SB_S5_SD_S8_SB_S5_SD_SB_PS3_PS7_21rocsparse_index_base_SG_SG_SG_bbb
		.amdhsa_group_segment_fixed_size 0
		.amdhsa_private_segment_fixed_size 40
		.amdhsa_kernarg_size 172
		.amdhsa_user_sgpr_count 8
		.amdhsa_user_sgpr_private_segment_buffer 1
		.amdhsa_user_sgpr_dispatch_ptr 0
		.amdhsa_user_sgpr_queue_ptr 0
		.amdhsa_user_sgpr_kernarg_segment_ptr 1
		.amdhsa_user_sgpr_dispatch_id 0
		.amdhsa_user_sgpr_flat_scratch_init 1
		.amdhsa_user_sgpr_kernarg_preload_length 0
		.amdhsa_user_sgpr_kernarg_preload_offset 0
		.amdhsa_user_sgpr_private_segment_size 0
		.amdhsa_uses_dynamic_stack 0
		.amdhsa_system_sgpr_private_segment_wavefront_offset 1
		.amdhsa_system_sgpr_workgroup_id_x 1
		.amdhsa_system_sgpr_workgroup_id_y 0
		.amdhsa_system_sgpr_workgroup_id_z 0
		.amdhsa_system_sgpr_workgroup_info 0
		.amdhsa_system_vgpr_workitem_id 0
		.amdhsa_next_free_vgpr 34
		.amdhsa_next_free_sgpr 67
		.amdhsa_accum_offset 36
		.amdhsa_reserve_vcc 1
		.amdhsa_reserve_flat_scratch 1
		.amdhsa_float_round_mode_32 0
		.amdhsa_float_round_mode_16_64 0
		.amdhsa_float_denorm_mode_32 3
		.amdhsa_float_denorm_mode_16_64 3
		.amdhsa_dx10_clamp 1
		.amdhsa_ieee_mode 1
		.amdhsa_fp16_overflow 0
		.amdhsa_tg_split 0
		.amdhsa_exception_fp_ieee_invalid_op 0
		.amdhsa_exception_fp_denorm_src 0
		.amdhsa_exception_fp_ieee_div_zero 0
		.amdhsa_exception_fp_ieee_overflow 0
		.amdhsa_exception_fp_ieee_underflow 0
		.amdhsa_exception_fp_ieee_inexact 0
		.amdhsa_exception_int_div_zero 0
	.end_amdhsa_kernel
	.section	.text._ZN9rocsparseL26csrgemm_fill_block_per_rowILj1024ELj64ELj32768ELj137ELj64Eii21rocsparse_complex_numIdEEEvT5_PKS3_S5_NS_24const_host_device_scalarIT6_EEPKT4_S5_PKS7_SB_S5_SD_S8_SB_S5_SD_SB_PS3_PS7_21rocsparse_index_base_SG_SG_SG_bbb,"axG",@progbits,_ZN9rocsparseL26csrgemm_fill_block_per_rowILj1024ELj64ELj32768ELj137ELj64Eii21rocsparse_complex_numIdEEEvT5_PKS3_S5_NS_24const_host_device_scalarIT6_EEPKT4_S5_PKS7_SB_S5_SD_S8_SB_S5_SD_SB_PS3_PS7_21rocsparse_index_base_SG_SG_SG_bbb,comdat
.Lfunc_end84:
	.size	_ZN9rocsparseL26csrgemm_fill_block_per_rowILj1024ELj64ELj32768ELj137ELj64Eii21rocsparse_complex_numIdEEEvT5_PKS3_S5_NS_24const_host_device_scalarIT6_EEPKT4_S5_PKS7_SB_S5_SD_S8_SB_S5_SD_SB_PS3_PS7_21rocsparse_index_base_SG_SG_SG_bbb, .Lfunc_end84-_ZN9rocsparseL26csrgemm_fill_block_per_rowILj1024ELj64ELj32768ELj137ELj64Eii21rocsparse_complex_numIdEEEvT5_PKS3_S5_NS_24const_host_device_scalarIT6_EEPKT4_S5_PKS7_SB_S5_SD_S8_SB_S5_SD_SB_PS3_PS7_21rocsparse_index_base_SG_SG_SG_bbb
                                        ; -- End function
	.section	.AMDGPU.csdata,"",@progbits
; Kernel info:
; codeLenInByte = 3924
; NumSgprs: 73
; NumVgprs: 34
; NumAgprs: 0
; TotalNumVgprs: 34
; ScratchSize: 40
; MemoryBound: 0
; FloatMode: 240
; IeeeMode: 1
; LDSByteSize: 0 bytes/workgroup (compile time only)
; SGPRBlocks: 9
; VGPRBlocks: 4
; NumSGPRsForWavesPerEU: 73
; NumVGPRsForWavesPerEU: 34
; AccumOffset: 36
; Occupancy: 8
; WaveLimiterHint : 1
; COMPUTE_PGM_RSRC2:SCRATCH_EN: 1
; COMPUTE_PGM_RSRC2:USER_SGPR: 8
; COMPUTE_PGM_RSRC2:TRAP_HANDLER: 0
; COMPUTE_PGM_RSRC2:TGID_X_EN: 1
; COMPUTE_PGM_RSRC2:TGID_Y_EN: 0
; COMPUTE_PGM_RSRC2:TGID_Z_EN: 0
; COMPUTE_PGM_RSRC2:TIDIG_COMP_CNT: 0
; COMPUTE_PGM_RSRC3_GFX90A:ACCUM_OFFSET: 8
; COMPUTE_PGM_RSRC3_GFX90A:TG_SPLIT: 0
	.section	.text._ZN9rocsparseL36csrgemm_fill_block_per_row_multipassILj512ELj16ELj2048ELj32Eii21rocsparse_complex_numIdEEEvT4_PKS3_S5_NS_24const_host_device_scalarIT5_EEPKT3_S5_PKS7_SB_S5_SD_S8_SB_S5_SD_SB_PS3_PS7_PS9_21rocsparse_index_base_SH_SH_SH_bbb,"axG",@progbits,_ZN9rocsparseL36csrgemm_fill_block_per_row_multipassILj512ELj16ELj2048ELj32Eii21rocsparse_complex_numIdEEEvT4_PKS3_S5_NS_24const_host_device_scalarIT5_EEPKT3_S5_PKS7_SB_S5_SD_S8_SB_S5_SD_SB_PS3_PS7_PS9_21rocsparse_index_base_SH_SH_SH_bbb,comdat
	.globl	_ZN9rocsparseL36csrgemm_fill_block_per_row_multipassILj512ELj16ELj2048ELj32Eii21rocsparse_complex_numIdEEEvT4_PKS3_S5_NS_24const_host_device_scalarIT5_EEPKT3_S5_PKS7_SB_S5_SD_S8_SB_S5_SD_SB_PS3_PS7_PS9_21rocsparse_index_base_SH_SH_SH_bbb ; -- Begin function _ZN9rocsparseL36csrgemm_fill_block_per_row_multipassILj512ELj16ELj2048ELj32Eii21rocsparse_complex_numIdEEEvT4_PKS3_S5_NS_24const_host_device_scalarIT5_EEPKT3_S5_PKS7_SB_S5_SD_S8_SB_S5_SD_SB_PS3_PS7_PS9_21rocsparse_index_base_SH_SH_SH_bbb
	.p2align	8
	.type	_ZN9rocsparseL36csrgemm_fill_block_per_row_multipassILj512ELj16ELj2048ELj32Eii21rocsparse_complex_numIdEEEvT4_PKS3_S5_NS_24const_host_device_scalarIT5_EEPKT3_S5_PKS7_SB_S5_SD_S8_SB_S5_SD_SB_PS3_PS7_PS9_21rocsparse_index_base_SH_SH_SH_bbb,@function
_ZN9rocsparseL36csrgemm_fill_block_per_row_multipassILj512ELj16ELj2048ELj32Eii21rocsparse_complex_numIdEEEvT4_PKS3_S5_NS_24const_host_device_scalarIT5_EEPKT3_S5_PKS7_SB_S5_SD_S8_SB_S5_SD_SB_PS3_PS7_PS9_21rocsparse_index_base_SH_SH_SH_bbb: ; @_ZN9rocsparseL36csrgemm_fill_block_per_row_multipassILj512ELj16ELj2048ELj32Eii21rocsparse_complex_numIdEEEvT4_PKS3_S5_NS_24const_host_device_scalarIT5_EEPKT3_S5_PKS7_SB_S5_SD_S8_SB_S5_SD_SB_PS3_PS7_PS9_21rocsparse_index_base_SH_SH_SH_bbb
; %bb.0:
	s_load_dword s9, s[6:7], 0xb0
	s_load_dwordx8 s[12:19], s[6:7], 0x8
	s_load_dwordx4 s[56:59], s[6:7], 0xa0
	s_load_dwordx4 s[20:23], s[6:7], 0x58
	v_and_b32_e32 v24, 0x3ff, v0
	s_load_dwordx2 s[4:5], s[4:5], 0x4
	s_waitcnt lgkmcnt(0)
	s_bitcmp1_b32 s9, 0
	s_cselect_b64 s[10:11], -1, 0
	s_bitcmp1_b32 s9, 16
	s_cselect_b64 s[0:1], -1, 0
	s_lshr_b32 s4, s4, 16
	s_mul_i32 s4, s4, s5
	v_bfe_u32 v2, v0, 10, 10
	v_mul_lo_u32 v1, s4, v24
	v_mul_u32_u24_e32 v2, s5, v2
	v_bfe_u32 v0, v0, 20, 10
	v_add3_u32 v0, v1, v2, v0
	s_xor_b64 s[2:3], s[0:1], -1
	v_lshlrev_b32_e32 v1, 3, v0
	v_pk_mov_b32 v[10:11], 0, 0
	v_pk_mov_b32 v[2:3], s[16:17], s[16:17] op_sel:[0,1]
	v_pk_mov_b32 v[4:5], s[20:21], s[20:21] op_sel:[0,1]
	v_add_u32_e32 v6, 8, v1
	s_bitcmp0_b32 s9, 0
	v_pk_mov_b32 v[8:9], v[10:11], v[10:11] op_sel:[0,1]
	v_pk_mov_b32 v[12:13], v[10:11], v[10:11] op_sel:[0,1]
	ds_write2st64_b64 v6, v[4:5], v[2:3] offset0:68 offset1:76
	s_cbranch_scc1 .LBB85_3
; %bb.1:
	s_mov_b64 s[4:5], src_shared_base
	s_and_b64 s[24:25], s[0:1], exec
	v_add_u32_e32 v2, 0x9808, v1
	s_cselect_b32 s4, s5, s17
	v_mov_b32_e32 v3, s16
	v_cndmask_b32_e64 v2, v3, v2, s[0:1]
	v_mov_b32_e32 v3, s4
	flat_load_dwordx2 v[8:9], v[2:3]
	s_andn2_b64 vcc, exec, s[2:3]
	v_pk_mov_b32 v[12:13], s[18:19], s[18:19] op_sel:[0,1]
	s_cbranch_vccnz .LBB85_3
; %bb.2:
	v_pk_mov_b32 v[2:3], s[16:17], s[16:17] op_sel:[0,1]
	flat_load_dwordx2 v[12:13], v[2:3] offset:8
.LBB85_3:
	s_load_dwordx2 s[4:5], s[6:7], 0x28
	s_bitcmp1_b32 s9, 8
	s_cselect_b64 s[64:65], -1, 0
	s_bfe_u32 s9, s9, 0x10008
	s_cmp_eq_u32 s9, 0
	v_pk_mov_b32 v[14:15], v[10:11], v[10:11] op_sel:[0,1]
	s_cbranch_scc1 .LBB85_6
; %bb.4:
	s_mov_b64 s[16:17], src_shared_base
	s_and_b64 s[18:19], s[0:1], exec
	v_add_u32_e32 v1, 0x8808, v1
	s_cselect_b32 s9, s17, s21
	v_mov_b32_e32 v2, s20
	v_cndmask_b32_e64 v2, v2, v1, s[0:1]
	v_mov_b32_e32 v3, s9
	flat_load_dwordx2 v[14:15], v[2:3]
	s_andn2_b64 vcc, exec, s[2:3]
	v_pk_mov_b32 v[10:11], s[22:23], s[22:23] op_sel:[0,1]
	s_cbranch_vccnz .LBB85_6
; %bb.5:
	v_pk_mov_b32 v[2:3], s[20:21], s[20:21] op_sel:[0,1]
	flat_load_dwordx2 v[10:11], v[2:3] offset:8
.LBB85_6:
	s_load_dword s0, s[12:13], 0x0
	s_mov_b32 s67, 0
	v_cndmask_b32_e64 v1, 0, 1, s[10:11]
	s_waitcnt lgkmcnt(0)
	s_add_i32 s66, s0, s8
	s_lshl_b64 s[0:1], s[66:67], 2
	s_add_u32 s0, s14, s0
	s_addc_u32 s1, s15, s1
	s_load_dword s2, s[0:1], 0x0
	v_cmp_ne_u32_e64 s[0:1], 1, v1
	s_andn2_b64 vcc, exec, s[10:11]
	s_mov_b32 s8, 0
	s_cbranch_vccz .LBB85_9
; %bb.7:
	s_and_b64 vcc, exec, s[0:1]
	s_cbranch_vccz .LBB85_10
.LBB85_8:
	s_load_dword s33, s[6:7], 0x0
	s_waitcnt lgkmcnt(0)
	s_cmp_lt_i32 s33, 1
	s_cbranch_scc0 .LBB85_11
	s_branch .LBB85_64
.LBB85_9:
	s_waitcnt lgkmcnt(0)
	s_ashr_i32 s3, s2, 31
	s_lshl_b64 s[8:9], s[2:3], 2
	s_add_u32 s8, s4, s8
	s_addc_u32 s9, s5, s9
	s_load_dword s3, s[8:9], 0x0
	s_waitcnt lgkmcnt(0)
	s_sub_i32 s8, s3, s56
	s_and_b64 vcc, exec, s[0:1]
	s_cbranch_vccnz .LBB85_8
.LBB85_10:
	s_waitcnt lgkmcnt(0)
	s_ashr_i32 s3, s2, 31
	s_lshl_b64 s[0:1], s[2:3], 2
	s_add_u32 s0, s4, s0
	s_addc_u32 s1, s5, s1
	s_load_dword s0, s[0:1], 0x4
	s_waitcnt lgkmcnt(0)
	s_sub_i32 s67, s0, s56
	s_load_dword s33, s[6:7], 0x0
	s_waitcnt lgkmcnt(0)
	s_cmp_lt_i32 s33, 1
	s_cbranch_scc1 .LBB85_64
.LBB85_11:
	s_load_dwordx2 s[68:69], s[6:7], 0x98
	s_load_dwordx4 s[60:63], s[6:7], 0x88
	s_load_dwordx8 s[40:47], s[6:7], 0x68
	s_load_dwordx2 s[70:71], s[6:7], 0x50
	s_load_dwordx8 s[48:55], s[6:7], 0x30
	s_ashr_i32 s3, s2, 31
	s_lshl_b64 s[4:5], s[2:3], 2
	s_waitcnt lgkmcnt(0)
	s_add_u32 s0, s46, s4
	s_addc_u32 s1, s47, s5
	s_load_dword s0, s[0:1], 0x0
	v_lshrrev_b32_e32 v1, 4, v24
	v_add_u32_e32 v27, s8, v1
	v_mbcnt_lo_u32_b32 v1, -1, 0
	v_cmp_gt_i32_e32 vcc, s67, v27
	s_waitcnt lgkmcnt(0)
	s_sub_i32 s38, s0, s58
	s_add_u32 s40, s40, s4
	v_mbcnt_hi_u32_b32 v1, -1, v1
	v_mov_b32_e32 v2, 0xa808
	s_addc_u32 s41, s41, s5
	v_sub_u32_e32 v1, 63, v1
	s_and_b64 s[46:47], s[10:11], vcc
	v_and_b32_e32 v25, 15, v24
	v_lshl_add_u32 v26, v0, 4, v2
	v_mov_b32_e32 v0, 0
	v_lshrrev_b64 v[16:17], v1, -1
	v_lshrrev_b32_e32 v1, 3, v24
	s_movk_i32 s4, 0x1ff
	s_movk_i32 s10, 0x60
	;; [unrolled: 1-line block ×14, first 2 shown]
	s_add_u32 s66, s52, 4
	s_mov_b32 s92, 0
	v_cmp_eq_u32_e64 s[0:1], 0, v24
	v_cmp_eq_u32_e64 s[2:3], 15, v25
	v_subrev_u32_e32 v28, s59, v24
	v_and_b32_e32 v29, 60, v1
	v_cmp_eq_u32_e64 s[4:5], s4, v24
	v_cmp_gt_u32_e64 s[6:7], 32, v24
	v_cmp_gt_u32_e64 s[8:9], 64, v24
	v_cmp_gt_u32_e64 s[10:11], s10, v24
	v_cmp_gt_u32_e64 s[12:13], s12, v24
	v_cmp_gt_u32_e64 s[14:15], s14, v24
	v_cmp_gt_u32_e64 s[16:17], s16, v24
	v_cmp_gt_u32_e64 s[18:19], s18, v24
	v_cmp_gt_u32_e64 s[20:21], s20, v24
	v_cmp_gt_u32_e64 s[22:23], s22, v24
	v_cmp_gt_u32_e64 s[24:25], s24, v24
	v_cmp_gt_u32_e64 s[26:27], s26, v24
	v_cmp_gt_u32_e64 s[28:29], s28, v24
	v_cmp_gt_u32_e64 s[30:31], s30, v24
	v_cmp_gt_u32_e64 s[34:35], s34, v24
	v_cmp_gt_u32_e64 s[36:37], s36, v24
	s_addc_u32 s90, s53, 0
	v_or_b32_e32 v30, 0xfffffe00, v24
	v_lshlrev_b32_e32 v31, 4, v24
	v_mov_b32_e32 v34, 0x800
	v_mov_b32_e32 v32, s38
	;; [unrolled: 1-line block ×5, first 2 shown]
	s_movk_i32 s91, 0x5ff
	v_mov_b32_e32 v33, 1
	s_branch .LBB85_13
.LBB85_12:                              ;   in Loop: Header=BB85_13 Depth=1
	s_or_b64 exec, exec, s[38:39]
	ds_read_b32 v4, v0 offset:34816
	s_waitcnt lgkmcnt(0)
	s_barrier
	v_cmp_le_i32_e32 vcc, s33, v4
	v_readfirstlane_b32 s92, v4
	v_add_u32_e32 v34, 0x800, v4
	s_cbranch_vccnz .LBB85_64
.LBB85_13:                              ; =>This Loop Header: Depth=1
                                        ;     Child Loop BB85_14 Depth 2
                                        ;     Child Loop BB85_20 Depth 2
                                        ;       Child Loop BB85_26 Depth 3
                                        ;     Child Loop BB85_43 Depth 2
                                        ;     Child Loop BB85_55 Depth 2
	;; [unrolled: 1-line block ×3, first 2 shown]
	s_mov_b64 s[38:39], 0
	v_mov_b32_e32 v4, v31
	v_mov_b32_e32 v5, v30
.LBB85_14:                              ;   Parent Loop BB85_13 Depth=1
                                        ; =>  This Inner Loop Header: Depth=2
	ds_write_b8 v5, v0 offset:33280
	ds_write_b128 v4, v[0:3]
	v_add_u32_e32 v5, 0x200, v5
	v_cmp_lt_u32_e32 vcc, s91, v5
	s_or_b64 s[38:39], vcc, s[38:39]
	v_add_u32_e32 v4, 0x2000, v4
	s_andn2_b64 exec, exec, s[38:39]
	s_cbranch_execnz .LBB85_14
; %bb.15:                               ;   in Loop: Header=BB85_13 Depth=1
	s_or_b64 exec, exec, s[38:39]
	s_and_saveexec_b64 s[38:39], s[0:1]
	s_cbranch_execz .LBB85_17
; %bb.16:                               ;   in Loop: Header=BB85_13 Depth=1
	v_mov_b32_e32 v4, s33
	ds_write_b32 v0, v4 offset:34816
.LBB85_17:                              ;   in Loop: Header=BB85_13 Depth=1
	s_or_b64 exec, exec, s[38:39]
	v_mov_b32_e32 v35, s33
	s_waitcnt lgkmcnt(0)
	s_barrier
	s_and_saveexec_b64 s[72:73], s[46:47]
	s_cbranch_execz .LBB85_39
; %bb.18:                               ;   in Loop: Header=BB85_13 Depth=1
	s_cmp_lg_u32 s92, 0
	s_mov_b64 s[74:75], 0
	s_cselect_b64 s[76:77], -1, 0
	v_mov_b32_e32 v35, s33
	v_mov_b32_e32 v18, v27
	s_branch .LBB85_20
.LBB85_19:                              ;   in Loop: Header=BB85_20 Depth=2
	s_or_b64 exec, exec, s[38:39]
	v_add_u32_e32 v18, 32, v18
	v_cmp_le_i32_e32 vcc, s67, v18
	s_or_b64 s[74:75], vcc, s[74:75]
	s_andn2_b64 exec, exec, s[74:75]
	s_cbranch_execz .LBB85_38
.LBB85_20:                              ;   Parent Loop BB85_13 Depth=1
                                        ; =>  This Loop Header: Depth=2
                                        ;       Child Loop BB85_26 Depth 3
	v_ashrrev_i32_e32 v19, 31, v18
	v_lshlrev_b64 v[20:21], 2, v[18:19]
	v_mov_b32_e32 v5, s49
	v_add_co_u32_e32 v4, vcc, s48, v20
	v_addc_co_u32_e32 v5, vcc, v5, v21, vcc
	global_load_dword v22, v[4:5], off
	v_lshlrev_b64 v[4:5], 4, v[18:19]
	v_mov_b32_e32 v6, s51
	v_add_co_u32_e32 v4, vcc, s50, v4
	v_addc_co_u32_e32 v5, vcc, v6, v5, vcc
	global_load_dwordx4 v[4:7], v[4:5], off
	s_and_b64 vcc, exec, s[76:77]
	s_waitcnt vmcnt(0)
	v_subrev_u32_e32 v22, s56, v22
	v_ashrrev_i32_e32 v23, 31, v22
	s_cbranch_vccz .LBB85_37
; %bb.21:                               ;   in Loop: Header=BB85_20 Depth=2
	v_mov_b32_e32 v19, s69
	v_add_co_u32_e32 v36, vcc, s68, v20
	v_addc_co_u32_e32 v37, vcc, v19, v21, vcc
	global_load_dword v19, v[36:37], off
	s_cbranch_execnz .LBB85_23
.LBB85_22:                              ;   in Loop: Header=BB85_20 Depth=2
	v_lshlrev_b64 v[36:37], 2, v[22:23]
	s_waitcnt vmcnt(0)
	v_mov_b32_e32 v19, s53
	v_add_co_u32_e32 v36, vcc, s52, v36
	v_addc_co_u32_e32 v37, vcc, v19, v37, vcc
	global_load_dword v19, v[36:37], off
	s_waitcnt vmcnt(0)
	v_subrev_u32_e32 v19, s57, v19
.LBB85_23:                              ;   in Loop: Header=BB85_20 Depth=2
	v_lshlrev_b64 v[22:23], 2, v[22:23]
	v_mov_b32_e32 v36, s90
	v_add_co_u32_e32 v22, vcc, s66, v22
	v_addc_co_u32_e32 v23, vcc, v36, v23, vcc
	global_load_dword v22, v[22:23], off
	s_waitcnt vmcnt(1)
	v_add_u32_e32 v19, v19, v25
	s_waitcnt vmcnt(0)
	v_subrev_u32_e32 v36, s57, v22
	v_cmp_lt_i32_e32 vcc, v19, v36
	s_and_saveexec_b64 s[78:79], vcc
	s_cbranch_execz .LBB85_35
; %bb.24:                               ;   in Loop: Header=BB85_20 Depth=2
	v_mul_f64 v[22:23], v[6:7], -v[12:13]
	v_mul_f64 v[6:7], v[8:9], v[6:7]
	v_fmac_f64_e32 v[22:23], v[8:9], v[4:5]
	v_fmac_f64_e32 v[6:7], v[12:13], v[4:5]
	s_mov_b64 s[82:83], 0
	v_mov_b32_e32 v4, v19
                                        ; implicit-def: $sgpr80_sgpr81
                                        ; implicit-def: $sgpr84_sgpr85
	s_branch .LBB85_26
.LBB85_25:                              ;   in Loop: Header=BB85_26 Depth=3
	s_or_b64 exec, exec, s[86:87]
	s_and_b64 s[38:39], exec, s[88:89]
	s_or_b64 s[82:83], s[38:39], s[82:83]
	s_andn2_b64 s[38:39], s[80:81], exec
	s_and_b64 s[80:81], s[84:85], exec
	s_or_b64 s[80:81], s[38:39], s[80:81]
	v_mov_b32_e32 v4, v38
	s_andn2_b64 exec, exec, s[82:83]
	s_cbranch_execz .LBB85_32
.LBB85_26:                              ;   Parent Loop BB85_13 Depth=1
                                        ;     Parent Loop BB85_20 Depth=2
                                        ; =>    This Inner Loop Header: Depth=3
	v_ashrrev_i32_e32 v5, 31, v4
	v_lshlrev_b64 v[38:39], 2, v[4:5]
	v_mov_b32_e32 v37, s55
	v_add_co_u32_e32 v38, vcc, s54, v38
	v_addc_co_u32_e32 v39, vcc, v37, v39, vcc
	global_load_dword v37, v[38:39], off
                                        ; implicit-def: $sgpr86_sgpr87
	s_waitcnt vmcnt(0)
	v_subrev_u32_e32 v37, s57, v37
	v_cmp_gt_i32_e32 vcc, s92, v37
	v_cmp_ge_i32_e64 s[38:39], v37, v34
	s_or_b64 s[88:89], vcc, s[38:39]
	s_mov_b64 s[38:39], 0
	s_and_saveexec_b64 s[94:95], s[88:89]
	s_xor_b64 s[88:89], exec, s[94:95]
; %bb.27:                               ;   in Loop: Header=BB85_26 Depth=3
	v_cmp_lt_i32_e32 vcc, v37, v34
	s_mov_b64 s[86:87], -1
	s_and_b64 s[38:39], vcc, exec
; %bb.28:                               ;   in Loop: Header=BB85_26 Depth=3
	s_andn2_saveexec_b64 s[88:89], s[88:89]
	s_cbranch_execz .LBB85_30
; %bb.29:                               ;   in Loop: Header=BB85_26 Depth=3
	v_lshlrev_b64 v[38:39], 4, v[4:5]
	v_mov_b32_e32 v5, s71
	v_add_co_u32_e32 v38, vcc, s70, v38
	v_addc_co_u32_e32 v39, vcc, v5, v39, vcc
	global_load_dwordx4 v[38:41], v[38:39], off
	v_subrev_u32_e32 v5, s92, v37
	ds_write_b8 v5, v33 offset:32768
	v_lshlrev_b32_e32 v5, 4, v5
	s_or_b64 s[38:39], s[38:39], exec
	s_waitcnt vmcnt(0)
	v_mul_f64 v[42:43], v[40:41], -v[6:7]
	v_mul_f64 v[40:41], v[22:23], v[40:41]
	v_fmac_f64_e32 v[42:43], v[22:23], v[38:39]
	v_fmac_f64_e32 v[40:41], v[6:7], v[38:39]
	ds_add_f64 v5, v[42:43]
	ds_add_f64 v5, v[40:41] offset:8
.LBB85_30:                              ;   in Loop: Header=BB85_26 Depth=3
	s_or_b64 exec, exec, s[88:89]
	s_andn2_b64 s[84:85], s[84:85], exec
	s_and_b64 s[86:87], s[86:87], exec
	s_mov_b64 s[88:89], -1
	s_or_b64 s[84:85], s[84:85], s[86:87]
	v_mov_b32_e32 v5, v4
                                        ; implicit-def: $vgpr38
	s_and_saveexec_b64 s[86:87], s[38:39]
	s_cbranch_execz .LBB85_25
; %bb.31:                               ;   in Loop: Header=BB85_26 Depth=3
	v_add_u32_e32 v38, 16, v4
	v_cmp_ge_i32_e32 vcc, v38, v36
	s_andn2_b64 s[84:85], s[84:85], exec
	s_orn2_b64 s[88:89], vcc, exec
	v_mov_b32_e32 v5, v4
	s_branch .LBB85_25
.LBB85_32:                              ;   in Loop: Header=BB85_20 Depth=2
	s_or_b64 exec, exec, s[82:83]
	s_and_saveexec_b64 s[38:39], s[80:81]
	s_xor_b64 s[38:39], exec, s[38:39]
; %bb.33:                               ;   in Loop: Header=BB85_20 Depth=2
	v_min_i32_e32 v35, v37, v35
	v_mov_b32_e32 v19, v5
; %bb.34:                               ;   in Loop: Header=BB85_20 Depth=2
	s_or_b64 exec, exec, s[38:39]
.LBB85_35:                              ;   in Loop: Header=BB85_20 Depth=2
	s_or_b64 exec, exec, s[78:79]
	v_mov_b32_dpp v4, v19 row_shr:1 row_mask:0xf bank_mask:0xf
	v_min_i32_e32 v4, v4, v19
	s_nop 1
	v_mov_b32_dpp v5, v4 row_shr:2 row_mask:0xf bank_mask:0xf
	v_min_i32_e32 v4, v5, v4
	s_nop 1
	;; [unrolled: 3-line block ×3, first 2 shown]
	v_mov_b32_dpp v5, v4 row_shr:8 row_mask:0xf bank_mask:0xc
	s_and_saveexec_b64 s[38:39], s[2:3]
	s_cbranch_execz .LBB85_19
; %bb.36:                               ;   in Loop: Header=BB85_20 Depth=2
	v_min_i32_e32 v6, v5, v4
	v_mov_b32_e32 v5, s69
	v_add_co_u32_e32 v4, vcc, s68, v20
	v_addc_co_u32_e32 v5, vcc, v5, v21, vcc
	global_store_dword v[4:5], v6, off
	s_branch .LBB85_19
.LBB85_37:                              ;   in Loop: Header=BB85_20 Depth=2
                                        ; implicit-def: $vgpr19
	s_branch .LBB85_22
.LBB85_38:                              ;   in Loop: Header=BB85_13 Depth=1
	s_or_b64 exec, exec, s[74:75]
.LBB85_39:                              ;   in Loop: Header=BB85_13 Depth=1
	s_or_b64 exec, exec, s[72:73]
	s_andn2_b64 vcc, exec, s[64:65]
	s_cbranch_vccnz .LBB85_53
; %bb.40:                               ;   in Loop: Header=BB85_13 Depth=1
	s_load_dwordx2 s[38:39], s[40:41], 0x0
	s_waitcnt lgkmcnt(0)
	s_sub_i32 s84, s39, s59
	v_add_u32_e32 v4, s38, v28
	v_cmp_gt_i32_e32 vcc, s84, v4
	s_and_saveexec_b64 s[72:73], vcc
	s_cbranch_execz .LBB85_52
; %bb.41:                               ;   in Loop: Header=BB85_13 Depth=1
	s_mov_b64 s[74:75], 0
                                        ; implicit-def: $sgpr76_sgpr77
                                        ; implicit-def: $sgpr78_sgpr79
	s_branch .LBB85_43
.LBB85_42:                              ;   in Loop: Header=BB85_43 Depth=2
	s_or_b64 exec, exec, s[80:81]
	s_and_b64 s[38:39], exec, s[82:83]
	s_or_b64 s[74:75], s[38:39], s[74:75]
	s_andn2_b64 s[38:39], s[76:77], exec
	s_and_b64 s[76:77], s[78:79], exec
	s_or_b64 s[76:77], s[38:39], s[76:77]
	s_andn2_b64 exec, exec, s[74:75]
	s_cbranch_execz .LBB85_49
.LBB85_43:                              ;   Parent Loop BB85_13 Depth=1
                                        ; =>  This Inner Loop Header: Depth=2
	v_ashrrev_i32_e32 v5, 31, v4
	v_lshlrev_b64 v[6:7], 2, v[4:5]
	v_mov_b32_e32 v18, s43
	v_add_co_u32_e32 v6, vcc, s42, v6
	v_addc_co_u32_e32 v7, vcc, v18, v7, vcc
	global_load_dword v6, v[6:7], off
                                        ; implicit-def: $sgpr80_sgpr81
	s_waitcnt vmcnt(0)
	v_subrev_u32_e32 v6, s59, v6
	v_cmp_gt_i32_e32 vcc, s92, v6
	v_cmp_ge_i32_e64 s[38:39], v6, v34
	s_or_b64 s[82:83], vcc, s[38:39]
	s_mov_b64 s[38:39], 0
	s_and_saveexec_b64 s[86:87], s[82:83]
	s_xor_b64 s[82:83], exec, s[86:87]
; %bb.44:                               ;   in Loop: Header=BB85_43 Depth=2
	v_cmp_lt_i32_e32 vcc, v6, v34
	s_mov_b64 s[80:81], -1
	s_and_b64 s[38:39], vcc, exec
; %bb.45:                               ;   in Loop: Header=BB85_43 Depth=2
	s_andn2_saveexec_b64 s[82:83], s[82:83]
	s_cbranch_execz .LBB85_47
; %bb.46:                               ;   in Loop: Header=BB85_43 Depth=2
	v_lshlrev_b64 v[18:19], 4, v[4:5]
	v_mov_b32_e32 v5, s45
	v_add_co_u32_e32 v18, vcc, s44, v18
	v_addc_co_u32_e32 v19, vcc, v5, v19, vcc
	global_load_dwordx4 v[18:21], v[18:19], off
	v_subrev_u32_e32 v5, s92, v6
	ds_write_b8 v5, v33 offset:32768
	v_lshlrev_b32_e32 v5, 4, v5
	s_or_b64 s[38:39], s[38:39], exec
	s_waitcnt vmcnt(0)
	v_mul_f64 v[22:23], v[20:21], -v[10:11]
	v_mul_f64 v[20:21], v[14:15], v[20:21]
	v_fmac_f64_e32 v[22:23], v[14:15], v[18:19]
	v_fmac_f64_e32 v[20:21], v[10:11], v[18:19]
	ds_add_f64 v5, v[22:23]
	ds_add_f64 v5, v[20:21] offset:8
.LBB85_47:                              ;   in Loop: Header=BB85_43 Depth=2
	s_or_b64 exec, exec, s[82:83]
	s_andn2_b64 s[78:79], s[78:79], exec
	s_and_b64 s[80:81], s[80:81], exec
	s_mov_b64 s[82:83], -1
	s_or_b64 s[78:79], s[78:79], s[80:81]
	s_and_saveexec_b64 s[80:81], s[38:39]
	s_cbranch_execz .LBB85_42
; %bb.48:                               ;   in Loop: Header=BB85_43 Depth=2
	v_add_u32_e32 v4, 0x200, v4
	v_cmp_le_i32_e32 vcc, s84, v4
	s_andn2_b64 s[78:79], s[78:79], exec
	s_orn2_b64 s[82:83], vcc, exec
	s_branch .LBB85_42
.LBB85_49:                              ;   in Loop: Header=BB85_13 Depth=1
	s_or_b64 exec, exec, s[74:75]
	s_and_saveexec_b64 s[38:39], s[76:77]
	s_xor_b64 s[38:39], exec, s[38:39]
; %bb.50:                               ;   in Loop: Header=BB85_13 Depth=1
	v_min_i32_e32 v35, v6, v35
; %bb.51:                               ;   in Loop: Header=BB85_13 Depth=1
	s_or_b64 exec, exec, s[38:39]
.LBB85_52:                              ;   in Loop: Header=BB85_13 Depth=1
	s_or_b64 exec, exec, s[72:73]
.LBB85_53:                              ;   in Loop: Header=BB85_13 Depth=1
	v_mov_b32_dpp v4, v35 row_shr:1 row_mask:0xf bank_mask:0xf
	v_min_i32_e32 v4, v4, v35
	s_nop 1
	v_mov_b32_dpp v5, v4 row_shr:2 row_mask:0xf bank_mask:0xf
	v_min_i32_e32 v4, v5, v4
	s_nop 1
	;; [unrolled: 3-line block ×3, first 2 shown]
	v_mov_b32_dpp v5, v4 row_shr:8 row_mask:0xf bank_mask:0xc
	s_and_saveexec_b64 s[38:39], s[2:3]
	s_cbranch_execz .LBB85_58
; %bb.54:                               ;   in Loop: Header=BB85_13 Depth=1
	s_mov_b64 s[72:73], exec
	v_min_i32_e32 v4, v5, v4
	s_brev_b32 s74, -2
.LBB85_55:                              ;   Parent Loop BB85_13 Depth=1
                                        ; =>  This Inner Loop Header: Depth=2
	s_ff1_i32_b64 s75, s[72:73]
	v_readlane_b32 s78, v4, s75
	s_lshl_b64 s[76:77], 1, s75
	s_min_i32 s74, s74, s78
	s_andn2_b64 s[72:73], s[72:73], s[76:77]
	s_cmp_lg_u64 s[72:73], 0
	s_cbranch_scc1 .LBB85_55
; %bb.56:                               ;   in Loop: Header=BB85_13 Depth=1
	v_mbcnt_lo_u32_b32 v4, exec_lo, 0
	v_mbcnt_hi_u32_b32 v4, exec_hi, v4
	v_cmp_eq_u32_e32 vcc, 0, v4
	s_and_saveexec_b64 s[72:73], vcc
	s_xor_b64 s[72:73], exec, s[72:73]
	s_cbranch_execz .LBB85_58
; %bb.57:                               ;   in Loop: Header=BB85_13 Depth=1
	v_mov_b32_e32 v4, s74
	ds_min_i32 v0, v4 offset:34816
.LBB85_58:                              ;   in Loop: Header=BB85_13 Depth=1
	s_or_b64 exec, exec, s[38:39]
	s_add_i32 s74, s58, s92
	s_mov_b64 s[38:39], 0
	v_mov_b32_e32 v4, v31
	v_mov_b32_e32 v5, v24
	s_waitcnt lgkmcnt(0)
	s_barrier
	s_branch .LBB85_60
.LBB85_59:                              ;   in Loop: Header=BB85_60 Depth=2
	s_or_b64 exec, exec, s[72:73]
	s_waitcnt lgkmcnt(0)
	s_barrier
	ds_read_b32 v6, v0 offset:60
	v_add_u32_e32 v7, 0x200, v5
	v_cmp_lt_u32_e32 vcc, s91, v5
	v_add_u32_e32 v4, 0x2000, v4
	s_or_b64 s[38:39], vcc, s[38:39]
	s_waitcnt lgkmcnt(0)
	v_add_u32_e32 v32, v6, v32
	v_mov_b32_e32 v5, v7
	s_andn2_b64 exec, exec, s[38:39]
	s_cbranch_execz .LBB85_12
.LBB85_60:                              ;   Parent Loop BB85_13 Depth=1
                                        ; =>  This Inner Loop Header: Depth=2
	ds_read2_b64 v[18:21], v4 offset1:1
	ds_read_u8 v7, v5 offset:32768
	s_waitcnt lgkmcnt(0)
	ds_write2_b64 v26, v[18:19], v[20:21] offset1:1
	v_cmp_ne_u16_e32 vcc, 0, v7
	s_bcnt1_i32_b64 s72, vcc
	v_and_b32_e32 v18, vcc_lo, v16
	v_bcnt_u32_b32 v22, v18, 0
	v_mov_b32_e32 v18, s72
	s_waitcnt lgkmcnt(0)
	s_barrier
	ds_write_b32 v29, v18
	s_waitcnt lgkmcnt(0)
	s_barrier
	ds_read_b128 v[18:21], v0
	v_and_b32_e32 v6, vcc_hi, v17
	ds_read_b128 v[34:37], v0 offset:16
	ds_read_b128 v[38:41], v0 offset:32
	ds_read_b96 v[42:44], v0 offset:48
	v_bcnt_u32_b32 v6, v6, v22
	v_and_b32_e32 v7, 1, v7
	s_waitcnt lgkmcnt(0)
	v_cndmask_b32_e64 v18, v18, 0, s[6:7]
	v_add_u32_e32 v6, v18, v6
	v_cndmask_b32_e64 v18, v19, 0, s[8:9]
	v_cndmask_b32_e64 v19, v20, 0, s[10:11]
	v_add3_u32 v6, v6, v18, v19
	v_cndmask_b32_e64 v18, v21, 0, s[12:13]
	v_cndmask_b32_e64 v19, v34, 0, s[14:15]
	v_add3_u32 v6, v6, v18, v19
	;; [unrolled: 3-line block ×7, first 2 shown]
	v_cmp_eq_u32_e32 vcc, 1, v7
	s_and_saveexec_b64 s[72:73], vcc
	s_cbranch_execz .LBB85_62
; %bb.61:                               ;   in Loop: Header=BB85_60 Depth=2
	v_add3_u32 v18, v32, v6, -1
	v_ashrrev_i32_e32 v19, 31, v18
	v_lshlrev_b64 v[20:21], 2, v[18:19]
	v_mov_b32_e32 v23, s61
	v_add_co_u32_e32 v22, vcc, s60, v20
	v_addc_co_u32_e32 v23, vcc, v23, v21, vcc
	v_lshlrev_b64 v[34:35], 4, v[18:19]
	ds_read2_b64 v[18:21], v26 offset1:1
	v_add_u32_e32 v7, s74, v5
	v_mov_b32_e32 v36, s63
	v_add_co_u32_e32 v34, vcc, s62, v34
	v_addc_co_u32_e32 v35, vcc, v36, v35, vcc
	global_store_dword v[22:23], v7, off
	s_waitcnt lgkmcnt(0)
	global_store_dwordx4 v[34:35], v[18:21], off
.LBB85_62:                              ;   in Loop: Header=BB85_60 Depth=2
	s_or_b64 exec, exec, s[72:73]
	s_and_saveexec_b64 s[72:73], s[4:5]
	s_cbranch_execz .LBB85_59
; %bb.63:                               ;   in Loop: Header=BB85_60 Depth=2
	ds_write_b32 v0, v6 offset:60
	s_branch .LBB85_59
.LBB85_64:
	s_endpgm
	.section	.rodata,"a",@progbits
	.p2align	6, 0x0
	.amdhsa_kernel _ZN9rocsparseL36csrgemm_fill_block_per_row_multipassILj512ELj16ELj2048ELj32Eii21rocsparse_complex_numIdEEEvT4_PKS3_S5_NS_24const_host_device_scalarIT5_EEPKT3_S5_PKS7_SB_S5_SD_S8_SB_S5_SD_SB_PS3_PS7_PS9_21rocsparse_index_base_SH_SH_SH_bbb
		.amdhsa_group_segment_fixed_size 51208
		.amdhsa_private_segment_fixed_size 0
		.amdhsa_kernarg_size 180
		.amdhsa_user_sgpr_count 8
		.amdhsa_user_sgpr_private_segment_buffer 1
		.amdhsa_user_sgpr_dispatch_ptr 1
		.amdhsa_user_sgpr_queue_ptr 0
		.amdhsa_user_sgpr_kernarg_segment_ptr 1
		.amdhsa_user_sgpr_dispatch_id 0
		.amdhsa_user_sgpr_flat_scratch_init 0
		.amdhsa_user_sgpr_kernarg_preload_length 0
		.amdhsa_user_sgpr_kernarg_preload_offset 0
		.amdhsa_user_sgpr_private_segment_size 0
		.amdhsa_uses_dynamic_stack 0
		.amdhsa_system_sgpr_private_segment_wavefront_offset 0
		.amdhsa_system_sgpr_workgroup_id_x 1
		.amdhsa_system_sgpr_workgroup_id_y 0
		.amdhsa_system_sgpr_workgroup_id_z 0
		.amdhsa_system_sgpr_workgroup_info 0
		.amdhsa_system_vgpr_workitem_id 2
		.amdhsa_next_free_vgpr 45
		.amdhsa_next_free_sgpr 96
		.amdhsa_accum_offset 48
		.amdhsa_reserve_vcc 1
		.amdhsa_reserve_flat_scratch 0
		.amdhsa_float_round_mode_32 0
		.amdhsa_float_round_mode_16_64 0
		.amdhsa_float_denorm_mode_32 3
		.amdhsa_float_denorm_mode_16_64 3
		.amdhsa_dx10_clamp 1
		.amdhsa_ieee_mode 1
		.amdhsa_fp16_overflow 0
		.amdhsa_tg_split 0
		.amdhsa_exception_fp_ieee_invalid_op 0
		.amdhsa_exception_fp_denorm_src 0
		.amdhsa_exception_fp_ieee_div_zero 0
		.amdhsa_exception_fp_ieee_overflow 0
		.amdhsa_exception_fp_ieee_underflow 0
		.amdhsa_exception_fp_ieee_inexact 0
		.amdhsa_exception_int_div_zero 0
	.end_amdhsa_kernel
	.section	.text._ZN9rocsparseL36csrgemm_fill_block_per_row_multipassILj512ELj16ELj2048ELj32Eii21rocsparse_complex_numIdEEEvT4_PKS3_S5_NS_24const_host_device_scalarIT5_EEPKT3_S5_PKS7_SB_S5_SD_S8_SB_S5_SD_SB_PS3_PS7_PS9_21rocsparse_index_base_SH_SH_SH_bbb,"axG",@progbits,_ZN9rocsparseL36csrgemm_fill_block_per_row_multipassILj512ELj16ELj2048ELj32Eii21rocsparse_complex_numIdEEEvT4_PKS3_S5_NS_24const_host_device_scalarIT5_EEPKT3_S5_PKS7_SB_S5_SD_S8_SB_S5_SD_SB_PS3_PS7_PS9_21rocsparse_index_base_SH_SH_SH_bbb,comdat
.Lfunc_end85:
	.size	_ZN9rocsparseL36csrgemm_fill_block_per_row_multipassILj512ELj16ELj2048ELj32Eii21rocsparse_complex_numIdEEEvT4_PKS3_S5_NS_24const_host_device_scalarIT5_EEPKT3_S5_PKS7_SB_S5_SD_S8_SB_S5_SD_SB_PS3_PS7_PS9_21rocsparse_index_base_SH_SH_SH_bbb, .Lfunc_end85-_ZN9rocsparseL36csrgemm_fill_block_per_row_multipassILj512ELj16ELj2048ELj32Eii21rocsparse_complex_numIdEEEvT4_PKS3_S5_NS_24const_host_device_scalarIT5_EEPKT3_S5_PKS7_SB_S5_SD_S8_SB_S5_SD_SB_PS3_PS7_PS9_21rocsparse_index_base_SH_SH_SH_bbb
                                        ; -- End function
	.section	.AMDGPU.csdata,"",@progbits
; Kernel info:
; codeLenInByte = 2848
; NumSgprs: 100
; NumVgprs: 45
; NumAgprs: 0
; TotalNumVgprs: 45
; ScratchSize: 0
; MemoryBound: 0
; FloatMode: 240
; IeeeMode: 1
; LDSByteSize: 51208 bytes/workgroup (compile time only)
; SGPRBlocks: 12
; VGPRBlocks: 5
; NumSGPRsForWavesPerEU: 100
; NumVGPRsForWavesPerEU: 45
; AccumOffset: 48
; Occupancy: 2
; WaveLimiterHint : 1
; COMPUTE_PGM_RSRC2:SCRATCH_EN: 0
; COMPUTE_PGM_RSRC2:USER_SGPR: 8
; COMPUTE_PGM_RSRC2:TRAP_HANDLER: 0
; COMPUTE_PGM_RSRC2:TGID_X_EN: 1
; COMPUTE_PGM_RSRC2:TGID_Y_EN: 0
; COMPUTE_PGM_RSRC2:TGID_Z_EN: 0
; COMPUTE_PGM_RSRC2:TIDIG_COMP_CNT: 2
; COMPUTE_PGM_RSRC3_GFX90A:ACCUM_OFFSET: 11
; COMPUTE_PGM_RSRC3_GFX90A:TG_SPLIT: 0
	.section	.text._ZN9rocsparseL36csrgemm_fill_block_per_row_multipassILj512ELj16ELj2048ELj64Eii21rocsparse_complex_numIdEEEvT4_PKS3_S5_NS_24const_host_device_scalarIT5_EEPKT3_S5_PKS7_SB_S5_SD_S8_SB_S5_SD_SB_PS3_PS7_PS9_21rocsparse_index_base_SH_SH_SH_bbb,"axG",@progbits,_ZN9rocsparseL36csrgemm_fill_block_per_row_multipassILj512ELj16ELj2048ELj64Eii21rocsparse_complex_numIdEEEvT4_PKS3_S5_NS_24const_host_device_scalarIT5_EEPKT3_S5_PKS7_SB_S5_SD_S8_SB_S5_SD_SB_PS3_PS7_PS9_21rocsparse_index_base_SH_SH_SH_bbb,comdat
	.globl	_ZN9rocsparseL36csrgemm_fill_block_per_row_multipassILj512ELj16ELj2048ELj64Eii21rocsparse_complex_numIdEEEvT4_PKS3_S5_NS_24const_host_device_scalarIT5_EEPKT3_S5_PKS7_SB_S5_SD_S8_SB_S5_SD_SB_PS3_PS7_PS9_21rocsparse_index_base_SH_SH_SH_bbb ; -- Begin function _ZN9rocsparseL36csrgemm_fill_block_per_row_multipassILj512ELj16ELj2048ELj64Eii21rocsparse_complex_numIdEEEvT4_PKS3_S5_NS_24const_host_device_scalarIT5_EEPKT3_S5_PKS7_SB_S5_SD_S8_SB_S5_SD_SB_PS3_PS7_PS9_21rocsparse_index_base_SH_SH_SH_bbb
	.p2align	8
	.type	_ZN9rocsparseL36csrgemm_fill_block_per_row_multipassILj512ELj16ELj2048ELj64Eii21rocsparse_complex_numIdEEEvT4_PKS3_S5_NS_24const_host_device_scalarIT5_EEPKT3_S5_PKS7_SB_S5_SD_S8_SB_S5_SD_SB_PS3_PS7_PS9_21rocsparse_index_base_SH_SH_SH_bbb,@function
_ZN9rocsparseL36csrgemm_fill_block_per_row_multipassILj512ELj16ELj2048ELj64Eii21rocsparse_complex_numIdEEEvT4_PKS3_S5_NS_24const_host_device_scalarIT5_EEPKT3_S5_PKS7_SB_S5_SD_S8_SB_S5_SD_SB_PS3_PS7_PS9_21rocsparse_index_base_SH_SH_SH_bbb: ; @_ZN9rocsparseL36csrgemm_fill_block_per_row_multipassILj512ELj16ELj2048ELj64Eii21rocsparse_complex_numIdEEEvT4_PKS3_S5_NS_24const_host_device_scalarIT5_EEPKT3_S5_PKS7_SB_S5_SD_S8_SB_S5_SD_SB_PS3_PS7_PS9_21rocsparse_index_base_SH_SH_SH_bbb
; %bb.0:
	s_load_dword s9, s[6:7], 0xb0
	s_load_dwordx8 s[12:19], s[6:7], 0x8
	s_load_dwordx4 s[28:31], s[6:7], 0xa0
	s_load_dwordx4 s[20:23], s[6:7], 0x58
	v_and_b32_e32 v24, 0x3ff, v0
	s_load_dwordx2 s[4:5], s[4:5], 0x4
	s_waitcnt lgkmcnt(0)
	s_bitcmp1_b32 s9, 0
	s_cselect_b64 s[10:11], -1, 0
	s_bitcmp1_b32 s9, 16
	s_cselect_b64 s[0:1], -1, 0
	s_lshr_b32 s4, s4, 16
	s_mul_i32 s4, s4, s5
	v_bfe_u32 v2, v0, 10, 10
	v_mul_lo_u32 v1, s4, v24
	v_mul_u32_u24_e32 v2, s5, v2
	v_bfe_u32 v0, v0, 20, 10
	v_add3_u32 v0, v1, v2, v0
	s_xor_b64 s[2:3], s[0:1], -1
	v_lshlrev_b32_e32 v1, 3, v0
	v_pk_mov_b32 v[10:11], 0, 0
	v_pk_mov_b32 v[2:3], s[16:17], s[16:17] op_sel:[0,1]
	v_pk_mov_b32 v[4:5], s[20:21], s[20:21] op_sel:[0,1]
	v_add_u32_e32 v6, 8, v1
	s_bitcmp0_b32 s9, 0
	v_pk_mov_b32 v[8:9], v[10:11], v[10:11] op_sel:[0,1]
	v_pk_mov_b32 v[12:13], v[10:11], v[10:11] op_sel:[0,1]
	ds_write2st64_b64 v6, v[4:5], v[2:3] offset0:68 offset1:76
	s_cbranch_scc1 .LBB86_3
; %bb.1:
	s_mov_b64 s[4:5], src_shared_base
	s_and_b64 s[24:25], s[0:1], exec
	v_add_u32_e32 v2, 0x9808, v1
	s_cselect_b32 s4, s5, s17
	v_mov_b32_e32 v3, s16
	v_cndmask_b32_e64 v2, v3, v2, s[0:1]
	v_mov_b32_e32 v3, s4
	flat_load_dwordx2 v[8:9], v[2:3]
	s_andn2_b64 vcc, exec, s[2:3]
	v_pk_mov_b32 v[12:13], s[18:19], s[18:19] op_sel:[0,1]
	s_cbranch_vccnz .LBB86_3
; %bb.2:
	v_pk_mov_b32 v[2:3], s[16:17], s[16:17] op_sel:[0,1]
	flat_load_dwordx2 v[12:13], v[2:3] offset:8
.LBB86_3:
	s_load_dwordx2 s[4:5], s[6:7], 0x28
	s_bitcmp1_b32 s9, 8
	s_cselect_b64 s[34:35], -1, 0
	s_bfe_u32 s9, s9, 0x10008
	s_cmp_eq_u32 s9, 0
	v_pk_mov_b32 v[14:15], v[10:11], v[10:11] op_sel:[0,1]
	s_cbranch_scc1 .LBB86_6
; %bb.4:
	s_mov_b64 s[16:17], src_shared_base
	s_and_b64 s[18:19], s[0:1], exec
	v_add_u32_e32 v1, 0x8808, v1
	s_cselect_b32 s9, s17, s21
	v_mov_b32_e32 v2, s20
	v_cndmask_b32_e64 v2, v2, v1, s[0:1]
	v_mov_b32_e32 v3, s9
	flat_load_dwordx2 v[14:15], v[2:3]
	s_andn2_b64 vcc, exec, s[2:3]
	v_pk_mov_b32 v[10:11], s[22:23], s[22:23] op_sel:[0,1]
	s_cbranch_vccnz .LBB86_6
; %bb.5:
	v_pk_mov_b32 v[2:3], s[20:21], s[20:21] op_sel:[0,1]
	flat_load_dwordx2 v[10:11], v[2:3] offset:8
.LBB86_6:
	s_load_dword s0, s[12:13], 0x0
	s_mov_b32 s49, 0
	v_cndmask_b32_e64 v1, 0, 1, s[10:11]
	s_waitcnt lgkmcnt(0)
	s_add_i32 s48, s0, s8
	s_lshl_b64 s[0:1], s[48:49], 2
	s_add_u32 s0, s14, s0
	s_addc_u32 s1, s15, s1
	s_load_dword s2, s[0:1], 0x0
	v_cmp_ne_u32_e64 s[0:1], 1, v1
	s_andn2_b64 vcc, exec, s[10:11]
	s_mov_b32 s8, 0
	s_cbranch_vccz .LBB86_9
; %bb.7:
	s_and_b64 vcc, exec, s[0:1]
	s_cbranch_vccz .LBB86_10
.LBB86_8:
	s_load_dword s33, s[6:7], 0x0
	s_waitcnt lgkmcnt(0)
	s_cmp_lt_i32 s33, 1
	s_cbranch_scc0 .LBB86_11
	s_branch .LBB86_64
.LBB86_9:
	s_waitcnt lgkmcnt(0)
	s_ashr_i32 s3, s2, 31
	s_lshl_b64 s[8:9], s[2:3], 2
	s_add_u32 s8, s4, s8
	s_addc_u32 s9, s5, s9
	s_load_dword s3, s[8:9], 0x0
	s_waitcnt lgkmcnt(0)
	s_sub_i32 s8, s3, s28
	s_and_b64 vcc, exec, s[0:1]
	s_cbranch_vccnz .LBB86_8
.LBB86_10:
	s_waitcnt lgkmcnt(0)
	s_ashr_i32 s3, s2, 31
	s_lshl_b64 s[0:1], s[2:3], 2
	s_add_u32 s0, s4, s0
	s_addc_u32 s1, s5, s1
	s_load_dword s0, s[0:1], 0x4
	s_waitcnt lgkmcnt(0)
	s_sub_i32 s49, s0, s28
	s_load_dword s33, s[6:7], 0x0
	s_waitcnt lgkmcnt(0)
	s_cmp_lt_i32 s33, 1
	s_cbranch_scc1 .LBB86_64
.LBB86_11:
	s_load_dwordx2 s[50:51], s[6:7], 0x98
	s_load_dwordx4 s[44:47], s[6:7], 0x88
	s_load_dwordx8 s[20:27], s[6:7], 0x68
	s_load_dwordx2 s[52:53], s[6:7], 0x50
	s_load_dwordx8 s[36:43], s[6:7], 0x30
	s_ashr_i32 s3, s2, 31
	s_lshl_b64 s[4:5], s[2:3], 2
	s_waitcnt lgkmcnt(0)
	s_add_u32 s0, s26, s4
	s_addc_u32 s1, s27, s5
	s_load_dword s0, s[0:1], 0x0
	v_lshrrev_b32_e32 v1, 4, v24
	v_mov_b32_e32 v2, 0xa808
	v_add_u32_e32 v27, s8, v1
	v_lshl_add_u32 v26, v0, 4, v2
	s_waitcnt lgkmcnt(0)
	s_sub_i32 s56, s0, s30
	v_cmp_gt_i32_e32 vcc, s49, v27
	s_add_u32 s26, s20, s4
	v_mbcnt_lo_u32_b32 v2, -1, 0
	s_addc_u32 s27, s21, s5
	v_mbcnt_hi_u32_b32 v2, -1, v2
	s_and_b64 s[54:55], s[10:11], vcc
	v_and_b32_e32 v25, 15, v24
	v_mov_b32_e32 v0, 0
	v_sub_u32_e32 v2, 63, v2
	s_movk_i32 s4, 0x1ff
	s_movk_i32 s8, 0x80
	;; [unrolled: 1-line block ×7, first 2 shown]
	s_add_u32 s48, s40, 4
	s_mov_b32 s76, 0
	v_cmp_eq_u32_e64 s[0:1], 0, v24
	v_cmp_eq_u32_e64 s[2:3], 15, v25
	v_subrev_u32_e32 v28, s31, v24
	v_lshrrev_b64 v[16:17], v2, -1
	v_and_b32_e32 v29, 28, v1
	v_cmp_eq_u32_e64 s[4:5], s4, v24
	v_cmp_gt_u32_e64 s[6:7], 64, v24
	v_cmp_gt_u32_e64 s[8:9], s8, v24
	;; [unrolled: 1-line block ×7, first 2 shown]
	s_addc_u32 s74, s41, 0
	v_or_b32_e32 v30, 0xfffffe00, v24
	v_lshlrev_b32_e32 v31, 4, v24
	v_mov_b32_e32 v34, 0x800
	v_mov_b32_e32 v32, s56
	;; [unrolled: 1-line block ×5, first 2 shown]
	s_movk_i32 s75, 0x5ff
	v_mov_b32_e32 v33, 1
	s_branch .LBB86_13
.LBB86_12:                              ;   in Loop: Header=BB86_13 Depth=1
	s_or_b64 exec, exec, s[20:21]
	ds_read_b32 v4, v0 offset:34816
	s_waitcnt lgkmcnt(0)
	s_barrier
	v_cmp_le_i32_e32 vcc, s33, v4
	v_readfirstlane_b32 s76, v4
	v_add_u32_e32 v34, 0x800, v4
	s_cbranch_vccnz .LBB86_64
.LBB86_13:                              ; =>This Loop Header: Depth=1
                                        ;     Child Loop BB86_14 Depth 2
                                        ;     Child Loop BB86_20 Depth 2
                                        ;       Child Loop BB86_26 Depth 3
                                        ;     Child Loop BB86_43 Depth 2
                                        ;     Child Loop BB86_55 Depth 2
	;; [unrolled: 1-line block ×3, first 2 shown]
	s_mov_b64 s[20:21], 0
	v_mov_b32_e32 v4, v31
	v_mov_b32_e32 v5, v30
.LBB86_14:                              ;   Parent Loop BB86_13 Depth=1
                                        ; =>  This Inner Loop Header: Depth=2
	ds_write_b8 v5, v0 offset:33280
	ds_write_b128 v4, v[0:3]
	v_add_u32_e32 v5, 0x200, v5
	v_cmp_lt_u32_e32 vcc, s75, v5
	s_or_b64 s[20:21], vcc, s[20:21]
	v_add_u32_e32 v4, 0x2000, v4
	s_andn2_b64 exec, exec, s[20:21]
	s_cbranch_execnz .LBB86_14
; %bb.15:                               ;   in Loop: Header=BB86_13 Depth=1
	s_or_b64 exec, exec, s[20:21]
	s_and_saveexec_b64 s[20:21], s[0:1]
	s_cbranch_execz .LBB86_17
; %bb.16:                               ;   in Loop: Header=BB86_13 Depth=1
	v_mov_b32_e32 v4, s33
	ds_write_b32 v0, v4 offset:34816
.LBB86_17:                              ;   in Loop: Header=BB86_13 Depth=1
	s_or_b64 exec, exec, s[20:21]
	v_mov_b32_e32 v35, s33
	s_waitcnt lgkmcnt(0)
	s_barrier
	s_and_saveexec_b64 s[56:57], s[54:55]
	s_cbranch_execz .LBB86_39
; %bb.18:                               ;   in Loop: Header=BB86_13 Depth=1
	s_cmp_lg_u32 s76, 0
	s_mov_b64 s[58:59], 0
	s_cselect_b64 s[60:61], -1, 0
	v_mov_b32_e32 v35, s33
	v_mov_b32_e32 v18, v27
	s_branch .LBB86_20
.LBB86_19:                              ;   in Loop: Header=BB86_20 Depth=2
	s_or_b64 exec, exec, s[20:21]
	v_add_u32_e32 v18, 32, v18
	v_cmp_le_i32_e32 vcc, s49, v18
	s_or_b64 s[58:59], vcc, s[58:59]
	s_andn2_b64 exec, exec, s[58:59]
	s_cbranch_execz .LBB86_38
.LBB86_20:                              ;   Parent Loop BB86_13 Depth=1
                                        ; =>  This Loop Header: Depth=2
                                        ;       Child Loop BB86_26 Depth 3
	v_ashrrev_i32_e32 v19, 31, v18
	v_lshlrev_b64 v[20:21], 2, v[18:19]
	v_mov_b32_e32 v5, s37
	v_add_co_u32_e32 v4, vcc, s36, v20
	v_addc_co_u32_e32 v5, vcc, v5, v21, vcc
	global_load_dword v22, v[4:5], off
	v_lshlrev_b64 v[4:5], 4, v[18:19]
	v_mov_b32_e32 v6, s39
	v_add_co_u32_e32 v4, vcc, s38, v4
	v_addc_co_u32_e32 v5, vcc, v6, v5, vcc
	global_load_dwordx4 v[4:7], v[4:5], off
	s_and_b64 vcc, exec, s[60:61]
	s_waitcnt vmcnt(0)
	v_subrev_u32_e32 v22, s28, v22
	v_ashrrev_i32_e32 v23, 31, v22
	s_cbranch_vccz .LBB86_37
; %bb.21:                               ;   in Loop: Header=BB86_20 Depth=2
	v_mov_b32_e32 v19, s51
	v_add_co_u32_e32 v36, vcc, s50, v20
	v_addc_co_u32_e32 v37, vcc, v19, v21, vcc
	global_load_dword v19, v[36:37], off
	s_cbranch_execnz .LBB86_23
.LBB86_22:                              ;   in Loop: Header=BB86_20 Depth=2
	v_lshlrev_b64 v[36:37], 2, v[22:23]
	s_waitcnt vmcnt(0)
	v_mov_b32_e32 v19, s41
	v_add_co_u32_e32 v36, vcc, s40, v36
	v_addc_co_u32_e32 v37, vcc, v19, v37, vcc
	global_load_dword v19, v[36:37], off
	s_waitcnt vmcnt(0)
	v_subrev_u32_e32 v19, s29, v19
.LBB86_23:                              ;   in Loop: Header=BB86_20 Depth=2
	v_lshlrev_b64 v[22:23], 2, v[22:23]
	v_mov_b32_e32 v36, s74
	v_add_co_u32_e32 v22, vcc, s48, v22
	v_addc_co_u32_e32 v23, vcc, v36, v23, vcc
	global_load_dword v22, v[22:23], off
	s_waitcnt vmcnt(1)
	v_add_u32_e32 v19, v19, v25
	s_waitcnt vmcnt(0)
	v_subrev_u32_e32 v36, s29, v22
	v_cmp_lt_i32_e32 vcc, v19, v36
	s_and_saveexec_b64 s[62:63], vcc
	s_cbranch_execz .LBB86_35
; %bb.24:                               ;   in Loop: Header=BB86_20 Depth=2
	v_mul_f64 v[22:23], v[6:7], -v[12:13]
	v_mul_f64 v[6:7], v[8:9], v[6:7]
	v_fmac_f64_e32 v[22:23], v[8:9], v[4:5]
	v_fmac_f64_e32 v[6:7], v[12:13], v[4:5]
	s_mov_b64 s[66:67], 0
	v_mov_b32_e32 v4, v19
                                        ; implicit-def: $sgpr64_sgpr65
                                        ; implicit-def: $sgpr68_sgpr69
	s_branch .LBB86_26
.LBB86_25:                              ;   in Loop: Header=BB86_26 Depth=3
	s_or_b64 exec, exec, s[70:71]
	s_and_b64 s[20:21], exec, s[72:73]
	s_or_b64 s[66:67], s[20:21], s[66:67]
	s_andn2_b64 s[20:21], s[64:65], exec
	s_and_b64 s[64:65], s[68:69], exec
	s_or_b64 s[64:65], s[20:21], s[64:65]
	v_mov_b32_e32 v4, v38
	s_andn2_b64 exec, exec, s[66:67]
	s_cbranch_execz .LBB86_32
.LBB86_26:                              ;   Parent Loop BB86_13 Depth=1
                                        ;     Parent Loop BB86_20 Depth=2
                                        ; =>    This Inner Loop Header: Depth=3
	v_ashrrev_i32_e32 v5, 31, v4
	v_lshlrev_b64 v[38:39], 2, v[4:5]
	v_mov_b32_e32 v37, s43
	v_add_co_u32_e32 v38, vcc, s42, v38
	v_addc_co_u32_e32 v39, vcc, v37, v39, vcc
	global_load_dword v37, v[38:39], off
                                        ; implicit-def: $sgpr70_sgpr71
	s_waitcnt vmcnt(0)
	v_subrev_u32_e32 v37, s29, v37
	v_cmp_gt_i32_e32 vcc, s76, v37
	v_cmp_ge_i32_e64 s[20:21], v37, v34
	s_or_b64 s[72:73], vcc, s[20:21]
	s_mov_b64 s[20:21], 0
	s_and_saveexec_b64 s[78:79], s[72:73]
	s_xor_b64 s[72:73], exec, s[78:79]
; %bb.27:                               ;   in Loop: Header=BB86_26 Depth=3
	v_cmp_lt_i32_e32 vcc, v37, v34
	s_mov_b64 s[70:71], -1
	s_and_b64 s[20:21], vcc, exec
; %bb.28:                               ;   in Loop: Header=BB86_26 Depth=3
	s_andn2_saveexec_b64 s[72:73], s[72:73]
	s_cbranch_execz .LBB86_30
; %bb.29:                               ;   in Loop: Header=BB86_26 Depth=3
	v_lshlrev_b64 v[38:39], 4, v[4:5]
	v_mov_b32_e32 v5, s53
	v_add_co_u32_e32 v38, vcc, s52, v38
	v_addc_co_u32_e32 v39, vcc, v5, v39, vcc
	global_load_dwordx4 v[38:41], v[38:39], off
	v_subrev_u32_e32 v5, s76, v37
	ds_write_b8 v5, v33 offset:32768
	v_lshlrev_b32_e32 v5, 4, v5
	s_or_b64 s[20:21], s[20:21], exec
	s_waitcnt vmcnt(0)
	v_mul_f64 v[42:43], v[40:41], -v[6:7]
	v_mul_f64 v[40:41], v[22:23], v[40:41]
	v_fmac_f64_e32 v[42:43], v[22:23], v[38:39]
	v_fmac_f64_e32 v[40:41], v[6:7], v[38:39]
	ds_add_f64 v5, v[42:43]
	ds_add_f64 v5, v[40:41] offset:8
.LBB86_30:                              ;   in Loop: Header=BB86_26 Depth=3
	s_or_b64 exec, exec, s[72:73]
	s_andn2_b64 s[68:69], s[68:69], exec
	s_and_b64 s[70:71], s[70:71], exec
	s_mov_b64 s[72:73], -1
	s_or_b64 s[68:69], s[68:69], s[70:71]
	v_mov_b32_e32 v5, v4
                                        ; implicit-def: $vgpr38
	s_and_saveexec_b64 s[70:71], s[20:21]
	s_cbranch_execz .LBB86_25
; %bb.31:                               ;   in Loop: Header=BB86_26 Depth=3
	v_add_u32_e32 v38, 16, v4
	v_cmp_ge_i32_e32 vcc, v38, v36
	s_andn2_b64 s[68:69], s[68:69], exec
	s_orn2_b64 s[72:73], vcc, exec
	v_mov_b32_e32 v5, v4
	s_branch .LBB86_25
.LBB86_32:                              ;   in Loop: Header=BB86_20 Depth=2
	s_or_b64 exec, exec, s[66:67]
	s_and_saveexec_b64 s[20:21], s[64:65]
	s_xor_b64 s[20:21], exec, s[20:21]
; %bb.33:                               ;   in Loop: Header=BB86_20 Depth=2
	v_min_i32_e32 v35, v37, v35
	v_mov_b32_e32 v19, v5
; %bb.34:                               ;   in Loop: Header=BB86_20 Depth=2
	s_or_b64 exec, exec, s[20:21]
.LBB86_35:                              ;   in Loop: Header=BB86_20 Depth=2
	s_or_b64 exec, exec, s[62:63]
	v_mov_b32_dpp v4, v19 row_shr:1 row_mask:0xf bank_mask:0xf
	v_min_i32_e32 v4, v4, v19
	s_nop 1
	v_mov_b32_dpp v5, v4 row_shr:2 row_mask:0xf bank_mask:0xf
	v_min_i32_e32 v4, v5, v4
	s_nop 1
	;; [unrolled: 3-line block ×3, first 2 shown]
	v_mov_b32_dpp v5, v4 row_shr:8 row_mask:0xf bank_mask:0xc
	s_and_saveexec_b64 s[20:21], s[2:3]
	s_cbranch_execz .LBB86_19
; %bb.36:                               ;   in Loop: Header=BB86_20 Depth=2
	v_min_i32_e32 v6, v5, v4
	v_mov_b32_e32 v5, s51
	v_add_co_u32_e32 v4, vcc, s50, v20
	v_addc_co_u32_e32 v5, vcc, v5, v21, vcc
	global_store_dword v[4:5], v6, off
	s_branch .LBB86_19
.LBB86_37:                              ;   in Loop: Header=BB86_20 Depth=2
                                        ; implicit-def: $vgpr19
	s_branch .LBB86_22
.LBB86_38:                              ;   in Loop: Header=BB86_13 Depth=1
	s_or_b64 exec, exec, s[58:59]
.LBB86_39:                              ;   in Loop: Header=BB86_13 Depth=1
	s_or_b64 exec, exec, s[56:57]
	s_andn2_b64 vcc, exec, s[34:35]
	s_cbranch_vccnz .LBB86_53
; %bb.40:                               ;   in Loop: Header=BB86_13 Depth=1
	s_load_dwordx2 s[20:21], s[26:27], 0x0
	s_waitcnt lgkmcnt(0)
	s_sub_i32 s68, s21, s31
	v_add_u32_e32 v4, s20, v28
	v_cmp_gt_i32_e32 vcc, s68, v4
	s_and_saveexec_b64 s[56:57], vcc
	s_cbranch_execz .LBB86_52
; %bb.41:                               ;   in Loop: Header=BB86_13 Depth=1
	s_mov_b64 s[58:59], 0
                                        ; implicit-def: $sgpr60_sgpr61
                                        ; implicit-def: $sgpr62_sgpr63
	s_branch .LBB86_43
.LBB86_42:                              ;   in Loop: Header=BB86_43 Depth=2
	s_or_b64 exec, exec, s[64:65]
	s_and_b64 s[20:21], exec, s[66:67]
	s_or_b64 s[58:59], s[20:21], s[58:59]
	s_andn2_b64 s[20:21], s[60:61], exec
	s_and_b64 s[60:61], s[62:63], exec
	s_or_b64 s[60:61], s[20:21], s[60:61]
	s_andn2_b64 exec, exec, s[58:59]
	s_cbranch_execz .LBB86_49
.LBB86_43:                              ;   Parent Loop BB86_13 Depth=1
                                        ; =>  This Inner Loop Header: Depth=2
	v_ashrrev_i32_e32 v5, 31, v4
	v_lshlrev_b64 v[6:7], 2, v[4:5]
	v_mov_b32_e32 v18, s23
	v_add_co_u32_e32 v6, vcc, s22, v6
	v_addc_co_u32_e32 v7, vcc, v18, v7, vcc
	global_load_dword v6, v[6:7], off
                                        ; implicit-def: $sgpr64_sgpr65
	s_waitcnt vmcnt(0)
	v_subrev_u32_e32 v6, s31, v6
	v_cmp_gt_i32_e32 vcc, s76, v6
	v_cmp_ge_i32_e64 s[20:21], v6, v34
	s_or_b64 s[66:67], vcc, s[20:21]
	s_mov_b64 s[20:21], 0
	s_and_saveexec_b64 s[70:71], s[66:67]
	s_xor_b64 s[66:67], exec, s[70:71]
; %bb.44:                               ;   in Loop: Header=BB86_43 Depth=2
	v_cmp_lt_i32_e32 vcc, v6, v34
	s_mov_b64 s[64:65], -1
	s_and_b64 s[20:21], vcc, exec
; %bb.45:                               ;   in Loop: Header=BB86_43 Depth=2
	s_andn2_saveexec_b64 s[66:67], s[66:67]
	s_cbranch_execz .LBB86_47
; %bb.46:                               ;   in Loop: Header=BB86_43 Depth=2
	v_lshlrev_b64 v[18:19], 4, v[4:5]
	v_mov_b32_e32 v5, s25
	v_add_co_u32_e32 v18, vcc, s24, v18
	v_addc_co_u32_e32 v19, vcc, v5, v19, vcc
	global_load_dwordx4 v[18:21], v[18:19], off
	v_subrev_u32_e32 v5, s76, v6
	ds_write_b8 v5, v33 offset:32768
	v_lshlrev_b32_e32 v5, 4, v5
	s_or_b64 s[20:21], s[20:21], exec
	s_waitcnt vmcnt(0)
	v_mul_f64 v[22:23], v[20:21], -v[10:11]
	v_mul_f64 v[20:21], v[14:15], v[20:21]
	v_fmac_f64_e32 v[22:23], v[14:15], v[18:19]
	v_fmac_f64_e32 v[20:21], v[10:11], v[18:19]
	ds_add_f64 v5, v[22:23]
	ds_add_f64 v5, v[20:21] offset:8
.LBB86_47:                              ;   in Loop: Header=BB86_43 Depth=2
	s_or_b64 exec, exec, s[66:67]
	s_andn2_b64 s[62:63], s[62:63], exec
	s_and_b64 s[64:65], s[64:65], exec
	s_mov_b64 s[66:67], -1
	s_or_b64 s[62:63], s[62:63], s[64:65]
	s_and_saveexec_b64 s[64:65], s[20:21]
	s_cbranch_execz .LBB86_42
; %bb.48:                               ;   in Loop: Header=BB86_43 Depth=2
	v_add_u32_e32 v4, 0x200, v4
	v_cmp_le_i32_e32 vcc, s68, v4
	s_andn2_b64 s[62:63], s[62:63], exec
	s_orn2_b64 s[66:67], vcc, exec
	s_branch .LBB86_42
.LBB86_49:                              ;   in Loop: Header=BB86_13 Depth=1
	s_or_b64 exec, exec, s[58:59]
	s_and_saveexec_b64 s[20:21], s[60:61]
	s_xor_b64 s[20:21], exec, s[20:21]
; %bb.50:                               ;   in Loop: Header=BB86_13 Depth=1
	v_min_i32_e32 v35, v6, v35
; %bb.51:                               ;   in Loop: Header=BB86_13 Depth=1
	s_or_b64 exec, exec, s[20:21]
.LBB86_52:                              ;   in Loop: Header=BB86_13 Depth=1
	s_or_b64 exec, exec, s[56:57]
.LBB86_53:                              ;   in Loop: Header=BB86_13 Depth=1
	v_mov_b32_dpp v4, v35 row_shr:1 row_mask:0xf bank_mask:0xf
	v_min_i32_e32 v4, v4, v35
	s_nop 1
	v_mov_b32_dpp v5, v4 row_shr:2 row_mask:0xf bank_mask:0xf
	v_min_i32_e32 v4, v5, v4
	s_nop 1
	;; [unrolled: 3-line block ×3, first 2 shown]
	v_mov_b32_dpp v5, v4 row_shr:8 row_mask:0xf bank_mask:0xc
	s_and_saveexec_b64 s[20:21], s[2:3]
	s_cbranch_execz .LBB86_58
; %bb.54:                               ;   in Loop: Header=BB86_13 Depth=1
	s_mov_b64 s[56:57], exec
	v_min_i32_e32 v4, v5, v4
	s_brev_b32 s58, -2
.LBB86_55:                              ;   Parent Loop BB86_13 Depth=1
                                        ; =>  This Inner Loop Header: Depth=2
	s_ff1_i32_b64 s59, s[56:57]
	v_readlane_b32 s62, v4, s59
	s_lshl_b64 s[60:61], 1, s59
	s_min_i32 s58, s58, s62
	s_andn2_b64 s[56:57], s[56:57], s[60:61]
	s_cmp_lg_u64 s[56:57], 0
	s_cbranch_scc1 .LBB86_55
; %bb.56:                               ;   in Loop: Header=BB86_13 Depth=1
	v_mbcnt_lo_u32_b32 v4, exec_lo, 0
	v_mbcnt_hi_u32_b32 v4, exec_hi, v4
	v_cmp_eq_u32_e32 vcc, 0, v4
	s_and_saveexec_b64 s[56:57], vcc
	s_xor_b64 s[56:57], exec, s[56:57]
	s_cbranch_execz .LBB86_58
; %bb.57:                               ;   in Loop: Header=BB86_13 Depth=1
	v_mov_b32_e32 v4, s58
	ds_min_i32 v0, v4 offset:34816
.LBB86_58:                              ;   in Loop: Header=BB86_13 Depth=1
	s_or_b64 exec, exec, s[20:21]
	s_add_i32 s58, s30, s76
	s_mov_b64 s[20:21], 0
	v_mov_b32_e32 v4, v31
	v_mov_b32_e32 v5, v24
	s_waitcnt lgkmcnt(0)
	s_barrier
	s_branch .LBB86_60
.LBB86_59:                              ;   in Loop: Header=BB86_60 Depth=2
	s_or_b64 exec, exec, s[56:57]
	s_waitcnt lgkmcnt(0)
	s_barrier
	ds_read_b32 v6, v0 offset:28
	v_add_u32_e32 v7, 0x200, v5
	v_cmp_lt_u32_e32 vcc, s75, v5
	v_add_u32_e32 v4, 0x2000, v4
	s_or_b64 s[20:21], vcc, s[20:21]
	s_waitcnt lgkmcnt(0)
	v_add_u32_e32 v32, v6, v32
	v_mov_b32_e32 v5, v7
	s_andn2_b64 exec, exec, s[20:21]
	s_cbranch_execz .LBB86_12
.LBB86_60:                              ;   Parent Loop BB86_13 Depth=1
                                        ; =>  This Inner Loop Header: Depth=2
	ds_read2_b64 v[18:21], v4 offset1:1
	ds_read_u8 v7, v5 offset:32768
	s_waitcnt lgkmcnt(0)
	ds_write2_b64 v26, v[18:19], v[20:21] offset1:1
	v_cmp_ne_u16_e32 vcc, 0, v7
	s_bcnt1_i32_b64 s56, vcc
	v_mov_b32_e32 v18, s56
	s_waitcnt lgkmcnt(0)
	s_barrier
	ds_write_b32 v29, v18
	s_waitcnt lgkmcnt(0)
	s_barrier
	ds_read_b128 v[18:21], v0
	ds_read_b96 v[34:36], v0 offset:16
	v_and_b32_e32 v22, vcc_lo, v16
	v_and_b32_e32 v6, vcc_hi, v17
	v_bcnt_u32_b32 v22, v22, 0
	v_bcnt_u32_b32 v6, v6, v22
	s_waitcnt lgkmcnt(0)
	v_cndmask_b32_e64 v18, v18, 0, s[6:7]
	v_add_u32_e32 v6, v18, v6
	v_cndmask_b32_e64 v18, v19, 0, s[8:9]
	v_cndmask_b32_e64 v19, v20, 0, s[10:11]
	v_add3_u32 v6, v6, v18, v19
	v_cndmask_b32_e64 v18, v21, 0, s[12:13]
	v_cndmask_b32_e64 v19, v34, 0, s[14:15]
	v_add3_u32 v6, v6, v18, v19
	v_cndmask_b32_e64 v18, v35, 0, s[16:17]
	v_cndmask_b32_e64 v19, v36, 0, s[18:19]
	v_and_b32_e32 v7, 1, v7
	v_add3_u32 v6, v6, v18, v19
	v_cmp_eq_u32_e32 vcc, 1, v7
	s_and_saveexec_b64 s[56:57], vcc
	s_cbranch_execz .LBB86_62
; %bb.61:                               ;   in Loop: Header=BB86_60 Depth=2
	v_add3_u32 v18, v32, v6, -1
	v_ashrrev_i32_e32 v19, 31, v18
	v_lshlrev_b64 v[20:21], 2, v[18:19]
	v_mov_b32_e32 v23, s45
	v_add_co_u32_e32 v22, vcc, s44, v20
	v_addc_co_u32_e32 v23, vcc, v23, v21, vcc
	v_lshlrev_b64 v[34:35], 4, v[18:19]
	ds_read2_b64 v[18:21], v26 offset1:1
	v_add_u32_e32 v7, s58, v5
	v_mov_b32_e32 v36, s47
	v_add_co_u32_e32 v34, vcc, s46, v34
	v_addc_co_u32_e32 v35, vcc, v36, v35, vcc
	global_store_dword v[22:23], v7, off
	s_waitcnt lgkmcnt(0)
	global_store_dwordx4 v[34:35], v[18:21], off
.LBB86_62:                              ;   in Loop: Header=BB86_60 Depth=2
	s_or_b64 exec, exec, s[56:57]
	s_and_saveexec_b64 s[56:57], s[4:5]
	s_cbranch_execz .LBB86_59
; %bb.63:                               ;   in Loop: Header=BB86_60 Depth=2
	ds_write_b32 v0, v6 offset:28
	s_branch .LBB86_59
.LBB86_64:
	s_endpgm
	.section	.rodata,"a",@progbits
	.p2align	6, 0x0
	.amdhsa_kernel _ZN9rocsparseL36csrgemm_fill_block_per_row_multipassILj512ELj16ELj2048ELj64Eii21rocsparse_complex_numIdEEEvT4_PKS3_S5_NS_24const_host_device_scalarIT5_EEPKT3_S5_PKS7_SB_S5_SD_S8_SB_S5_SD_SB_PS3_PS7_PS9_21rocsparse_index_base_SH_SH_SH_bbb
		.amdhsa_group_segment_fixed_size 51208
		.amdhsa_private_segment_fixed_size 0
		.amdhsa_kernarg_size 180
		.amdhsa_user_sgpr_count 8
		.amdhsa_user_sgpr_private_segment_buffer 1
		.amdhsa_user_sgpr_dispatch_ptr 1
		.amdhsa_user_sgpr_queue_ptr 0
		.amdhsa_user_sgpr_kernarg_segment_ptr 1
		.amdhsa_user_sgpr_dispatch_id 0
		.amdhsa_user_sgpr_flat_scratch_init 0
		.amdhsa_user_sgpr_kernarg_preload_length 0
		.amdhsa_user_sgpr_kernarg_preload_offset 0
		.amdhsa_user_sgpr_private_segment_size 0
		.amdhsa_uses_dynamic_stack 0
		.amdhsa_system_sgpr_private_segment_wavefront_offset 0
		.amdhsa_system_sgpr_workgroup_id_x 1
		.amdhsa_system_sgpr_workgroup_id_y 0
		.amdhsa_system_sgpr_workgroup_id_z 0
		.amdhsa_system_sgpr_workgroup_info 0
		.amdhsa_system_vgpr_workitem_id 2
		.amdhsa_next_free_vgpr 44
		.amdhsa_next_free_sgpr 80
		.amdhsa_accum_offset 44
		.amdhsa_reserve_vcc 1
		.amdhsa_reserve_flat_scratch 0
		.amdhsa_float_round_mode_32 0
		.amdhsa_float_round_mode_16_64 0
		.amdhsa_float_denorm_mode_32 3
		.amdhsa_float_denorm_mode_16_64 3
		.amdhsa_dx10_clamp 1
		.amdhsa_ieee_mode 1
		.amdhsa_fp16_overflow 0
		.amdhsa_tg_split 0
		.amdhsa_exception_fp_ieee_invalid_op 0
		.amdhsa_exception_fp_denorm_src 0
		.amdhsa_exception_fp_ieee_div_zero 0
		.amdhsa_exception_fp_ieee_overflow 0
		.amdhsa_exception_fp_ieee_underflow 0
		.amdhsa_exception_fp_ieee_inexact 0
		.amdhsa_exception_int_div_zero 0
	.end_amdhsa_kernel
	.section	.text._ZN9rocsparseL36csrgemm_fill_block_per_row_multipassILj512ELj16ELj2048ELj64Eii21rocsparse_complex_numIdEEEvT4_PKS3_S5_NS_24const_host_device_scalarIT5_EEPKT3_S5_PKS7_SB_S5_SD_S8_SB_S5_SD_SB_PS3_PS7_PS9_21rocsparse_index_base_SH_SH_SH_bbb,"axG",@progbits,_ZN9rocsparseL36csrgemm_fill_block_per_row_multipassILj512ELj16ELj2048ELj64Eii21rocsparse_complex_numIdEEEvT4_PKS3_S5_NS_24const_host_device_scalarIT5_EEPKT3_S5_PKS7_SB_S5_SD_S8_SB_S5_SD_SB_PS3_PS7_PS9_21rocsparse_index_base_SH_SH_SH_bbb,comdat
.Lfunc_end86:
	.size	_ZN9rocsparseL36csrgemm_fill_block_per_row_multipassILj512ELj16ELj2048ELj64Eii21rocsparse_complex_numIdEEEvT4_PKS3_S5_NS_24const_host_device_scalarIT5_EEPKT3_S5_PKS7_SB_S5_SD_S8_SB_S5_SD_SB_PS3_PS7_PS9_21rocsparse_index_base_SH_SH_SH_bbb, .Lfunc_end86-_ZN9rocsparseL36csrgemm_fill_block_per_row_multipassILj512ELj16ELj2048ELj64Eii21rocsparse_complex_numIdEEEvT4_PKS3_S5_NS_24const_host_device_scalarIT5_EEPKT3_S5_PKS7_SB_S5_SD_S8_SB_S5_SD_SB_PS3_PS7_PS9_21rocsparse_index_base_SH_SH_SH_bbb
                                        ; -- End function
	.section	.AMDGPU.csdata,"",@progbits
; Kernel info:
; codeLenInByte = 2640
; NumSgprs: 84
; NumVgprs: 44
; NumAgprs: 0
; TotalNumVgprs: 44
; ScratchSize: 0
; MemoryBound: 0
; FloatMode: 240
; IeeeMode: 1
; LDSByteSize: 51208 bytes/workgroup (compile time only)
; SGPRBlocks: 10
; VGPRBlocks: 5
; NumSGPRsForWavesPerEU: 84
; NumVGPRsForWavesPerEU: 44
; AccumOffset: 44
; Occupancy: 2
; WaveLimiterHint : 1
; COMPUTE_PGM_RSRC2:SCRATCH_EN: 0
; COMPUTE_PGM_RSRC2:USER_SGPR: 8
; COMPUTE_PGM_RSRC2:TRAP_HANDLER: 0
; COMPUTE_PGM_RSRC2:TGID_X_EN: 1
; COMPUTE_PGM_RSRC2:TGID_Y_EN: 0
; COMPUTE_PGM_RSRC2:TGID_Z_EN: 0
; COMPUTE_PGM_RSRC2:TIDIG_COMP_CNT: 2
; COMPUTE_PGM_RSRC3_GFX90A:ACCUM_OFFSET: 10
; COMPUTE_PGM_RSRC3_GFX90A:TG_SPLIT: 0
	.section	.text._ZN9rocsparseL25csrgemm_max_row_nnz_part1ILj256EllEEvT1_PKT0_PS1_,"axG",@progbits,_ZN9rocsparseL25csrgemm_max_row_nnz_part1ILj256EllEEvT1_PKT0_PS1_,comdat
	.globl	_ZN9rocsparseL25csrgemm_max_row_nnz_part1ILj256EllEEvT1_PKT0_PS1_ ; -- Begin function _ZN9rocsparseL25csrgemm_max_row_nnz_part1ILj256EllEEvT1_PKT0_PS1_
	.p2align	8
	.type	_ZN9rocsparseL25csrgemm_max_row_nnz_part1ILj256EllEEvT1_PKT0_PS1_,@function
_ZN9rocsparseL25csrgemm_max_row_nnz_part1ILj256EllEEvT1_PKT0_PS1_: ; @_ZN9rocsparseL25csrgemm_max_row_nnz_part1ILj256EllEEvT1_PKT0_PS1_
; %bb.0:
	s_load_dwordx2 s[0:1], s[4:5], 0x0
	s_load_dwordx2 s[2:3], s[4:5], 0x10
	v_lshl_or_b32 v2, s6, 8, v0
	v_mov_b32_e32 v3, 0
	v_pk_mov_b32 v[4:5], 0, 0
	s_waitcnt lgkmcnt(0)
	v_cmp_gt_i64_e32 vcc, s[0:1], v[2:3]
	s_and_saveexec_b64 s[8:9], vcc
	s_cbranch_execz .LBB87_4
; %bb.1:
	s_load_dword s7, s[4:5], 0x18
	s_load_dwordx2 s[10:11], s[4:5], 0x8
	s_mov_b32 s5, 0
	v_lshlrev_b64 v[4:5], 3, v[2:3]
	s_waitcnt lgkmcnt(0)
	s_lshl_b32 s4, s7, 8
	v_mov_b32_e32 v1, s11
	v_add_co_u32_e32 v6, vcc, s10, v4
	s_lshl_b64 s[12:13], s[4:5], 3
	v_addc_co_u32_e32 v7, vcc, v1, v5, vcc
	s_mov_b64 s[10:11], 0
	v_pk_mov_b32 v[4:5], 0, 0
	v_mov_b32_e32 v1, s5
	v_mov_b32_e32 v8, s13
.LBB87_2:                               ; =>This Inner Loop Header: Depth=1
	global_load_dwordx4 v[10:13], v[6:7], off
	v_add_co_u32_e32 v2, vcc, s4, v2
	v_addc_co_u32_e32 v3, vcc, v3, v1, vcc
	v_add_co_u32_e32 v6, vcc, s12, v6
	v_addc_co_u32_e32 v7, vcc, v7, v8, vcc
	v_cmp_le_i64_e32 vcc, s[0:1], v[2:3]
	s_or_b64 s[10:11], vcc, s[10:11]
	s_waitcnt vmcnt(0)
	v_sub_co_u32_e32 v10, vcc, v12, v10
	v_subb_co_u32_e32 v11, vcc, v13, v11, vcc
	v_cmp_gt_i64_e32 vcc, v[4:5], v[10:11]
	v_cndmask_b32_e32 v5, v11, v5, vcc
	v_cndmask_b32_e32 v4, v10, v4, vcc
	s_andn2_b64 exec, exec, s[10:11]
	s_cbranch_execnz .LBB87_2
; %bb.3:
	s_or_b64 exec, exec, s[10:11]
.LBB87_4:
	s_or_b64 exec, exec, s[8:9]
	s_movk_i32 s0, 0x80
	v_lshlrev_b32_e32 v1, 3, v0
	v_cmp_gt_u32_e32 vcc, s0, v0
	ds_write_b64 v1, v[4:5]
	s_waitcnt lgkmcnt(0)
	s_barrier
	s_and_saveexec_b64 s[0:1], vcc
	s_cbranch_execz .LBB87_6
; %bb.5:
	ds_read2st64_b64 v[2:5], v1 offset1:2
	s_waitcnt lgkmcnt(0)
	v_cmp_gt_i64_e32 vcc, v[2:3], v[4:5]
	v_cndmask_b32_e32 v3, v5, v3, vcc
	v_cndmask_b32_e32 v2, v4, v2, vcc
	ds_write_b64 v1, v[2:3]
.LBB87_6:
	s_or_b64 exec, exec, s[0:1]
	v_cmp_gt_u32_e32 vcc, 64, v0
	s_waitcnt lgkmcnt(0)
	s_barrier
	s_and_saveexec_b64 s[0:1], vcc
	s_cbranch_execz .LBB87_8
; %bb.7:
	ds_read2st64_b64 v[2:5], v1 offset1:1
	s_waitcnt lgkmcnt(0)
	v_cmp_gt_i64_e32 vcc, v[2:3], v[4:5]
	v_cndmask_b32_e32 v3, v5, v3, vcc
	v_cndmask_b32_e32 v2, v4, v2, vcc
	ds_write_b64 v1, v[2:3]
.LBB87_8:
	s_or_b64 exec, exec, s[0:1]
	v_cmp_gt_u32_e32 vcc, 32, v0
	s_waitcnt lgkmcnt(0)
	s_barrier
	s_and_saveexec_b64 s[0:1], vcc
	s_cbranch_execz .LBB87_10
; %bb.9:
	ds_read2_b64 v[2:5], v1 offset1:32
	s_waitcnt lgkmcnt(0)
	v_cmp_gt_i64_e32 vcc, v[2:3], v[4:5]
	v_cndmask_b32_e32 v3, v5, v3, vcc
	v_cndmask_b32_e32 v2, v4, v2, vcc
	ds_write_b64 v1, v[2:3]
.LBB87_10:
	s_or_b64 exec, exec, s[0:1]
	v_cmp_gt_u32_e32 vcc, 16, v0
	s_waitcnt lgkmcnt(0)
	s_barrier
	s_and_saveexec_b64 s[0:1], vcc
	s_cbranch_execz .LBB87_12
; %bb.11:
	ds_read2_b64 v[2:5], v1 offset1:16
	s_waitcnt lgkmcnt(0)
	v_cmp_gt_i64_e32 vcc, v[2:3], v[4:5]
	v_cndmask_b32_e32 v3, v5, v3, vcc
	v_cndmask_b32_e32 v2, v4, v2, vcc
	ds_write_b64 v1, v[2:3]
.LBB87_12:
	;; [unrolled: 14-line block ×5, first 2 shown]
	s_or_b64 exec, exec, s[0:1]
	v_cmp_eq_u32_e32 vcc, 0, v0
	s_waitcnt lgkmcnt(0)
	s_barrier
	s_and_saveexec_b64 s[4:5], vcc
	s_cbranch_execz .LBB87_20
; %bb.19:
	v_mov_b32_e32 v4, 0
	ds_read_b128 v[0:3], v4
	s_waitcnt lgkmcnt(0)
	v_cmp_gt_i64_e64 s[0:1], v[0:1], v[2:3]
	v_cndmask_b32_e64 v1, v3, v1, s[0:1]
	v_cndmask_b32_e64 v0, v2, v0, s[0:1]
	ds_write_b64 v4, v[0:1]
.LBB87_20:
	s_or_b64 exec, exec, s[4:5]
	s_waitcnt lgkmcnt(0)
	s_barrier
	s_and_saveexec_b64 s[0:1], vcc
	s_cbranch_execz .LBB87_22
; %bb.21:
	v_mov_b32_e32 v2, 0
	ds_read_b64 v[0:1], v2
	s_mov_b32 s7, 0
	s_lshl_b64 s[0:1], s[6:7], 3
	s_add_u32 s0, s2, s0
	s_addc_u32 s1, s3, s1
	s_waitcnt lgkmcnt(0)
	global_store_dwordx2 v2, v[0:1], s[0:1]
.LBB87_22:
	s_endpgm
	.section	.rodata,"a",@progbits
	.p2align	6, 0x0
	.amdhsa_kernel _ZN9rocsparseL25csrgemm_max_row_nnz_part1ILj256EllEEvT1_PKT0_PS1_
		.amdhsa_group_segment_fixed_size 2048
		.amdhsa_private_segment_fixed_size 0
		.amdhsa_kernarg_size 280
		.amdhsa_user_sgpr_count 6
		.amdhsa_user_sgpr_private_segment_buffer 1
		.amdhsa_user_sgpr_dispatch_ptr 0
		.amdhsa_user_sgpr_queue_ptr 0
		.amdhsa_user_sgpr_kernarg_segment_ptr 1
		.amdhsa_user_sgpr_dispatch_id 0
		.amdhsa_user_sgpr_flat_scratch_init 0
		.amdhsa_user_sgpr_kernarg_preload_length 0
		.amdhsa_user_sgpr_kernarg_preload_offset 0
		.amdhsa_user_sgpr_private_segment_size 0
		.amdhsa_uses_dynamic_stack 0
		.amdhsa_system_sgpr_private_segment_wavefront_offset 0
		.amdhsa_system_sgpr_workgroup_id_x 1
		.amdhsa_system_sgpr_workgroup_id_y 0
		.amdhsa_system_sgpr_workgroup_id_z 0
		.amdhsa_system_sgpr_workgroup_info 0
		.amdhsa_system_vgpr_workitem_id 0
		.amdhsa_next_free_vgpr 14
		.amdhsa_next_free_sgpr 14
		.amdhsa_accum_offset 16
		.amdhsa_reserve_vcc 1
		.amdhsa_reserve_flat_scratch 0
		.amdhsa_float_round_mode_32 0
		.amdhsa_float_round_mode_16_64 0
		.amdhsa_float_denorm_mode_32 3
		.amdhsa_float_denorm_mode_16_64 3
		.amdhsa_dx10_clamp 1
		.amdhsa_ieee_mode 1
		.amdhsa_fp16_overflow 0
		.amdhsa_tg_split 0
		.amdhsa_exception_fp_ieee_invalid_op 0
		.amdhsa_exception_fp_denorm_src 0
		.amdhsa_exception_fp_ieee_div_zero 0
		.amdhsa_exception_fp_ieee_overflow 0
		.amdhsa_exception_fp_ieee_underflow 0
		.amdhsa_exception_fp_ieee_inexact 0
		.amdhsa_exception_int_div_zero 0
	.end_amdhsa_kernel
	.section	.text._ZN9rocsparseL25csrgemm_max_row_nnz_part1ILj256EllEEvT1_PKT0_PS1_,"axG",@progbits,_ZN9rocsparseL25csrgemm_max_row_nnz_part1ILj256EllEEvT1_PKT0_PS1_,comdat
.Lfunc_end87:
	.size	_ZN9rocsparseL25csrgemm_max_row_nnz_part1ILj256EllEEvT1_PKT0_PS1_, .Lfunc_end87-_ZN9rocsparseL25csrgemm_max_row_nnz_part1ILj256EllEEvT1_PKT0_PS1_
                                        ; -- End function
	.section	.AMDGPU.csdata,"",@progbits
; Kernel info:
; codeLenInByte = 736
; NumSgprs: 18
; NumVgprs: 14
; NumAgprs: 0
; TotalNumVgprs: 14
; ScratchSize: 0
; MemoryBound: 0
; FloatMode: 240
; IeeeMode: 1
; LDSByteSize: 2048 bytes/workgroup (compile time only)
; SGPRBlocks: 2
; VGPRBlocks: 1
; NumSGPRsForWavesPerEU: 18
; NumVGPRsForWavesPerEU: 14
; AccumOffset: 16
; Occupancy: 8
; WaveLimiterHint : 0
; COMPUTE_PGM_RSRC2:SCRATCH_EN: 0
; COMPUTE_PGM_RSRC2:USER_SGPR: 6
; COMPUTE_PGM_RSRC2:TRAP_HANDLER: 0
; COMPUTE_PGM_RSRC2:TGID_X_EN: 1
; COMPUTE_PGM_RSRC2:TGID_Y_EN: 0
; COMPUTE_PGM_RSRC2:TGID_Z_EN: 0
; COMPUTE_PGM_RSRC2:TIDIG_COMP_CNT: 0
; COMPUTE_PGM_RSRC3_GFX90A:ACCUM_OFFSET: 3
; COMPUTE_PGM_RSRC3_GFX90A:TG_SPLIT: 0
	.section	.text._ZN9rocsparseL25csrgemm_max_row_nnz_part2ILj256ElEEvPT0_,"axG",@progbits,_ZN9rocsparseL25csrgemm_max_row_nnz_part2ILj256ElEEvPT0_,comdat
	.globl	_ZN9rocsparseL25csrgemm_max_row_nnz_part2ILj256ElEEvPT0_ ; -- Begin function _ZN9rocsparseL25csrgemm_max_row_nnz_part2ILj256ElEEvPT0_
	.p2align	8
	.type	_ZN9rocsparseL25csrgemm_max_row_nnz_part2ILj256ElEEvPT0_,@function
_ZN9rocsparseL25csrgemm_max_row_nnz_part2ILj256ElEEvPT0_: ; @_ZN9rocsparseL25csrgemm_max_row_nnz_part2ILj256ElEEvPT0_
; %bb.0:
	s_load_dwordx2 s[2:3], s[4:5], 0x0
	v_lshlrev_b32_e32 v1, 3, v0
	s_movk_i32 s0, 0x80
	v_cmp_gt_u32_e32 vcc, s0, v0
	s_waitcnt lgkmcnt(0)
	global_load_dwordx2 v[2:3], v1, s[2:3]
	s_waitcnt vmcnt(0)
	ds_write_b64 v1, v[2:3]
	s_waitcnt lgkmcnt(0)
	s_barrier
	s_and_saveexec_b64 s[0:1], vcc
	s_cbranch_execz .LBB88_2
; %bb.1:
	ds_read2st64_b64 v[2:5], v1 offset1:2
	s_waitcnt lgkmcnt(0)
	v_cmp_gt_i64_e32 vcc, v[2:3], v[4:5]
	v_cndmask_b32_e32 v3, v5, v3, vcc
	v_cndmask_b32_e32 v2, v4, v2, vcc
	ds_write_b64 v1, v[2:3]
.LBB88_2:
	s_or_b64 exec, exec, s[0:1]
	v_cmp_gt_u32_e32 vcc, 64, v0
	s_waitcnt lgkmcnt(0)
	s_barrier
	s_and_saveexec_b64 s[0:1], vcc
	s_cbranch_execz .LBB88_4
; %bb.3:
	ds_read2st64_b64 v[2:5], v1 offset1:1
	s_waitcnt lgkmcnt(0)
	v_cmp_gt_i64_e32 vcc, v[2:3], v[4:5]
	v_cndmask_b32_e32 v3, v5, v3, vcc
	v_cndmask_b32_e32 v2, v4, v2, vcc
	ds_write_b64 v1, v[2:3]
.LBB88_4:
	s_or_b64 exec, exec, s[0:1]
	v_cmp_gt_u32_e32 vcc, 32, v0
	s_waitcnt lgkmcnt(0)
	s_barrier
	s_and_saveexec_b64 s[0:1], vcc
	s_cbranch_execz .LBB88_6
; %bb.5:
	ds_read2_b64 v[2:5], v1 offset1:32
	s_waitcnt lgkmcnt(0)
	v_cmp_gt_i64_e32 vcc, v[2:3], v[4:5]
	v_cndmask_b32_e32 v3, v5, v3, vcc
	v_cndmask_b32_e32 v2, v4, v2, vcc
	ds_write_b64 v1, v[2:3]
.LBB88_6:
	s_or_b64 exec, exec, s[0:1]
	v_cmp_gt_u32_e32 vcc, 16, v0
	s_waitcnt lgkmcnt(0)
	s_barrier
	s_and_saveexec_b64 s[0:1], vcc
	s_cbranch_execz .LBB88_8
; %bb.7:
	ds_read2_b64 v[2:5], v1 offset1:16
	s_waitcnt lgkmcnt(0)
	v_cmp_gt_i64_e32 vcc, v[2:3], v[4:5]
	v_cndmask_b32_e32 v3, v5, v3, vcc
	v_cndmask_b32_e32 v2, v4, v2, vcc
	ds_write_b64 v1, v[2:3]
.LBB88_8:
	;; [unrolled: 14-line block ×5, first 2 shown]
	s_or_b64 exec, exec, s[0:1]
	v_cmp_eq_u32_e32 vcc, 0, v0
	s_waitcnt lgkmcnt(0)
	s_barrier
	s_and_saveexec_b64 s[4:5], vcc
	s_cbranch_execz .LBB88_16
; %bb.15:
	v_mov_b32_e32 v4, 0
	ds_read_b128 v[0:3], v4
	s_waitcnt lgkmcnt(0)
	v_cmp_gt_i64_e64 s[0:1], v[0:1], v[2:3]
	v_cndmask_b32_e64 v1, v3, v1, s[0:1]
	v_cndmask_b32_e64 v0, v2, v0, s[0:1]
	ds_write_b64 v4, v[0:1]
.LBB88_16:
	s_or_b64 exec, exec, s[4:5]
	s_waitcnt lgkmcnt(0)
	s_barrier
	s_and_saveexec_b64 s[0:1], vcc
	s_cbranch_execz .LBB88_18
; %bb.17:
	v_mov_b32_e32 v2, 0
	ds_read_b64 v[0:1], v2
	s_waitcnt lgkmcnt(0)
	global_store_dwordx2 v2, v[0:1], s[2:3]
.LBB88_18:
	s_endpgm
	.section	.rodata,"a",@progbits
	.p2align	6, 0x0
	.amdhsa_kernel _ZN9rocsparseL25csrgemm_max_row_nnz_part2ILj256ElEEvPT0_
		.amdhsa_group_segment_fixed_size 2048
		.amdhsa_private_segment_fixed_size 0
		.amdhsa_kernarg_size 8
		.amdhsa_user_sgpr_count 6
		.amdhsa_user_sgpr_private_segment_buffer 1
		.amdhsa_user_sgpr_dispatch_ptr 0
		.amdhsa_user_sgpr_queue_ptr 0
		.amdhsa_user_sgpr_kernarg_segment_ptr 1
		.amdhsa_user_sgpr_dispatch_id 0
		.amdhsa_user_sgpr_flat_scratch_init 0
		.amdhsa_user_sgpr_kernarg_preload_length 0
		.amdhsa_user_sgpr_kernarg_preload_offset 0
		.amdhsa_user_sgpr_private_segment_size 0
		.amdhsa_uses_dynamic_stack 0
		.amdhsa_system_sgpr_private_segment_wavefront_offset 0
		.amdhsa_system_sgpr_workgroup_id_x 1
		.amdhsa_system_sgpr_workgroup_id_y 0
		.amdhsa_system_sgpr_workgroup_id_z 0
		.amdhsa_system_sgpr_workgroup_info 0
		.amdhsa_system_vgpr_workitem_id 0
		.amdhsa_next_free_vgpr 6
		.amdhsa_next_free_sgpr 6
		.amdhsa_accum_offset 8
		.amdhsa_reserve_vcc 1
		.amdhsa_reserve_flat_scratch 0
		.amdhsa_float_round_mode_32 0
		.amdhsa_float_round_mode_16_64 0
		.amdhsa_float_denorm_mode_32 3
		.amdhsa_float_denorm_mode_16_64 3
		.amdhsa_dx10_clamp 1
		.amdhsa_ieee_mode 1
		.amdhsa_fp16_overflow 0
		.amdhsa_tg_split 0
		.amdhsa_exception_fp_ieee_invalid_op 0
		.amdhsa_exception_fp_denorm_src 0
		.amdhsa_exception_fp_ieee_div_zero 0
		.amdhsa_exception_fp_ieee_overflow 0
		.amdhsa_exception_fp_ieee_underflow 0
		.amdhsa_exception_fp_ieee_inexact 0
		.amdhsa_exception_int_div_zero 0
	.end_amdhsa_kernel
	.section	.text._ZN9rocsparseL25csrgemm_max_row_nnz_part2ILj256ElEEvPT0_,"axG",@progbits,_ZN9rocsparseL25csrgemm_max_row_nnz_part2ILj256ElEEvPT0_,comdat
.Lfunc_end88:
	.size	_ZN9rocsparseL25csrgemm_max_row_nnz_part2ILj256ElEEvPT0_, .Lfunc_end88-_ZN9rocsparseL25csrgemm_max_row_nnz_part2ILj256ElEEvPT0_
                                        ; -- End function
	.section	.AMDGPU.csdata,"",@progbits
; Kernel info:
; codeLenInByte = 548
; NumSgprs: 10
; NumVgprs: 6
; NumAgprs: 0
; TotalNumVgprs: 6
; ScratchSize: 0
; MemoryBound: 0
; FloatMode: 240
; IeeeMode: 1
; LDSByteSize: 2048 bytes/workgroup (compile time only)
; SGPRBlocks: 1
; VGPRBlocks: 0
; NumSGPRsForWavesPerEU: 10
; NumVGPRsForWavesPerEU: 6
; AccumOffset: 8
; Occupancy: 8
; WaveLimiterHint : 0
; COMPUTE_PGM_RSRC2:SCRATCH_EN: 0
; COMPUTE_PGM_RSRC2:USER_SGPR: 6
; COMPUTE_PGM_RSRC2:TRAP_HANDLER: 0
; COMPUTE_PGM_RSRC2:TGID_X_EN: 1
; COMPUTE_PGM_RSRC2:TGID_Y_EN: 0
; COMPUTE_PGM_RSRC2:TGID_Z_EN: 0
; COMPUTE_PGM_RSRC2:TIDIG_COMP_CNT: 0
; COMPUTE_PGM_RSRC3_GFX90A:ACCUM_OFFSET: 1
; COMPUTE_PGM_RSRC3_GFX90A:TG_SPLIT: 0
	.section	.text._ZN9rocsparseL26csrgemm_group_reduce_part2ILj256ELj11EfllEEvT3_PKT2_PS1_Pij,"axG",@progbits,_ZN9rocsparseL26csrgemm_group_reduce_part2ILj256ELj11EfllEEvT3_PKT2_PS1_Pij,comdat
	.globl	_ZN9rocsparseL26csrgemm_group_reduce_part2ILj256ELj11EfllEEvT3_PKT2_PS1_Pij ; -- Begin function _ZN9rocsparseL26csrgemm_group_reduce_part2ILj256ELj11EfllEEvT3_PKT2_PS1_Pij
	.p2align	8
	.type	_ZN9rocsparseL26csrgemm_group_reduce_part2ILj256ELj11EfllEEvT3_PKT2_PS1_Pij,@function
_ZN9rocsparseL26csrgemm_group_reduce_part2ILj256ELj11EfllEEvT3_PKT2_PS1_Pij: ; @_ZN9rocsparseL26csrgemm_group_reduce_part2ILj256ELj11EfllEEvT3_PKT2_PS1_Pij
; %bb.0:
	s_mov_b32 s9, 0
	v_mul_u32_u24_e32 v1, 11, v0
	s_mov_b32 s8, s9
	s_mov_b32 s10, s9
	;; [unrolled: 1-line block ×3, first 2 shown]
	s_load_dwordx2 s[2:3], s[4:5], 0x0
	s_load_dwordx2 s[0:1], s[4:5], 0x10
	v_lshlrev_b32_e32 v1, 3, v1
	v_pk_mov_b32 v[2:3], s[8:9], s[8:9] op_sel:[0,1]
	v_pk_mov_b32 v[4:5], s[10:11], s[10:11] op_sel:[0,1]
	ds_write2_b64 v1, v[2:3], v[4:5] offset1:1
	ds_write2_b64 v1, v[2:3], v[4:5] offset0:2 offset1:3
	ds_write2_b64 v1, v[2:3], v[4:5] offset0:4 offset1:5
	;; [unrolled: 1-line block ×4, first 2 shown]
	v_mov_b32_e32 v3, 0
	v_lshl_or_b32 v6, s6, 8, v0
	v_mov_b32_e32 v2, v3
	ds_write_b64 v1, v[2:3] offset:80
	v_mov_b32_e32 v2, v6
	s_waitcnt lgkmcnt(0)
	v_cmp_gt_i64_e32 vcc, s[2:3], v[2:3]
	s_and_saveexec_b64 s[10:11], vcc
	s_cbranch_execz .LBB89_43
; %bb.1:
	s_load_dword s7, s[4:5], 0x20
	s_load_dwordx2 s[12:13], s[4:5], 0x8
	s_load_dwordx2 s[14:15], s[4:5], 0x18
	s_load_dword s8, s[4:5], 0x28
	v_lshlrev_b64 v[4:5], 2, v[2:3]
	s_waitcnt lgkmcnt(0)
	s_cmpk_lt_u32 s7, 0xc108
	s_cselect_b64 s[26:27], -1, 0
	s_cmp_lt_u32 s7, 0x18108
	s_cselect_b64 s[30:31], -1, 0
	s_cmp_lt_u32 s7, 0x30108
	;; [unrolled: 2-line block ×3, first 2 shown]
	v_mov_b32_e32 v6, s15
	v_add_co_u32_e32 v4, vcc, s14, v4
	s_cselect_b64 s[40:41], -1, 0
	s_lshl_b32 s8, s8, 8
	v_addc_co_u32_e32 v5, vcc, v6, v5, vcc
	v_lshlrev_b64 v[6:7], 3, v[2:3]
	s_lshl_b64 s[4:5], s[8:9], 2
	v_mov_b32_e32 v8, s13
	v_add_co_u32_e32 v6, vcc, s12, v6
	s_lshl_b64 s[12:13], s[8:9], 3
	v_addc_co_u32_e32 v7, vcc, v8, v7, vcc
	s_mov_b64 s[14:15], 0
	s_mov_b64 s[16:17], 0x100
	;; [unrolled: 1-line block ×6, first 2 shown]
	s_xor_b64 s[26:27], s[26:27], -1
	v_mov_b32_e32 v12, 6
	s_mov_b64 s[28:29], 0x2001
	s_xor_b64 s[30:31], s[30:31], -1
	v_mov_b32_e32 v13, 7
	s_mov_b64 s[34:35], 0x4001
	;; [unrolled: 3-line block ×3, first 2 shown]
	s_xor_b64 s[40:41], s[40:41], -1
	v_mov_b32_e32 v15, 9
	v_mov_b32_e32 v16, 10
	;; [unrolled: 1-line block ×10, first 2 shown]
	v_pk_mov_b32 v[8:9], v[2:3], v[2:3] op_sel:[0,1]
	s_branch .LBB89_3
.LBB89_2:                               ;   in Loop: Header=BB89_3 Depth=1
	s_or_b64 exec, exec, s[42:43]
	v_add_co_u32_e32 v8, vcc, s8, v8
	v_addc_co_u32_e32 v9, vcc, v9, v22, vcc
	v_add_co_u32_e32 v4, vcc, s4, v4
	v_addc_co_u32_e32 v5, vcc, v5, v23, vcc
	v_cmp_le_i64_e32 vcc, s[2:3], v[8:9]
	s_or_b64 s[14:15], vcc, s[14:15]
	v_add_co_u32_e32 v6, vcc, s12, v6
	v_addc_co_u32_e32 v7, vcc, v7, v24, vcc
	s_andn2_b64 exec, exec, s[14:15]
	s_cbranch_execz .LBB89_43
.LBB89_3:                               ; =>This Inner Loop Header: Depth=1
	global_load_dwordx4 v[26:29], v[6:7], off
	s_waitcnt vmcnt(0)
	v_sub_co_u32_e32 v10, vcc, v28, v26
	v_subb_co_u32_e32 v11, vcc, v29, v27, vcc
	v_cmp_lt_i64_e32 vcc, 16, v[10:11]
	s_and_saveexec_b64 s[42:43], vcc
	s_xor_b64 s[42:43], exec, s[42:43]
	s_cbranch_execz .LBB89_41
; %bb.4:                                ;   in Loop: Header=BB89_3 Depth=1
	v_cmp_lt_u64_e32 vcc, 32, v[10:11]
	s_and_saveexec_b64 s[44:45], vcc
	s_xor_b64 s[44:45], exec, s[44:45]
	s_cbranch_execz .LBB89_38
; %bb.5:                                ;   in Loop: Header=BB89_3 Depth=1
	v_cmp_lt_u64_e32 vcc, s[16:17], v[10:11]
	;; [unrolled: 5-line block ×5, first 2 shown]
	s_and_saveexec_b64 s[52:53], vcc
	s_xor_b64 s[52:53], exec, s[52:53]
	s_cbranch_execz .LBB89_26
; %bb.9:                                ;   in Loop: Header=BB89_3 Depth=1
	v_cmp_gt_u64_e32 vcc, s[24:25], v[10:11]
	s_and_b64 s[54:55], s[26:27], vcc
	s_and_saveexec_b64 s[56:57], s[54:55]
	s_xor_b64 s[54:55], exec, s[56:57]
	s_cbranch_execz .LBB89_11
; %bb.10:                               ;   in Loop: Header=BB89_3 Depth=1
	ds_read_b64 v[10:11], v1 offset:48
	global_store_dword v[4:5], v12, off
	s_waitcnt lgkmcnt(0)
	v_add_co_u32_e32 v10, vcc, 1, v10
	v_addc_co_u32_e32 v11, vcc, 0, v11, vcc
	ds_write_b64 v1, v[10:11] offset:48
                                        ; implicit-def: $vgpr10_vgpr11
.LBB89_11:                              ;   in Loop: Header=BB89_3 Depth=1
	s_andn2_saveexec_b64 s[54:55], s[54:55]
	s_cbranch_execz .LBB89_25
; %bb.12:                               ;   in Loop: Header=BB89_3 Depth=1
	v_cmp_gt_u64_e32 vcc, s[28:29], v[10:11]
	s_and_b64 s[56:57], s[30:31], vcc
	s_and_saveexec_b64 s[58:59], s[56:57]
	s_xor_b64 s[56:57], exec, s[58:59]
	s_cbranch_execz .LBB89_14
; %bb.13:                               ;   in Loop: Header=BB89_3 Depth=1
	ds_read_b64 v[10:11], v1 offset:56
	global_store_dword v[4:5], v13, off
	s_waitcnt lgkmcnt(0)
	v_add_co_u32_e32 v10, vcc, 1, v10
	v_addc_co_u32_e32 v11, vcc, 0, v11, vcc
	ds_write_b64 v1, v[10:11] offset:56
                                        ; implicit-def: $vgpr10_vgpr11
.LBB89_14:                              ;   in Loop: Header=BB89_3 Depth=1
	s_andn2_saveexec_b64 s[56:57], s[56:57]
	s_cbranch_execz .LBB89_24
; %bb.15:                               ;   in Loop: Header=BB89_3 Depth=1
	;; [unrolled: 17-line block ×3, first 2 shown]
	v_cmp_gt_u64_e32 vcc, s[38:39], v[10:11]
	s_and_b64 s[60:61], s[40:41], vcc
	s_and_saveexec_b64 s[62:63], s[60:61]
	s_xor_b64 s[60:61], exec, s[62:63]
	s_cbranch_execz .LBB89_20
; %bb.19:                               ;   in Loop: Header=BB89_3 Depth=1
	ds_read_b64 v[10:11], v1 offset:72
	global_store_dword v[4:5], v15, off
	s_waitcnt lgkmcnt(0)
	v_add_co_u32_e32 v10, vcc, 1, v10
	v_addc_co_u32_e32 v11, vcc, 0, v11, vcc
	ds_write_b64 v1, v[10:11] offset:72
.LBB89_20:                              ;   in Loop: Header=BB89_3 Depth=1
	s_andn2_saveexec_b64 s[60:61], s[60:61]
	s_cbranch_execz .LBB89_22
; %bb.21:                               ;   in Loop: Header=BB89_3 Depth=1
	ds_read_b64 v[10:11], v1 offset:80
	global_store_dword v[4:5], v16, off
	s_waitcnt lgkmcnt(0)
	v_add_co_u32_e32 v10, vcc, 1, v10
	v_addc_co_u32_e32 v11, vcc, 0, v11, vcc
	ds_write_b64 v1, v[10:11] offset:80
.LBB89_22:                              ;   in Loop: Header=BB89_3 Depth=1
	s_or_b64 exec, exec, s[60:61]
.LBB89_23:                              ;   in Loop: Header=BB89_3 Depth=1
	s_or_b64 exec, exec, s[58:59]
.LBB89_24:                              ;   in Loop: Header=BB89_3 Depth=1
	s_or_b64 exec, exec, s[56:57]
.LBB89_25:                              ;   in Loop: Header=BB89_3 Depth=1
	s_or_b64 exec, exec, s[54:55]
.LBB89_26:                              ;   in Loop: Header=BB89_3 Depth=1
	s_andn2_saveexec_b64 s[52:53], s[52:53]
	s_cbranch_execz .LBB89_28
; %bb.27:                               ;   in Loop: Header=BB89_3 Depth=1
	ds_read_b64 v[10:11], v1 offset:40
	global_store_dword v[4:5], v17, off
	s_waitcnt lgkmcnt(0)
	v_add_co_u32_e32 v10, vcc, 1, v10
	v_addc_co_u32_e32 v11, vcc, 0, v11, vcc
	ds_write_b64 v1, v[10:11] offset:40
.LBB89_28:                              ;   in Loop: Header=BB89_3 Depth=1
	s_or_b64 exec, exec, s[52:53]
.LBB89_29:                              ;   in Loop: Header=BB89_3 Depth=1
	s_andn2_saveexec_b64 s[50:51], s[50:51]
	s_cbranch_execz .LBB89_31
; %bb.30:                               ;   in Loop: Header=BB89_3 Depth=1
	ds_read_b64 v[10:11], v1 offset:32
	global_store_dword v[4:5], v18, off
	s_waitcnt lgkmcnt(0)
	v_add_co_u32_e32 v10, vcc, 1, v10
	v_addc_co_u32_e32 v11, vcc, 0, v11, vcc
	ds_write_b64 v1, v[10:11] offset:32
.LBB89_31:                              ;   in Loop: Header=BB89_3 Depth=1
	s_or_b64 exec, exec, s[50:51]
.LBB89_32:                              ;   in Loop: Header=BB89_3 Depth=1
	s_andn2_saveexec_b64 s[48:49], s[48:49]
	s_cbranch_execz .LBB89_34
; %bb.33:                               ;   in Loop: Header=BB89_3 Depth=1
	ds_read_b64 v[10:11], v1 offset:24
	global_store_dword v[4:5], v19, off
	s_waitcnt lgkmcnt(0)
	v_add_co_u32_e32 v10, vcc, 1, v10
	v_addc_co_u32_e32 v11, vcc, 0, v11, vcc
	ds_write_b64 v1, v[10:11] offset:24
.LBB89_34:                              ;   in Loop: Header=BB89_3 Depth=1
	s_or_b64 exec, exec, s[48:49]
.LBB89_35:                              ;   in Loop: Header=BB89_3 Depth=1
	s_andn2_saveexec_b64 s[46:47], s[46:47]
	s_cbranch_execz .LBB89_37
; %bb.36:                               ;   in Loop: Header=BB89_3 Depth=1
	ds_read_b64 v[10:11], v1 offset:16
	global_store_dword v[4:5], v20, off
	s_waitcnt lgkmcnt(0)
	v_add_co_u32_e32 v10, vcc, 1, v10
	v_addc_co_u32_e32 v11, vcc, 0, v11, vcc
	ds_write_b64 v1, v[10:11] offset:16
.LBB89_37:                              ;   in Loop: Header=BB89_3 Depth=1
	s_or_b64 exec, exec, s[46:47]
.LBB89_38:                              ;   in Loop: Header=BB89_3 Depth=1
	s_andn2_saveexec_b64 s[44:45], s[44:45]
	s_cbranch_execz .LBB89_40
; %bb.39:                               ;   in Loop: Header=BB89_3 Depth=1
	ds_read_b64 v[10:11], v1 offset:8
	global_store_dword v[4:5], v21, off
	s_waitcnt lgkmcnt(0)
	v_add_co_u32_e32 v10, vcc, 1, v10
	v_addc_co_u32_e32 v11, vcc, 0, v11, vcc
	ds_write_b64 v1, v[10:11] offset:8
.LBB89_40:                              ;   in Loop: Header=BB89_3 Depth=1
	s_or_b64 exec, exec, s[44:45]
.LBB89_41:                              ;   in Loop: Header=BB89_3 Depth=1
	s_andn2_saveexec_b64 s[42:43], s[42:43]
	s_cbranch_execz .LBB89_2
; %bb.42:                               ;   in Loop: Header=BB89_3 Depth=1
	ds_read_b64 v[10:11], v1
	global_store_dword v[4:5], v3, off
	s_waitcnt lgkmcnt(0)
	v_add_co_u32_e32 v10, vcc, 1, v10
	v_addc_co_u32_e32 v11, vcc, 0, v11, vcc
	ds_write_b64 v1, v[10:11]
	s_branch .LBB89_2
.LBB89_43:
	s_or_b64 exec, exec, s[10:11]
	s_movk_i32 s2, 0x80
	v_cmp_gt_u32_e32 vcc, s2, v0
	s_waitcnt lgkmcnt(0)
	s_barrier
	s_barrier
	;; [unrolled: 1-line block ×3, first 2 shown]
	s_and_saveexec_b64 s[2:3], vcc
	s_cbranch_execz .LBB89_45
; %bb.44:
	v_add_u32_e32 v2, 0x2c00, v1
	ds_read2_b64 v[2:5], v2 offset1:1
	ds_read2_b64 v[6:9], v1 offset1:1
	ds_read2_b64 v[10:13], v1 offset0:2 offset1:3
	ds_read2_b64 v[14:17], v1 offset0:8 offset1:9
	;; [unrolled: 1-line block ×3, first 2 shown]
	s_waitcnt lgkmcnt(3)
	v_add_co_u32_e32 v6, vcc, v6, v2
	v_addc_co_u32_e32 v7, vcc, v7, v3, vcc
	v_add_co_u32_e32 v8, vcc, v8, v4
	v_add_u32_e32 v2, 0x2c10, v1
	v_addc_co_u32_e32 v9, vcc, v9, v5, vcc
	ds_read2_b64 v[2:5], v2 offset1:1
	ds_write2_b64 v1, v[6:7], v[8:9] offset1:1
	v_add_u32_e32 v6, 0x2c20, v1
	ds_read2_b64 v[6:9], v6 offset1:1
	s_waitcnt lgkmcnt(2)
	v_add_co_u32_e32 v2, vcc, v10, v2
	v_addc_co_u32_e32 v3, vcc, v11, v3, vcc
	v_add_co_u32_e32 v4, vcc, v12, v4
	v_addc_co_u32_e32 v5, vcc, v13, v5, vcc
	ds_write2_b64 v1, v[2:3], v[4:5] offset0:2 offset1:3
	ds_read2_b64 v[2:5], v1 offset0:6 offset1:7
	s_waitcnt lgkmcnt(2)
	v_add_co_u32_e32 v10, vcc, v18, v6
	v_addc_co_u32_e32 v11, vcc, v19, v7, vcc
	v_add_co_u32_e32 v12, vcc, v20, v8
	v_add_u32_e32 v6, 0x2c30, v1
	v_addc_co_u32_e32 v13, vcc, v21, v9, vcc
	ds_read2_b64 v[6:9], v6 offset1:1
	ds_write2_b64 v1, v[10:11], v[12:13] offset0:4 offset1:5
	v_add_u32_e32 v10, 0x2c40, v1
	ds_read2_b64 v[10:13], v10 offset1:1
	s_waitcnt lgkmcnt(2)
	v_add_co_u32_e32 v2, vcc, v2, v6
	v_addc_co_u32_e32 v3, vcc, v3, v7, vcc
	v_add_co_u32_e32 v4, vcc, v4, v8
	v_addc_co_u32_e32 v5, vcc, v5, v9, vcc
	ds_write2_b64 v1, v[2:3], v[4:5] offset0:6 offset1:7
	v_add_u32_e32 v2, 0x50, v1
	ds_read2st64_b64 v[2:5], v2 offset1:22
	s_waitcnt lgkmcnt(2)
	v_add_co_u32_e32 v6, vcc, v14, v10
	v_addc_co_u32_e32 v7, vcc, v15, v11, vcc
	v_add_co_u32_e32 v8, vcc, v16, v12
	v_addc_co_u32_e32 v9, vcc, v17, v13, vcc
	s_waitcnt lgkmcnt(0)
	v_add_co_u32_e32 v2, vcc, v2, v4
	v_addc_co_u32_e32 v3, vcc, v3, v5, vcc
	ds_write2_b64 v1, v[6:7], v[8:9] offset0:8 offset1:9
	ds_write_b64 v1, v[2:3] offset:80
.LBB89_45:
	s_or_b64 exec, exec, s[2:3]
	v_cmp_gt_u32_e32 vcc, 64, v0
	s_waitcnt lgkmcnt(0)
	s_barrier
	s_and_saveexec_b64 s[2:3], vcc
	s_cbranch_execz .LBB89_47
; %bb.46:
	v_add_u32_e32 v2, 0x1600, v1
	ds_read2_b64 v[2:5], v2 offset1:1
	ds_read2_b64 v[6:9], v1 offset1:1
	ds_read2_b64 v[10:13], v1 offset0:2 offset1:3
	ds_read2_b64 v[14:17], v1 offset0:8 offset1:9
	;; [unrolled: 1-line block ×3, first 2 shown]
	s_waitcnt lgkmcnt(3)
	v_add_co_u32_e32 v6, vcc, v6, v2
	v_addc_co_u32_e32 v7, vcc, v7, v3, vcc
	v_add_co_u32_e32 v8, vcc, v8, v4
	v_add_u32_e32 v2, 0x1610, v1
	v_addc_co_u32_e32 v9, vcc, v9, v5, vcc
	ds_read2_b64 v[2:5], v2 offset1:1
	ds_write2_b64 v1, v[6:7], v[8:9] offset1:1
	v_add_u32_e32 v6, 0x1620, v1
	ds_read2_b64 v[6:9], v6 offset1:1
	s_waitcnt lgkmcnt(2)
	v_add_co_u32_e32 v2, vcc, v10, v2
	v_addc_co_u32_e32 v3, vcc, v11, v3, vcc
	v_add_co_u32_e32 v4, vcc, v12, v4
	v_addc_co_u32_e32 v5, vcc, v13, v5, vcc
	ds_write2_b64 v1, v[2:3], v[4:5] offset0:2 offset1:3
	ds_read2_b64 v[2:5], v1 offset0:6 offset1:7
	s_waitcnt lgkmcnt(2)
	v_add_co_u32_e32 v10, vcc, v18, v6
	v_addc_co_u32_e32 v11, vcc, v19, v7, vcc
	v_add_co_u32_e32 v12, vcc, v20, v8
	v_add_u32_e32 v6, 0x1630, v1
	v_addc_co_u32_e32 v13, vcc, v21, v9, vcc
	ds_read2_b64 v[6:9], v6 offset1:1
	ds_write2_b64 v1, v[10:11], v[12:13] offset0:4 offset1:5
	v_add_u32_e32 v10, 0x1640, v1
	ds_read2_b64 v[10:13], v10 offset1:1
	s_waitcnt lgkmcnt(2)
	v_add_co_u32_e32 v2, vcc, v2, v6
	v_addc_co_u32_e32 v3, vcc, v3, v7, vcc
	v_add_co_u32_e32 v4, vcc, v4, v8
	v_addc_co_u32_e32 v5, vcc, v5, v9, vcc
	ds_write2_b64 v1, v[2:3], v[4:5] offset0:6 offset1:7
	v_add_u32_e32 v2, 0x50, v1
	ds_read2st64_b64 v[2:5], v2 offset1:11
	s_waitcnt lgkmcnt(2)
	v_add_co_u32_e32 v6, vcc, v14, v10
	v_addc_co_u32_e32 v7, vcc, v15, v11, vcc
	v_add_co_u32_e32 v8, vcc, v16, v12
	v_addc_co_u32_e32 v9, vcc, v17, v13, vcc
	s_waitcnt lgkmcnt(0)
	v_add_co_u32_e32 v2, vcc, v2, v4
	v_addc_co_u32_e32 v3, vcc, v3, v5, vcc
	ds_write2_b64 v1, v[6:7], v[8:9] offset0:8 offset1:9
	ds_write_b64 v1, v[2:3] offset:80
.LBB89_47:
	s_or_b64 exec, exec, s[2:3]
	v_cmp_gt_u32_e32 vcc, 32, v0
	s_waitcnt lgkmcnt(0)
	s_barrier
	s_and_saveexec_b64 s[2:3], vcc
	s_cbranch_execz .LBB89_49
; %bb.48:
	v_add_u32_e32 v2, 0xb00, v1
	ds_read2_b64 v[2:5], v2 offset1:1
	ds_read2_b64 v[6:9], v1 offset1:1
	ds_read2_b64 v[10:13], v1 offset0:2 offset1:3
	ds_read_b64 v[18:19], v1 offset:2896
	ds_read2_b64 v[14:17], v1 offset0:4 offset1:5
	s_waitcnt lgkmcnt(3)
	v_add_co_u32_e32 v6, vcc, v6, v2
	v_addc_co_u32_e32 v7, vcc, v7, v3, vcc
	v_add_co_u32_e32 v8, vcc, v8, v4
	v_add_u32_e32 v2, 0xb10, v1
	v_addc_co_u32_e32 v9, vcc, v9, v5, vcc
	ds_read2_b64 v[2:5], v2 offset1:1
	ds_write2_b64 v1, v[6:7], v[8:9] offset1:1
	v_add_u32_e32 v6, 0xb20, v1
	ds_read2_b64 v[6:9], v6 offset1:1
	s_waitcnt lgkmcnt(2)
	v_add_co_u32_e32 v2, vcc, v10, v2
	v_addc_co_u32_e32 v3, vcc, v11, v3, vcc
	v_add_co_u32_e32 v4, vcc, v12, v4
	v_addc_co_u32_e32 v5, vcc, v13, v5, vcc
	ds_write2_b64 v1, v[2:3], v[4:5] offset0:2 offset1:3
	ds_read2_b64 v[2:5], v1 offset0:6 offset1:7
	s_waitcnt lgkmcnt(2)
	v_add_co_u32_e32 v10, vcc, v14, v6
	v_addc_co_u32_e32 v11, vcc, v15, v7, vcc
	v_add_co_u32_e32 v12, vcc, v16, v8
	v_add_u32_e32 v6, 0xb30, v1
	v_addc_co_u32_e32 v13, vcc, v17, v9, vcc
	ds_read2_b64 v[6:9], v6 offset1:1
	ds_write2_b64 v1, v[10:11], v[12:13] offset0:4 offset1:5
	v_add_u32_e32 v10, 0xb40, v1
	ds_read2_b64 v[10:13], v10 offset1:1
	ds_read2_b64 v[14:17], v1 offset0:8 offset1:9
	s_waitcnt lgkmcnt(3)
	v_add_co_u32_e32 v2, vcc, v2, v6
	v_addc_co_u32_e32 v3, vcc, v3, v7, vcc
	v_add_co_u32_e32 v4, vcc, v4, v8
	v_addc_co_u32_e32 v5, vcc, v5, v9, vcc
	ds_write2_b64 v1, v[2:3], v[4:5] offset0:6 offset1:7
	ds_read_b64 v[2:3], v1 offset:80
	s_waitcnt lgkmcnt(2)
	v_add_co_u32_e32 v4, vcc, v14, v10
	v_addc_co_u32_e32 v5, vcc, v15, v11, vcc
	v_add_co_u32_e32 v6, vcc, v16, v12
	v_addc_co_u32_e32 v7, vcc, v17, v13, vcc
	s_waitcnt lgkmcnt(0)
	v_add_co_u32_e32 v2, vcc, v2, v18
	v_addc_co_u32_e32 v3, vcc, v3, v19, vcc
	ds_write2_b64 v1, v[4:5], v[6:7] offset0:8 offset1:9
	ds_write_b64 v1, v[2:3] offset:80
.LBB89_49:
	s_or_b64 exec, exec, s[2:3]
	v_cmp_gt_u32_e32 vcc, 16, v0
	s_waitcnt lgkmcnt(0)
	s_barrier
	s_and_saveexec_b64 s[2:3], vcc
	s_cbranch_execz .LBB89_51
; %bb.50:
	ds_read2_b64 v[2:5], v1 offset0:176 offset1:177
	ds_read2_b64 v[6:9], v1 offset1:1
	ds_read2_b64 v[10:13], v1 offset0:2 offset1:3
	ds_read2_b64 v[14:17], v1 offset0:8 offset1:9
	ds_read2_b64 v[18:21], v1 offset0:178 offset1:179
	s_waitcnt lgkmcnt(3)
	v_add_co_u32_e32 v2, vcc, v6, v2
	v_addc_co_u32_e32 v3, vcc, v7, v3, vcc
	v_add_co_u32_e32 v4, vcc, v8, v4
	v_addc_co_u32_e32 v5, vcc, v9, v5, vcc
	ds_write2_b64 v1, v[2:3], v[4:5] offset1:1
	ds_read2_b64 v[2:5], v1 offset0:180 offset1:181
	s_waitcnt lgkmcnt(2)
	v_add_co_u32_e32 v10, vcc, v10, v18
	ds_read2_b64 v[6:9], v1 offset0:4 offset1:5
	v_addc_co_u32_e32 v11, vcc, v11, v19, vcc
	v_add_co_u32_e32 v12, vcc, v12, v20
	v_addc_co_u32_e32 v13, vcc, v13, v21, vcc
	ds_write2_b64 v1, v[10:11], v[12:13] offset0:2 offset1:3
	ds_read2_b64 v[10:13], v1 offset0:6 offset1:7
	ds_read2_b64 v[18:21], v1 offset0:182 offset1:183
	s_waitcnt lgkmcnt(3)
	v_add_co_u32_e32 v2, vcc, v6, v2
	v_addc_co_u32_e32 v3, vcc, v7, v3, vcc
	v_add_co_u32_e32 v4, vcc, v8, v4
	v_addc_co_u32_e32 v5, vcc, v9, v5, vcc
	ds_write2_b64 v1, v[2:3], v[4:5] offset0:4 offset1:5
	ds_read2_b64 v[2:5], v1 offset0:184 offset1:185
	s_waitcnt lgkmcnt(2)
	v_add_co_u32_e32 v6, vcc, v10, v18
	v_addc_co_u32_e32 v7, vcc, v11, v19, vcc
	v_add_co_u32_e32 v8, vcc, v12, v20
	v_addc_co_u32_e32 v9, vcc, v13, v21, vcc
	ds_write2_b64 v1, v[6:7], v[8:9] offset0:6 offset1:7
	ds_read2_b64 v[6:9], v1 offset0:10 offset1:186
	s_waitcnt lgkmcnt(2)
	v_add_co_u32_e32 v2, vcc, v14, v2
	v_addc_co_u32_e32 v3, vcc, v15, v3, vcc
	v_add_co_u32_e32 v4, vcc, v16, v4
	v_addc_co_u32_e32 v5, vcc, v17, v5, vcc
	ds_write2_b64 v1, v[2:3], v[4:5] offset0:8 offset1:9
	s_waitcnt lgkmcnt(1)
	v_add_co_u32_e32 v2, vcc, v6, v8
	v_addc_co_u32_e32 v3, vcc, v7, v9, vcc
	ds_write_b64 v1, v[2:3] offset:80
.LBB89_51:
	s_or_b64 exec, exec, s[2:3]
	v_cmp_gt_u32_e32 vcc, 8, v0
	s_waitcnt lgkmcnt(0)
	s_barrier
	s_and_saveexec_b64 s[2:3], vcc
	s_cbranch_execz .LBB89_53
; %bb.52:
	ds_read2_b64 v[2:5], v1 offset0:88 offset1:89
	ds_read2_b64 v[6:9], v1 offset1:1
	ds_read2_b64 v[10:13], v1 offset0:2 offset1:3
	ds_read2_b64 v[14:17], v1 offset0:8 offset1:9
	ds_read2_b64 v[18:21], v1 offset0:90 offset1:91
	s_waitcnt lgkmcnt(3)
	v_add_co_u32_e32 v2, vcc, v6, v2
	v_addc_co_u32_e32 v3, vcc, v7, v3, vcc
	v_add_co_u32_e32 v4, vcc, v8, v4
	v_addc_co_u32_e32 v5, vcc, v9, v5, vcc
	ds_write2_b64 v1, v[2:3], v[4:5] offset1:1
	ds_read2_b64 v[2:5], v1 offset0:92 offset1:93
	s_waitcnt lgkmcnt(2)
	v_add_co_u32_e32 v10, vcc, v10, v18
	ds_read2_b64 v[6:9], v1 offset0:4 offset1:5
	v_addc_co_u32_e32 v11, vcc, v11, v19, vcc
	v_add_co_u32_e32 v12, vcc, v12, v20
	v_addc_co_u32_e32 v13, vcc, v13, v21, vcc
	ds_write2_b64 v1, v[10:11], v[12:13] offset0:2 offset1:3
	ds_read2_b64 v[10:13], v1 offset0:6 offset1:7
	ds_read2_b64 v[18:21], v1 offset0:94 offset1:95
	s_waitcnt lgkmcnt(3)
	v_add_co_u32_e32 v2, vcc, v6, v2
	v_addc_co_u32_e32 v3, vcc, v7, v3, vcc
	v_add_co_u32_e32 v4, vcc, v8, v4
	v_addc_co_u32_e32 v5, vcc, v9, v5, vcc
	ds_write2_b64 v1, v[2:3], v[4:5] offset0:4 offset1:5
	ds_read2_b64 v[2:5], v1 offset0:96 offset1:97
	s_waitcnt lgkmcnt(2)
	v_add_co_u32_e32 v6, vcc, v10, v18
	v_addc_co_u32_e32 v7, vcc, v11, v19, vcc
	v_add_co_u32_e32 v8, vcc, v12, v20
	v_addc_co_u32_e32 v9, vcc, v13, v21, vcc
	ds_write2_b64 v1, v[6:7], v[8:9] offset0:6 offset1:7
	ds_read2_b64 v[6:9], v1 offset0:10 offset1:98
	s_waitcnt lgkmcnt(2)
	v_add_co_u32_e32 v2, vcc, v14, v2
	v_addc_co_u32_e32 v3, vcc, v15, v3, vcc
	v_add_co_u32_e32 v4, vcc, v16, v4
	v_addc_co_u32_e32 v5, vcc, v17, v5, vcc
	ds_write2_b64 v1, v[2:3], v[4:5] offset0:8 offset1:9
	s_waitcnt lgkmcnt(1)
	v_add_co_u32_e32 v2, vcc, v6, v8
	v_addc_co_u32_e32 v3, vcc, v7, v9, vcc
	ds_write_b64 v1, v[2:3] offset:80
.LBB89_53:
	;; [unrolled: 53-line block ×4, first 2 shown]
	s_or_b64 exec, exec, s[2:3]
	v_cmp_eq_u32_e32 vcc, 0, v0
	s_waitcnt lgkmcnt(0)
	s_barrier
	s_and_saveexec_b64 s[2:3], vcc
	s_cbranch_execz .LBB89_59
; %bb.58:
	v_mov_b32_e32 v1, 0
	ds_read_b128 v[2:5], v1 offset:80
	ds_read_b128 v[6:9], v1
	ds_read_b128 v[10:13], v1 offset:16
	ds_read_b128 v[14:17], v1 offset:32
	;; [unrolled: 1-line block ×5, first 2 shown]
	s_waitcnt lgkmcnt(5)
	v_add_co_u32_e32 v4, vcc, v6, v4
	v_addc_co_u32_e32 v5, vcc, v7, v5, vcc
	ds_read_b128 v[30:33], v1 offset:112
	s_waitcnt lgkmcnt(2)
	v_add_co_u32_e32 v6, vcc, v8, v22
	v_addc_co_u32_e32 v7, vcc, v9, v23, vcc
	ds_write_b128 v1, v[4:7]
	v_add_co_u32_e32 v4, vcc, v10, v24
	v_addc_co_u32_e32 v5, vcc, v11, v25, vcc
	s_waitcnt lgkmcnt(1)
	v_add_co_u32_e32 v6, vcc, v12, v30
	v_addc_co_u32_e32 v7, vcc, v13, v31, vcc
	ds_write_b128 v1, v[4:7] offset:16
	ds_read_b128 v[4:7], v1 offset:128
	v_add_co_u32_e32 v8, vcc, v14, v32
	v_addc_co_u32_e32 v9, vcc, v15, v33, vcc
	ds_read_b128 v[12:15], v1 offset:144
	s_waitcnt lgkmcnt(1)
	v_add_co_u32_e32 v10, vcc, v16, v4
	v_addc_co_u32_e32 v11, vcc, v17, v5, vcc
	v_add_co_u32_e32 v4, vcc, v18, v6
	v_addc_co_u32_e32 v5, vcc, v19, v7, vcc
	s_waitcnt lgkmcnt(0)
	v_add_co_u32_e32 v6, vcc, v20, v12
	v_addc_co_u32_e32 v7, vcc, v21, v13, vcc
	ds_write_b128 v1, v[4:7] offset:48
	ds_read_b128 v[4:7], v1 offset:160
	ds_write_b128 v1, v[8:11] offset:32
	v_add_co_u32_e32 v8, vcc, v26, v14
	v_addc_co_u32_e32 v9, vcc, v27, v15, vcc
	s_waitcnt lgkmcnt(1)
	v_add_co_u32_e32 v10, vcc, v28, v4
	v_addc_co_u32_e32 v11, vcc, v29, v5, vcc
	v_add_co_u32_e32 v2, vcc, v2, v6
	v_addc_co_u32_e32 v3, vcc, v3, v7, vcc
	ds_write_b128 v1, v[8:11] offset:64
	ds_write_b64 v1, v[2:3] offset:80
.LBB89_59:
	s_or_b64 exec, exec, s[2:3]
	v_cmp_gt_u32_e32 vcc, 11, v0
	s_waitcnt lgkmcnt(0)
	s_barrier
	s_and_saveexec_b64 s[2:3], vcc
	s_cbranch_execz .LBB89_61
; %bb.60:
	v_mad_u64_u32 v[2:3], s[2:3], s6, 11, v[0:1]
	v_lshlrev_b32_e32 v0, 3, v0
	ds_read_b64 v[0:1], v0
	v_mov_b32_e32 v3, 0
	v_lshlrev_b64 v[2:3], 3, v[2:3]
	v_mov_b32_e32 v4, s1
	v_add_co_u32_e32 v2, vcc, s0, v2
	v_addc_co_u32_e32 v3, vcc, v4, v3, vcc
	s_waitcnt lgkmcnt(0)
	global_store_dwordx2 v[2:3], v[0:1], off
.LBB89_61:
	s_endpgm
	.section	.rodata,"a",@progbits
	.p2align	6, 0x0
	.amdhsa_kernel _ZN9rocsparseL26csrgemm_group_reduce_part2ILj256ELj11EfllEEvT3_PKT2_PS1_Pij
		.amdhsa_group_segment_fixed_size 22528
		.amdhsa_private_segment_fixed_size 0
		.amdhsa_kernarg_size 296
		.amdhsa_user_sgpr_count 6
		.amdhsa_user_sgpr_private_segment_buffer 1
		.amdhsa_user_sgpr_dispatch_ptr 0
		.amdhsa_user_sgpr_queue_ptr 0
		.amdhsa_user_sgpr_kernarg_segment_ptr 1
		.amdhsa_user_sgpr_dispatch_id 0
		.amdhsa_user_sgpr_flat_scratch_init 0
		.amdhsa_user_sgpr_kernarg_preload_length 0
		.amdhsa_user_sgpr_kernarg_preload_offset 0
		.amdhsa_user_sgpr_private_segment_size 0
		.amdhsa_uses_dynamic_stack 0
		.amdhsa_system_sgpr_private_segment_wavefront_offset 0
		.amdhsa_system_sgpr_workgroup_id_x 1
		.amdhsa_system_sgpr_workgroup_id_y 0
		.amdhsa_system_sgpr_workgroup_id_z 0
		.amdhsa_system_sgpr_workgroup_info 0
		.amdhsa_system_vgpr_workitem_id 0
		.amdhsa_next_free_vgpr 34
		.amdhsa_next_free_sgpr 64
		.amdhsa_accum_offset 36
		.amdhsa_reserve_vcc 1
		.amdhsa_reserve_flat_scratch 0
		.amdhsa_float_round_mode_32 0
		.amdhsa_float_round_mode_16_64 0
		.amdhsa_float_denorm_mode_32 3
		.amdhsa_float_denorm_mode_16_64 3
		.amdhsa_dx10_clamp 1
		.amdhsa_ieee_mode 1
		.amdhsa_fp16_overflow 0
		.amdhsa_tg_split 0
		.amdhsa_exception_fp_ieee_invalid_op 0
		.amdhsa_exception_fp_denorm_src 0
		.amdhsa_exception_fp_ieee_div_zero 0
		.amdhsa_exception_fp_ieee_overflow 0
		.amdhsa_exception_fp_ieee_underflow 0
		.amdhsa_exception_fp_ieee_inexact 0
		.amdhsa_exception_int_div_zero 0
	.end_amdhsa_kernel
	.section	.text._ZN9rocsparseL26csrgemm_group_reduce_part2ILj256ELj11EfllEEvT3_PKT2_PS1_Pij,"axG",@progbits,_ZN9rocsparseL26csrgemm_group_reduce_part2ILj256ELj11EfllEEvT3_PKT2_PS1_Pij,comdat
.Lfunc_end89:
	.size	_ZN9rocsparseL26csrgemm_group_reduce_part2ILj256ELj11EfllEEvT3_PKT2_PS1_Pij, .Lfunc_end89-_ZN9rocsparseL26csrgemm_group_reduce_part2ILj256ELj11EfllEEvT3_PKT2_PS1_Pij
                                        ; -- End function
	.section	.AMDGPU.csdata,"",@progbits
; Kernel info:
; codeLenInByte = 3596
; NumSgprs: 68
; NumVgprs: 34
; NumAgprs: 0
; TotalNumVgprs: 34
; ScratchSize: 0
; MemoryBound: 0
; FloatMode: 240
; IeeeMode: 1
; LDSByteSize: 22528 bytes/workgroup (compile time only)
; SGPRBlocks: 8
; VGPRBlocks: 4
; NumSGPRsForWavesPerEU: 68
; NumVGPRsForWavesPerEU: 34
; AccumOffset: 36
; Occupancy: 2
; WaveLimiterHint : 0
; COMPUTE_PGM_RSRC2:SCRATCH_EN: 0
; COMPUTE_PGM_RSRC2:USER_SGPR: 6
; COMPUTE_PGM_RSRC2:TRAP_HANDLER: 0
; COMPUTE_PGM_RSRC2:TGID_X_EN: 1
; COMPUTE_PGM_RSRC2:TGID_Y_EN: 0
; COMPUTE_PGM_RSRC2:TGID_Z_EN: 0
; COMPUTE_PGM_RSRC2:TIDIG_COMP_CNT: 0
; COMPUTE_PGM_RSRC3_GFX90A:ACCUM_OFFSET: 8
; COMPUTE_PGM_RSRC3_GFX90A:TG_SPLIT: 0
	.section	.text._ZN9rocsparseL26csrgemm_group_reduce_part3ILj256ELj11ElEEvPT1_,"axG",@progbits,_ZN9rocsparseL26csrgemm_group_reduce_part3ILj256ELj11ElEEvPT1_,comdat
	.globl	_ZN9rocsparseL26csrgemm_group_reduce_part3ILj256ELj11ElEEvPT1_ ; -- Begin function _ZN9rocsparseL26csrgemm_group_reduce_part3ILj256ELj11ElEEvPT1_
	.p2align	8
	.type	_ZN9rocsparseL26csrgemm_group_reduce_part3ILj256ELj11ElEEvPT1_,@function
_ZN9rocsparseL26csrgemm_group_reduce_part3ILj256ELj11ElEEvPT1_: ; @_ZN9rocsparseL26csrgemm_group_reduce_part3ILj256ELj11ElEEvPT1_
; %bb.0:
	s_load_dwordx2 s[0:1], s[4:5], 0x0
	v_lshlrev_b32_e32 v4, 3, v0
	v_or_b32_e32 v1, 0xffffff00, v0
	s_mov_b64 s[2:3], 0
	s_movk_i32 s4, 0x9ff
	s_waitcnt lgkmcnt(0)
	v_mov_b32_e32 v3, s1
	v_add_co_u32_e32 v2, vcc, s0, v4
	v_addc_co_u32_e32 v3, vcc, 0, v3, vcc
.LBB90_1:                               ; =>This Inner Loop Header: Depth=1
	global_load_dwordx2 v[6:7], v[2:3], off
	v_add_co_u32_e32 v2, vcc, 0x800, v2
	v_add_u32_e32 v1, 0x100, v1
	v_addc_co_u32_e32 v3, vcc, 0, v3, vcc
	v_cmp_lt_u32_e32 vcc, s4, v1
	s_or_b64 s[2:3], vcc, s[2:3]
	s_waitcnt vmcnt(0)
	ds_write_b64 v4, v[6:7]
	v_add_u32_e32 v4, 0x800, v4
	s_andn2_b64 exec, exec, s[2:3]
	s_cbranch_execnz .LBB90_1
; %bb.2:
	s_or_b64 exec, exec, s[2:3]
	s_movk_i32 s2, 0x80
	v_cmp_gt_u32_e32 vcc, s2, v0
	s_waitcnt lgkmcnt(0)
	s_barrier
	s_barrier
	;; [unrolled: 1-line block ×3, first 2 shown]
	s_and_saveexec_b64 s[2:3], vcc
	s_cbranch_execz .LBB90_4
; %bb.3:
	s_movk_i32 s4, 0x58
	v_mov_b32_e32 v2, 0x2c00
	v_mad_u32_u24 v2, v0, s4, v2
	v_mul_u32_u24_e32 v1, 0x58, v0
	ds_read2_b64 v[2:5], v2 offset1:1
	ds_read2_b64 v[6:9], v1 offset1:1
	ds_read2_b64 v[10:13], v1 offset0:2 offset1:3
	ds_read2_b64 v[14:17], v1 offset0:8 offset1:9
	;; [unrolled: 1-line block ×3, first 2 shown]
	s_waitcnt lgkmcnt(3)
	v_add_co_u32_e32 v2, vcc, v6, v2
	v_addc_co_u32_e32 v3, vcc, v7, v3, vcc
	v_add_co_u32_e32 v4, vcc, v8, v4
	v_addc_co_u32_e32 v5, vcc, v9, v5, vcc
	ds_write2_b64 v1, v[2:3], v[4:5] offset1:1
	v_mov_b32_e32 v2, 0x2c10
	v_mad_u32_u24 v2, v0, s4, v2
	ds_read2_b64 v[2:5], v2 offset1:1
	v_mov_b32_e32 v6, 0x2c20
	v_mad_u32_u24 v6, v0, s4, v6
	ds_read2_b64 v[6:9], v6 offset1:1
	s_waitcnt lgkmcnt(1)
	v_add_co_u32_e32 v2, vcc, v10, v2
	v_addc_co_u32_e32 v3, vcc, v11, v3, vcc
	v_add_co_u32_e32 v4, vcc, v12, v4
	v_addc_co_u32_e32 v5, vcc, v13, v5, vcc
	ds_write2_b64 v1, v[2:3], v[4:5] offset0:2 offset1:3
	ds_read2_b64 v[2:5], v1 offset0:6 offset1:7
	s_waitcnt lgkmcnt(2)
	v_add_co_u32_e32 v6, vcc, v18, v6
	v_addc_co_u32_e32 v7, vcc, v19, v7, vcc
	v_add_co_u32_e32 v8, vcc, v20, v8
	v_addc_co_u32_e32 v9, vcc, v21, v9, vcc
	ds_write2_b64 v1, v[6:7], v[8:9] offset0:4 offset1:5
	v_mov_b32_e32 v6, 0x2c30
	v_mad_u32_u24 v6, v0, s4, v6
	ds_read2_b64 v[6:9], v6 offset1:1
	v_mov_b32_e32 v10, 0x2c40
	v_mad_u32_u24 v10, v0, s4, v10
	ds_read2_b64 v[10:13], v10 offset1:1
	s_waitcnt lgkmcnt(1)
	v_add_co_u32_e32 v2, vcc, v2, v6
	v_addc_co_u32_e32 v3, vcc, v3, v7, vcc
	v_add_co_u32_e32 v4, vcc, v4, v8
	v_addc_co_u32_e32 v5, vcc, v5, v9, vcc
	ds_write2_b64 v1, v[2:3], v[4:5] offset0:6 offset1:7
	v_add_u32_e32 v2, 0x50, v1
	ds_read2st64_b64 v[2:5], v2 offset1:22
	s_waitcnt lgkmcnt(2)
	v_add_co_u32_e32 v6, vcc, v14, v10
	v_addc_co_u32_e32 v7, vcc, v15, v11, vcc
	v_add_co_u32_e32 v8, vcc, v16, v12
	v_addc_co_u32_e32 v9, vcc, v17, v13, vcc
	s_waitcnt lgkmcnt(0)
	v_add_co_u32_e32 v2, vcc, v2, v4
	v_addc_co_u32_e32 v3, vcc, v3, v5, vcc
	ds_write2_b64 v1, v[6:7], v[8:9] offset0:8 offset1:9
	ds_write_b64 v1, v[2:3] offset:80
.LBB90_4:
	s_or_b64 exec, exec, s[2:3]
	v_cmp_gt_u32_e32 vcc, 64, v0
	s_waitcnt lgkmcnt(0)
	s_barrier
	s_and_saveexec_b64 s[2:3], vcc
	s_cbranch_execz .LBB90_6
; %bb.5:
	s_movk_i32 s4, 0x58
	v_mov_b32_e32 v2, 0x1600
	v_mad_u32_u24 v2, v0, s4, v2
	v_mul_u32_u24_e32 v1, 0x58, v0
	ds_read2_b64 v[2:5], v2 offset1:1
	ds_read2_b64 v[6:9], v1 offset1:1
	ds_read2_b64 v[10:13], v1 offset0:2 offset1:3
	ds_read2_b64 v[14:17], v1 offset0:8 offset1:9
	;; [unrolled: 1-line block ×3, first 2 shown]
	s_waitcnt lgkmcnt(3)
	v_add_co_u32_e32 v2, vcc, v6, v2
	v_addc_co_u32_e32 v3, vcc, v7, v3, vcc
	v_add_co_u32_e32 v4, vcc, v8, v4
	v_addc_co_u32_e32 v5, vcc, v9, v5, vcc
	ds_write2_b64 v1, v[2:3], v[4:5] offset1:1
	v_mov_b32_e32 v2, 0x1610
	v_mad_u32_u24 v2, v0, s4, v2
	ds_read2_b64 v[2:5], v2 offset1:1
	v_mov_b32_e32 v6, 0x1620
	v_mad_u32_u24 v6, v0, s4, v6
	ds_read2_b64 v[6:9], v6 offset1:1
	s_waitcnt lgkmcnt(1)
	v_add_co_u32_e32 v2, vcc, v10, v2
	v_addc_co_u32_e32 v3, vcc, v11, v3, vcc
	v_add_co_u32_e32 v4, vcc, v12, v4
	v_addc_co_u32_e32 v5, vcc, v13, v5, vcc
	ds_write2_b64 v1, v[2:3], v[4:5] offset0:2 offset1:3
	ds_read2_b64 v[2:5], v1 offset0:6 offset1:7
	s_waitcnt lgkmcnt(2)
	v_add_co_u32_e32 v6, vcc, v18, v6
	v_addc_co_u32_e32 v7, vcc, v19, v7, vcc
	v_add_co_u32_e32 v8, vcc, v20, v8
	v_addc_co_u32_e32 v9, vcc, v21, v9, vcc
	ds_write2_b64 v1, v[6:7], v[8:9] offset0:4 offset1:5
	v_mov_b32_e32 v6, 0x1630
	v_mad_u32_u24 v6, v0, s4, v6
	ds_read2_b64 v[6:9], v6 offset1:1
	v_mov_b32_e32 v10, 0x1640
	v_mad_u32_u24 v10, v0, s4, v10
	ds_read2_b64 v[10:13], v10 offset1:1
	s_waitcnt lgkmcnt(1)
	v_add_co_u32_e32 v2, vcc, v2, v6
	v_addc_co_u32_e32 v3, vcc, v3, v7, vcc
	v_add_co_u32_e32 v4, vcc, v4, v8
	v_addc_co_u32_e32 v5, vcc, v5, v9, vcc
	ds_write2_b64 v1, v[2:3], v[4:5] offset0:6 offset1:7
	v_add_u32_e32 v2, 0x50, v1
	ds_read2st64_b64 v[2:5], v2 offset1:11
	s_waitcnt lgkmcnt(2)
	v_add_co_u32_e32 v6, vcc, v14, v10
	v_addc_co_u32_e32 v7, vcc, v15, v11, vcc
	v_add_co_u32_e32 v8, vcc, v16, v12
	v_addc_co_u32_e32 v9, vcc, v17, v13, vcc
	s_waitcnt lgkmcnt(0)
	v_add_co_u32_e32 v2, vcc, v2, v4
	v_addc_co_u32_e32 v3, vcc, v3, v5, vcc
	ds_write2_b64 v1, v[6:7], v[8:9] offset0:8 offset1:9
	ds_write_b64 v1, v[2:3] offset:80
.LBB90_6:
	s_or_b64 exec, exec, s[2:3]
	v_cmp_gt_u32_e32 vcc, 32, v0
	s_waitcnt lgkmcnt(0)
	s_barrier
	s_and_saveexec_b64 s[2:3], vcc
	s_cbranch_execz .LBB90_8
; %bb.7:
	s_movk_i32 s4, 0x58
	v_mov_b32_e32 v2, 0xb00
	v_mad_u32_u24 v2, v0, s4, v2
	v_mul_u32_u24_e32 v1, 0x58, v0
	ds_read2_b64 v[2:5], v2 offset1:1
	ds_read2_b64 v[6:9], v1 offset1:1
	ds_read2_b64 v[10:13], v1 offset0:2 offset1:3
	ds_read_b64 v[18:19], v1 offset:2896
	ds_read2_b64 v[14:17], v1 offset0:4 offset1:5
	s_waitcnt lgkmcnt(3)
	v_add_co_u32_e32 v2, vcc, v6, v2
	v_addc_co_u32_e32 v3, vcc, v7, v3, vcc
	v_add_co_u32_e32 v4, vcc, v8, v4
	v_addc_co_u32_e32 v5, vcc, v9, v5, vcc
	ds_write2_b64 v1, v[2:3], v[4:5] offset1:1
	v_mov_b32_e32 v2, 0xb10
	v_mad_u32_u24 v2, v0, s4, v2
	ds_read2_b64 v[2:5], v2 offset1:1
	v_mov_b32_e32 v6, 0xb20
	v_mad_u32_u24 v6, v0, s4, v6
	ds_read2_b64 v[6:9], v6 offset1:1
	s_waitcnt lgkmcnt(1)
	v_add_co_u32_e32 v2, vcc, v10, v2
	v_addc_co_u32_e32 v3, vcc, v11, v3, vcc
	v_add_co_u32_e32 v4, vcc, v12, v4
	v_addc_co_u32_e32 v5, vcc, v13, v5, vcc
	ds_write2_b64 v1, v[2:3], v[4:5] offset0:2 offset1:3
	ds_read2_b64 v[2:5], v1 offset0:6 offset1:7
	s_waitcnt lgkmcnt(2)
	v_add_co_u32_e32 v6, vcc, v14, v6
	v_addc_co_u32_e32 v7, vcc, v15, v7, vcc
	v_add_co_u32_e32 v8, vcc, v16, v8
	v_addc_co_u32_e32 v9, vcc, v17, v9, vcc
	ds_write2_b64 v1, v[6:7], v[8:9] offset0:4 offset1:5
	v_mov_b32_e32 v6, 0xb30
	v_mad_u32_u24 v6, v0, s4, v6
	ds_read2_b64 v[6:9], v6 offset1:1
	v_mov_b32_e32 v10, 0xb40
	v_mad_u32_u24 v10, v0, s4, v10
	ds_read2_b64 v[10:13], v10 offset1:1
	ds_read2_b64 v[14:17], v1 offset0:8 offset1:9
	s_waitcnt lgkmcnt(2)
	v_add_co_u32_e32 v2, vcc, v2, v6
	v_addc_co_u32_e32 v3, vcc, v3, v7, vcc
	v_add_co_u32_e32 v4, vcc, v4, v8
	v_addc_co_u32_e32 v5, vcc, v5, v9, vcc
	ds_write2_b64 v1, v[2:3], v[4:5] offset0:6 offset1:7
	ds_read_b64 v[2:3], v1 offset:80
	s_waitcnt lgkmcnt(2)
	v_add_co_u32_e32 v4, vcc, v14, v10
	v_addc_co_u32_e32 v5, vcc, v15, v11, vcc
	v_add_co_u32_e32 v6, vcc, v16, v12
	v_addc_co_u32_e32 v7, vcc, v17, v13, vcc
	s_waitcnt lgkmcnt(0)
	v_add_co_u32_e32 v2, vcc, v2, v18
	v_addc_co_u32_e32 v3, vcc, v3, v19, vcc
	ds_write2_b64 v1, v[4:5], v[6:7] offset0:8 offset1:9
	ds_write_b64 v1, v[2:3] offset:80
.LBB90_8:
	s_or_b64 exec, exec, s[2:3]
	v_cmp_gt_u32_e32 vcc, 16, v0
	s_waitcnt lgkmcnt(0)
	s_barrier
	s_and_saveexec_b64 s[2:3], vcc
	s_cbranch_execz .LBB90_10
; %bb.9:
	v_mul_u32_u24_e32 v1, 0x58, v0
	ds_read2_b64 v[2:5], v1 offset0:176 offset1:177
	ds_read2_b64 v[6:9], v1 offset1:1
	ds_read2_b64 v[10:13], v1 offset0:2 offset1:3
	ds_read2_b64 v[14:17], v1 offset0:8 offset1:9
	ds_read2_b64 v[18:21], v1 offset0:178 offset1:179
	s_waitcnt lgkmcnt(3)
	v_add_co_u32_e32 v2, vcc, v6, v2
	v_addc_co_u32_e32 v3, vcc, v7, v3, vcc
	v_add_co_u32_e32 v4, vcc, v8, v4
	v_addc_co_u32_e32 v5, vcc, v9, v5, vcc
	ds_write2_b64 v1, v[2:3], v[4:5] offset1:1
	ds_read2_b64 v[2:5], v1 offset0:180 offset1:181
	s_waitcnt lgkmcnt(2)
	v_add_co_u32_e32 v10, vcc, v10, v18
	ds_read2_b64 v[6:9], v1 offset0:4 offset1:5
	v_addc_co_u32_e32 v11, vcc, v11, v19, vcc
	v_add_co_u32_e32 v12, vcc, v12, v20
	v_addc_co_u32_e32 v13, vcc, v13, v21, vcc
	ds_write2_b64 v1, v[10:11], v[12:13] offset0:2 offset1:3
	ds_read2_b64 v[10:13], v1 offset0:6 offset1:7
	ds_read2_b64 v[18:21], v1 offset0:182 offset1:183
	s_waitcnt lgkmcnt(3)
	v_add_co_u32_e32 v2, vcc, v6, v2
	v_addc_co_u32_e32 v3, vcc, v7, v3, vcc
	v_add_co_u32_e32 v4, vcc, v8, v4
	v_addc_co_u32_e32 v5, vcc, v9, v5, vcc
	ds_write2_b64 v1, v[2:3], v[4:5] offset0:4 offset1:5
	ds_read2_b64 v[2:5], v1 offset0:184 offset1:185
	s_waitcnt lgkmcnt(2)
	v_add_co_u32_e32 v6, vcc, v10, v18
	v_addc_co_u32_e32 v7, vcc, v11, v19, vcc
	v_add_co_u32_e32 v8, vcc, v12, v20
	v_addc_co_u32_e32 v9, vcc, v13, v21, vcc
	ds_write2_b64 v1, v[6:7], v[8:9] offset0:6 offset1:7
	ds_read2_b64 v[6:9], v1 offset0:10 offset1:186
	s_waitcnt lgkmcnt(2)
	v_add_co_u32_e32 v2, vcc, v14, v2
	v_addc_co_u32_e32 v3, vcc, v15, v3, vcc
	v_add_co_u32_e32 v4, vcc, v16, v4
	v_addc_co_u32_e32 v5, vcc, v17, v5, vcc
	ds_write2_b64 v1, v[2:3], v[4:5] offset0:8 offset1:9
	s_waitcnt lgkmcnt(1)
	v_add_co_u32_e32 v2, vcc, v6, v8
	v_addc_co_u32_e32 v3, vcc, v7, v9, vcc
	ds_write_b64 v1, v[2:3] offset:80
.LBB90_10:
	s_or_b64 exec, exec, s[2:3]
	v_cmp_gt_u32_e32 vcc, 8, v0
	s_waitcnt lgkmcnt(0)
	s_barrier
	s_and_saveexec_b64 s[2:3], vcc
	s_cbranch_execz .LBB90_12
; %bb.11:
	v_mul_u32_u24_e32 v1, 0x58, v0
	ds_read2_b64 v[2:5], v1 offset0:88 offset1:89
	ds_read2_b64 v[6:9], v1 offset1:1
	ds_read2_b64 v[10:13], v1 offset0:2 offset1:3
	ds_read2_b64 v[14:17], v1 offset0:8 offset1:9
	ds_read2_b64 v[18:21], v1 offset0:90 offset1:91
	s_waitcnt lgkmcnt(3)
	v_add_co_u32_e32 v2, vcc, v6, v2
	v_addc_co_u32_e32 v3, vcc, v7, v3, vcc
	v_add_co_u32_e32 v4, vcc, v8, v4
	v_addc_co_u32_e32 v5, vcc, v9, v5, vcc
	ds_write2_b64 v1, v[2:3], v[4:5] offset1:1
	ds_read2_b64 v[2:5], v1 offset0:92 offset1:93
	s_waitcnt lgkmcnt(2)
	v_add_co_u32_e32 v10, vcc, v10, v18
	ds_read2_b64 v[6:9], v1 offset0:4 offset1:5
	v_addc_co_u32_e32 v11, vcc, v11, v19, vcc
	v_add_co_u32_e32 v12, vcc, v12, v20
	v_addc_co_u32_e32 v13, vcc, v13, v21, vcc
	ds_write2_b64 v1, v[10:11], v[12:13] offset0:2 offset1:3
	ds_read2_b64 v[10:13], v1 offset0:6 offset1:7
	ds_read2_b64 v[18:21], v1 offset0:94 offset1:95
	s_waitcnt lgkmcnt(3)
	v_add_co_u32_e32 v2, vcc, v6, v2
	v_addc_co_u32_e32 v3, vcc, v7, v3, vcc
	v_add_co_u32_e32 v4, vcc, v8, v4
	v_addc_co_u32_e32 v5, vcc, v9, v5, vcc
	ds_write2_b64 v1, v[2:3], v[4:5] offset0:4 offset1:5
	ds_read2_b64 v[2:5], v1 offset0:96 offset1:97
	s_waitcnt lgkmcnt(2)
	v_add_co_u32_e32 v6, vcc, v10, v18
	v_addc_co_u32_e32 v7, vcc, v11, v19, vcc
	v_add_co_u32_e32 v8, vcc, v12, v20
	v_addc_co_u32_e32 v9, vcc, v13, v21, vcc
	ds_write2_b64 v1, v[6:7], v[8:9] offset0:6 offset1:7
	ds_read2_b64 v[6:9], v1 offset0:10 offset1:98
	s_waitcnt lgkmcnt(2)
	v_add_co_u32_e32 v2, vcc, v14, v2
	v_addc_co_u32_e32 v3, vcc, v15, v3, vcc
	v_add_co_u32_e32 v4, vcc, v16, v4
	v_addc_co_u32_e32 v5, vcc, v17, v5, vcc
	ds_write2_b64 v1, v[2:3], v[4:5] offset0:8 offset1:9
	s_waitcnt lgkmcnt(1)
	v_add_co_u32_e32 v2, vcc, v6, v8
	v_addc_co_u32_e32 v3, vcc, v7, v9, vcc
	ds_write_b64 v1, v[2:3] offset:80
.LBB90_12:
	;; [unrolled: 54-line block ×3, first 2 shown]
	s_or_b64 exec, exec, s[2:3]
	v_cmp_gt_u32_e32 vcc, 2, v0
	s_waitcnt lgkmcnt(0)
	s_barrier
	s_and_saveexec_b64 s[2:3], vcc
	s_cbranch_execz .LBB90_16
; %bb.15:
	v_mul_u32_u24_e32 v1, 11, v0
	v_lshlrev_b32_e32 v1, 3, v1
	ds_read2_b64 v[2:5], v1 offset0:22 offset1:23
	ds_read2_b64 v[6:9], v1 offset1:1
	ds_read2_b64 v[10:13], v1 offset0:2 offset1:3
	ds_read2_b64 v[14:17], v1 offset0:8 offset1:9
	;; [unrolled: 1-line block ×3, first 2 shown]
	s_waitcnt lgkmcnt(3)
	v_add_co_u32_e32 v2, vcc, v6, v2
	v_addc_co_u32_e32 v3, vcc, v7, v3, vcc
	v_add_co_u32_e32 v4, vcc, v8, v4
	v_addc_co_u32_e32 v5, vcc, v9, v5, vcc
	ds_write2_b64 v1, v[2:3], v[4:5] offset1:1
	ds_read2_b64 v[2:5], v1 offset0:26 offset1:27
	s_waitcnt lgkmcnt(2)
	v_add_co_u32_e32 v10, vcc, v10, v18
	ds_read2_b64 v[6:9], v1 offset0:4 offset1:5
	v_addc_co_u32_e32 v11, vcc, v11, v19, vcc
	v_add_co_u32_e32 v12, vcc, v12, v20
	v_addc_co_u32_e32 v13, vcc, v13, v21, vcc
	ds_write2_b64 v1, v[10:11], v[12:13] offset0:2 offset1:3
	ds_read2_b64 v[10:13], v1 offset0:6 offset1:7
	ds_read2_b64 v[18:21], v1 offset0:28 offset1:29
	s_waitcnt lgkmcnt(3)
	v_add_co_u32_e32 v2, vcc, v6, v2
	v_addc_co_u32_e32 v3, vcc, v7, v3, vcc
	v_add_co_u32_e32 v4, vcc, v8, v4
	v_addc_co_u32_e32 v5, vcc, v9, v5, vcc
	ds_write2_b64 v1, v[2:3], v[4:5] offset0:4 offset1:5
	ds_read2_b64 v[2:5], v1 offset0:30 offset1:31
	s_waitcnt lgkmcnt(2)
	v_add_co_u32_e32 v6, vcc, v10, v18
	v_addc_co_u32_e32 v7, vcc, v11, v19, vcc
	v_add_co_u32_e32 v8, vcc, v12, v20
	v_addc_co_u32_e32 v9, vcc, v13, v21, vcc
	ds_write2_b64 v1, v[6:7], v[8:9] offset0:6 offset1:7
	;; [unrolled: 7-line block ×3, first 2 shown]
	s_waitcnt lgkmcnt(1)
	v_add_co_u32_e32 v2, vcc, v6, v8
	v_addc_co_u32_e32 v3, vcc, v7, v9, vcc
	ds_write_b64 v1, v[2:3] offset:80
.LBB90_16:
	s_or_b64 exec, exec, s[2:3]
	v_cmp_eq_u32_e32 vcc, 0, v0
	s_waitcnt lgkmcnt(0)
	s_barrier
	s_and_saveexec_b64 s[2:3], vcc
	s_cbranch_execz .LBB90_18
; %bb.17:
	v_mov_b32_e32 v1, 0
	ds_read_b128 v[2:5], v1 offset:80
	ds_read_b128 v[6:9], v1
	ds_read_b128 v[10:13], v1 offset:16
	ds_read_b128 v[14:17], v1 offset:32
	;; [unrolled: 1-line block ×5, first 2 shown]
	s_waitcnt lgkmcnt(5)
	v_add_co_u32_e32 v4, vcc, v6, v4
	v_addc_co_u32_e32 v5, vcc, v7, v5, vcc
	ds_read_b128 v[30:33], v1 offset:112
	s_waitcnt lgkmcnt(2)
	v_add_co_u32_e32 v6, vcc, v8, v22
	v_addc_co_u32_e32 v7, vcc, v9, v23, vcc
	ds_write_b128 v1, v[4:7]
	v_add_co_u32_e32 v4, vcc, v10, v24
	v_addc_co_u32_e32 v5, vcc, v11, v25, vcc
	s_waitcnt lgkmcnt(1)
	v_add_co_u32_e32 v6, vcc, v12, v30
	v_addc_co_u32_e32 v7, vcc, v13, v31, vcc
	ds_write_b128 v1, v[4:7] offset:16
	ds_read_b128 v[4:7], v1 offset:128
	v_add_co_u32_e32 v8, vcc, v14, v32
	v_addc_co_u32_e32 v9, vcc, v15, v33, vcc
	ds_read_b128 v[12:15], v1 offset:144
	s_waitcnt lgkmcnt(1)
	v_add_co_u32_e32 v10, vcc, v16, v4
	v_addc_co_u32_e32 v11, vcc, v17, v5, vcc
	v_add_co_u32_e32 v4, vcc, v18, v6
	v_addc_co_u32_e32 v5, vcc, v19, v7, vcc
	s_waitcnt lgkmcnt(0)
	v_add_co_u32_e32 v6, vcc, v20, v12
	v_addc_co_u32_e32 v7, vcc, v21, v13, vcc
	ds_write_b128 v1, v[4:7] offset:48
	ds_read_b128 v[4:7], v1 offset:160
	ds_write_b128 v1, v[8:11] offset:32
	v_add_co_u32_e32 v8, vcc, v26, v14
	v_addc_co_u32_e32 v9, vcc, v27, v15, vcc
	s_waitcnt lgkmcnt(1)
	v_add_co_u32_e32 v10, vcc, v28, v4
	v_addc_co_u32_e32 v11, vcc, v29, v5, vcc
	v_add_co_u32_e32 v2, vcc, v2, v6
	v_addc_co_u32_e32 v3, vcc, v3, v7, vcc
	ds_write_b128 v1, v[8:11] offset:64
	ds_write_b64 v1, v[2:3] offset:80
.LBB90_18:
	s_or_b64 exec, exec, s[2:3]
	v_cmp_gt_u32_e32 vcc, 11, v0
	s_waitcnt lgkmcnt(0)
	s_barrier
	s_and_saveexec_b64 s[2:3], vcc
	s_cbranch_execz .LBB90_20
; %bb.19:
	v_lshlrev_b32_e32 v2, 3, v0
	ds_read_b64 v[0:1], v2
	s_waitcnt lgkmcnt(0)
	global_store_dwordx2 v2, v[0:1], s[0:1]
.LBB90_20:
	s_endpgm
	.section	.rodata,"a",@progbits
	.p2align	6, 0x0
	.amdhsa_kernel _ZN9rocsparseL26csrgemm_group_reduce_part3ILj256ELj11ElEEvPT1_
		.amdhsa_group_segment_fixed_size 22528
		.amdhsa_private_segment_fixed_size 0
		.amdhsa_kernarg_size 8
		.amdhsa_user_sgpr_count 6
		.amdhsa_user_sgpr_private_segment_buffer 1
		.amdhsa_user_sgpr_dispatch_ptr 0
		.amdhsa_user_sgpr_queue_ptr 0
		.amdhsa_user_sgpr_kernarg_segment_ptr 1
		.amdhsa_user_sgpr_dispatch_id 0
		.amdhsa_user_sgpr_flat_scratch_init 0
		.amdhsa_user_sgpr_kernarg_preload_length 0
		.amdhsa_user_sgpr_kernarg_preload_offset 0
		.amdhsa_user_sgpr_private_segment_size 0
		.amdhsa_uses_dynamic_stack 0
		.amdhsa_system_sgpr_private_segment_wavefront_offset 0
		.amdhsa_system_sgpr_workgroup_id_x 1
		.amdhsa_system_sgpr_workgroup_id_y 0
		.amdhsa_system_sgpr_workgroup_id_z 0
		.amdhsa_system_sgpr_workgroup_info 0
		.amdhsa_system_vgpr_workitem_id 0
		.amdhsa_next_free_vgpr 34
		.amdhsa_next_free_sgpr 6
		.amdhsa_accum_offset 36
		.amdhsa_reserve_vcc 1
		.amdhsa_reserve_flat_scratch 0
		.amdhsa_float_round_mode_32 0
		.amdhsa_float_round_mode_16_64 0
		.amdhsa_float_denorm_mode_32 3
		.amdhsa_float_denorm_mode_16_64 3
		.amdhsa_dx10_clamp 1
		.amdhsa_ieee_mode 1
		.amdhsa_fp16_overflow 0
		.amdhsa_tg_split 0
		.amdhsa_exception_fp_ieee_invalid_op 0
		.amdhsa_exception_fp_denorm_src 0
		.amdhsa_exception_fp_ieee_div_zero 0
		.amdhsa_exception_fp_ieee_overflow 0
		.amdhsa_exception_fp_ieee_underflow 0
		.amdhsa_exception_fp_ieee_inexact 0
		.amdhsa_exception_int_div_zero 0
	.end_amdhsa_kernel
	.section	.text._ZN9rocsparseL26csrgemm_group_reduce_part3ILj256ELj11ElEEvPT1_,"axG",@progbits,_ZN9rocsparseL26csrgemm_group_reduce_part3ILj256ELj11ElEEvPT1_,comdat
.Lfunc_end90:
	.size	_ZN9rocsparseL26csrgemm_group_reduce_part3ILj256ELj11ElEEvPT1_, .Lfunc_end90-_ZN9rocsparseL26csrgemm_group_reduce_part3ILj256ELj11ElEEvPT1_
                                        ; -- End function
	.section	.AMDGPU.csdata,"",@progbits
; Kernel info:
; codeLenInByte = 2684
; NumSgprs: 10
; NumVgprs: 34
; NumAgprs: 0
; TotalNumVgprs: 34
; ScratchSize: 0
; MemoryBound: 1
; FloatMode: 240
; IeeeMode: 1
; LDSByteSize: 22528 bytes/workgroup (compile time only)
; SGPRBlocks: 1
; VGPRBlocks: 4
; NumSGPRsForWavesPerEU: 10
; NumVGPRsForWavesPerEU: 34
; AccumOffset: 36
; Occupancy: 2
; WaveLimiterHint : 1
; COMPUTE_PGM_RSRC2:SCRATCH_EN: 0
; COMPUTE_PGM_RSRC2:USER_SGPR: 6
; COMPUTE_PGM_RSRC2:TRAP_HANDLER: 0
; COMPUTE_PGM_RSRC2:TGID_X_EN: 1
; COMPUTE_PGM_RSRC2:TGID_Y_EN: 0
; COMPUTE_PGM_RSRC2:TGID_Z_EN: 0
; COMPUTE_PGM_RSRC2:TIDIG_COMP_CNT: 0
; COMPUTE_PGM_RSRC3_GFX90A:ACCUM_OFFSET: 8
; COMPUTE_PGM_RSRC3_GFX90A:TG_SPLIT: 0
	.section	.text._ZN9rocsparseL23csrgemm_fill_wf_per_rowILj256ELj8ELj16ELj137EllfEEvT4_S1_PKS1_S3_NS_24const_host_device_scalarIT5_EEPKT3_S3_PKS5_S9_S3_SB_S6_S9_S3_SB_S9_PS1_PS5_21rocsparse_index_base_SE_SE_SE_bbb,"axG",@progbits,_ZN9rocsparseL23csrgemm_fill_wf_per_rowILj256ELj8ELj16ELj137EllfEEvT4_S1_PKS1_S3_NS_24const_host_device_scalarIT5_EEPKT3_S3_PKS5_S9_S3_SB_S6_S9_S3_SB_S9_PS1_PS5_21rocsparse_index_base_SE_SE_SE_bbb,comdat
	.globl	_ZN9rocsparseL23csrgemm_fill_wf_per_rowILj256ELj8ELj16ELj137EllfEEvT4_S1_PKS1_S3_NS_24const_host_device_scalarIT5_EEPKT3_S3_PKS5_S9_S3_SB_S6_S9_S3_SB_S9_PS1_PS5_21rocsparse_index_base_SE_SE_SE_bbb ; -- Begin function _ZN9rocsparseL23csrgemm_fill_wf_per_rowILj256ELj8ELj16ELj137EllfEEvT4_S1_PKS1_S3_NS_24const_host_device_scalarIT5_EEPKT3_S3_PKS5_S9_S3_SB_S6_S9_S3_SB_S9_PS1_PS5_21rocsparse_index_base_SE_SE_SE_bbb
	.p2align	8
	.type	_ZN9rocsparseL23csrgemm_fill_wf_per_rowILj256ELj8ELj16ELj137EllfEEvT4_S1_PKS1_S3_NS_24const_host_device_scalarIT5_EEPKT3_S3_PKS5_S9_S3_SB_S6_S9_S3_SB_S9_PS1_PS5_21rocsparse_index_base_SE_SE_SE_bbb,@function
_ZN9rocsparseL23csrgemm_fill_wf_per_rowILj256ELj8ELj16ELj137EllfEEvT4_S1_PKS1_S3_NS_24const_host_device_scalarIT5_EEPKT3_S3_PKS5_S9_S3_SB_S6_S9_S3_SB_S9_PS1_PS5_21rocsparse_index_base_SE_SE_SE_bbb: ; @_ZN9rocsparseL23csrgemm_fill_wf_per_rowILj256ELj8ELj16ELj137EllfEEvT4_S1_PKS1_S3_NS_24const_host_device_scalarIT5_EEPKT3_S3_PKS5_S9_S3_SB_S6_S9_S3_SB_S9_PS1_PS5_21rocsparse_index_base_SE_SE_SE_bbb
; %bb.0:
	s_load_dword s7, s[4:5], 0xa0
	s_load_dwordx4 s[24:27], s[4:5], 0x90
	s_load_dwordx2 s[0:1], s[4:5], 0x20
	s_load_dwordx2 s[34:35], s[4:5], 0x58
	s_waitcnt lgkmcnt(0)
	s_bitcmp1_b32 s7, 0
	s_cselect_b64 s[2:3], -1, 0
	s_bitcmp1_b32 s7, 16
	s_cselect_b64 s[36:37], -1, 0
	s_xor_b64 s[8:9], s[2:3], -1
	s_or_b64 s[8:9], s[8:9], s[36:37]
	s_and_b64 vcc, exec, s[8:9]
	s_cbranch_vccnz .LBB91_2
; %bb.1:
	s_load_dword s0, s[0:1], 0x0
	s_waitcnt lgkmcnt(0)
	v_mov_b32_e32 v21, s0
	s_branch .LBB91_3
.LBB91_2:
	v_mov_b32_e32 v1, s0
	v_cndmask_b32_e64 v21, 0, v1, s[2:3]
.LBB91_3:
	s_load_dwordx4 s[28:31], s[4:5], 0x80
	s_load_dwordx8 s[8:15], s[4:5], 0x60
	s_load_dwordx4 s[40:43], s[4:5], 0x48
	s_load_dwordx4 s[44:47], s[4:5], 0x10
	s_load_dwordx8 s[16:23], s[4:5], 0x28
	s_bitcmp1_b32 s7, 8
	s_cselect_b64 s[0:1], -1, 0
	s_xor_b64 s[38:39], s[0:1], -1
	s_or_b64 s[36:37], s[38:39], s[36:37]
	s_and_b64 vcc, exec, s[36:37]
	s_cbranch_vccnz .LBB91_5
; %bb.4:
	s_load_dword s7, s[34:35], 0x0
	s_waitcnt lgkmcnt(0)
	v_mov_b32_e32 v19, s7
	s_branch .LBB91_6
.LBB91_5:
	v_mov_b32_e32 v1, s34
	v_cndmask_b32_e64 v19, 0, v1, s[0:1]
.LBB91_6:
	s_load_dwordx4 s[36:39], s[4:5], 0x0
	v_and_b32_e32 v22, 7, v0
	v_lshrrev_b32_e32 v2, 3, v0
	v_lshlrev_b32_e32 v0, 6, v2
	v_lshlrev_b32_e32 v1, 2, v22
	s_movk_i32 s4, 0x1000
	v_or3_b32 v16, v0, v1, s4
	v_lshlrev_b32_e32 v0, 3, v22
	v_or_b32_e32 v13, -8, v22
	v_lshl_or_b32 v17, v2, 7, v0
	s_mov_b64 s[4:5], 0
	s_waitcnt lgkmcnt(0)
	v_pk_mov_b32 v[0:1], s[38:39], s[38:39] op_sel:[0,1]
	v_mov_b32_e32 v3, 0
	v_mov_b32_e32 v4, v17
	;; [unrolled: 1-line block ×4, first 2 shown]
.LBB91_7:                               ; =>This Inner Loop Header: Depth=1
	v_add_co_u32_e32 v6, vcc, 8, v6
	s_xor_b64 s[34:35], vcc, -1
	s_and_b64 s[34:35], exec, s[34:35]
	ds_write_b64 v4, v[0:1]
	ds_write_b32 v5, v3
	v_add_u32_e32 v5, 32, v5
	s_or_b64 s[4:5], s[34:35], s[4:5]
	v_add_u32_e32 v4, 64, v4
	s_andn2_b64 exec, exec, s[4:5]
	s_cbranch_execnz .LBB91_7
; %bb.8:
	s_or_b64 exec, exec, s[4:5]
	s_lshl_b32 s4, s6, 5
	s_and_b32 s4, s4, 0x1fffffe0
	v_or_b32_e32 v0, s4, v2
	v_mov_b32_e32 v1, 0
	v_cmp_gt_i64_e32 vcc, s[36:37], v[0:1]
	s_waitcnt lgkmcnt(0)
	s_and_saveexec_b64 s[4:5], vcc
	s_cbranch_execz .LBB91_52
; %bb.9:
	s_cmp_eq_u64 s[46:47], 0
	s_cbranch_scc1 .LBB91_11
; %bb.10:
	s_load_dwordx2 s[4:5], s[44:45], 0x0
	v_lshlrev_b32_e32 v0, 3, v0
	s_waitcnt lgkmcnt(0)
	s_lshl_b64 s[4:5], s[4:5], 3
	s_add_u32 s4, s46, s4
	s_addc_u32 s5, s47, s5
	global_load_dwordx2 v[0:1], v0, s[4:5]
.LBB91_11:
	v_mov_b32_e32 v3, 0x1000
	v_lshlrev_b32_e32 v18, 7, v2
	v_lshl_or_b32 v20, v2, 6, v3
	s_andn2_b64 vcc, exec, s[2:3]
	s_waitcnt vmcnt(0)
	v_lshlrev_b64 v[4:5], 3, v[0:1]
	s_cbranch_vccnz .LBB91_31
; %bb.12:
	v_mov_b32_e32 v1, s17
	v_add_co_u32_e32 v0, vcc, s16, v4
	v_addc_co_u32_e32 v1, vcc, v1, v5, vcc
	global_load_dwordx4 v[0:3], v[0:1], off
	v_subrev_co_u32_e32 v8, vcc, s24, v22
	v_subb_co_u32_e64 v9, s[2:3], 0, 0, vcc
	s_mov_b32 s6, 0
	s_waitcnt vmcnt(0)
	v_subrev_co_u32_e32 v6, vcc, s24, v2
	v_subbrev_co_u32_e32 v7, vcc, 0, v3, vcc
	v_add_co_u32_e32 v8, vcc, v0, v8
	v_addc_co_u32_e32 v9, vcc, v1, v9, vcc
	v_cmp_lt_i64_e32 vcc, v[8:9], v[6:7]
	s_and_saveexec_b64 s[2:3], vcc
	s_cbranch_execz .LBB91_30
; %bb.13:
	s_mov_b32 s33, s24
	s_mov_b32 s50, s25
	;; [unrolled: 1-line block ×3, first 2 shown]
	s_mov_b64 s[4:5], 0
	v_mov_b32_e32 v23, s19
	v_mov_b32_e32 v24, s6
	;; [unrolled: 1-line block ×3, first 2 shown]
	s_branch .LBB91_15
.LBB91_14:                              ;   in Loop: Header=BB91_15 Depth=1
	s_or_b64 exec, exec, s[6:7]
	v_add_co_u32_e32 v8, vcc, 8, v8
	v_addc_co_u32_e32 v9, vcc, 0, v9, vcc
	v_cmp_ge_i64_e32 vcc, v[8:9], v[6:7]
	s_or_b64 s[4:5], vcc, s[4:5]
	s_andn2_b64 exec, exec, s[4:5]
	s_cbranch_execz .LBB91_30
.LBB91_15:                              ; =>This Loop Header: Depth=1
                                        ;     Child Loop BB91_18 Depth 2
                                        ;       Child Loop BB91_20 Depth 3
	v_lshlrev_b64 v[0:1], 3, v[8:9]
	v_add_co_u32_e32 v0, vcc, s18, v0
	v_addc_co_u32_e32 v1, vcc, v23, v1, vcc
	global_load_dwordx2 v[0:1], v[0:1], off
	s_waitcnt vmcnt(0)
	v_subrev_co_u32_e32 v0, vcc, s33, v0
	v_subb_co_u32_e32 v1, vcc, v1, v24, vcc
	v_lshlrev_b64 v[0:1], 3, v[0:1]
	v_add_co_u32_e32 v0, vcc, s22, v0
	v_addc_co_u32_e32 v1, vcc, v25, v1, vcc
	global_load_dwordx4 v[0:3], v[0:1], off
	s_waitcnt vmcnt(0)
	v_cmp_lt_i64_e32 vcc, v[0:1], v[2:3]
	s_and_saveexec_b64 s[6:7], vcc
	s_cbranch_execz .LBB91_14
; %bb.16:                               ;   in Loop: Header=BB91_15 Depth=1
	v_lshlrev_b64 v[10:11], 2, v[8:9]
	v_mov_b32_e32 v12, s21
	v_add_co_u32_e32 v10, vcc, s20, v10
	v_addc_co_u32_e32 v11, vcc, v12, v11, vcc
	global_load_dword v10, v[10:11], off
	v_mov_b32_e32 v11, s51
	v_subrev_co_u32_e32 v2, vcc, s50, v2
	v_subb_co_u32_e32 v3, vcc, v3, v11, vcc
	v_subrev_co_u32_e32 v0, vcc, s50, v0
	v_subb_co_u32_e32 v1, vcc, v1, v11, vcc
	s_mov_b64 s[16:17], 0
	s_waitcnt vmcnt(0)
	v_mul_f32_e32 v26, v21, v10
	s_branch .LBB91_18
.LBB91_17:                              ;   in Loop: Header=BB91_18 Depth=2
	s_or_b64 exec, exec, s[24:25]
	v_add_co_u32_e32 v0, vcc, 1, v0
	v_addc_co_u32_e32 v1, vcc, 0, v1, vcc
	v_cmp_ge_i64_e32 vcc, v[0:1], v[2:3]
	s_or_b64 s[16:17], vcc, s[16:17]
	s_andn2_b64 exec, exec, s[16:17]
	s_cbranch_execz .LBB91_14
.LBB91_18:                              ;   Parent Loop BB91_15 Depth=1
                                        ; =>  This Loop Header: Depth=2
                                        ;       Child Loop BB91_20 Depth 3
	v_lshlrev_b64 v[10:11], 3, v[0:1]
	v_mov_b32_e32 v12, s41
	v_add_co_u32_e32 v10, vcc, s40, v10
	v_addc_co_u32_e32 v11, vcc, v12, v11, vcc
	v_lshlrev_b64 v[14:15], 2, v[0:1]
	v_mov_b32_e32 v12, s43
	v_add_co_u32_e32 v14, vcc, s42, v14
	global_load_dwordx2 v[10:11], v[10:11], off
	v_addc_co_u32_e32 v15, vcc, v12, v15, vcc
	global_load_dword v12, v[14:15], off
	v_mov_b32_e32 v14, s51
	s_mov_b64 s[24:25], 0
	s_waitcnt vmcnt(1)
	v_subrev_co_u32_e32 v10, vcc, s50, v10
	v_subb_co_u32_e32 v11, vcc, v11, v14, vcc
	s_waitcnt vmcnt(0)
	v_mul_f32_e32 v27, v26, v12
	v_lshl_add_u32 v12, v10, 3, v10
	v_and_b32_e32 v12, 15, v12
	s_branch .LBB91_20
.LBB91_19:                              ;   in Loop: Header=BB91_20 Depth=3
	s_or_b64 exec, exec, s[34:35]
	s_xor_b64 s[34:35], s[36:37], -1
	s_and_b64 s[34:35], exec, s[34:35]
	s_or_b64 s[24:25], s[34:35], s[24:25]
	s_andn2_b64 exec, exec, s[24:25]
	s_cbranch_execz .LBB91_17
.LBB91_20:                              ;   Parent Loop BB91_15 Depth=1
                                        ;     Parent Loop BB91_18 Depth=2
                                        ; =>    This Inner Loop Header: Depth=3
	v_lshl_add_u32 v28, v12, 3, v18
	ds_read_b64 v[14:15], v28
                                        ; implicit-def: $sgpr36_sgpr37
	s_waitcnt lgkmcnt(0)
	v_cmp_ne_u64_e32 vcc, v[14:15], v[10:11]
	s_and_saveexec_b64 s[34:35], vcc
	s_xor_b64 s[34:35], exec, s[34:35]
	s_cbranch_execz .LBB91_28
; %bb.21:                               ;   in Loop: Header=BB91_20 Depth=3
	v_cmp_ne_u64_e32 vcc, s[38:39], v[14:15]
                                        ; implicit-def: $sgpr36_sgpr37
	s_and_saveexec_b64 s[44:45], vcc
	s_xor_b64 s[44:45], exec, s[44:45]
; %bb.22:                               ;   in Loop: Header=BB91_20 Depth=3
	v_add_u32_e32 v12, 1, v12
	v_and_b32_e32 v12, 15, v12
	s_mov_b64 s[36:37], -1
                                        ; implicit-def: $vgpr28
; %bb.23:                               ;   in Loop: Header=BB91_20 Depth=3
	s_andn2_saveexec_b64 s[44:45], s[44:45]
	s_cbranch_execz .LBB91_27
; %bb.24:                               ;   in Loop: Header=BB91_20 Depth=3
	v_pk_mov_b32 v[14:15], s[38:39], s[38:39] op_sel:[0,1]
	ds_cmpst_rtn_b64 v[14:15], v28, v[14:15], v[10:11]
	s_mov_b64 s[46:47], -1
	s_waitcnt lgkmcnt(0)
	v_cmp_eq_u64_e32 vcc, s[38:39], v[14:15]
	s_and_saveexec_b64 s[48:49], vcc
	s_cbranch_execz .LBB91_26
; %bb.25:                               ;   in Loop: Header=BB91_20 Depth=3
	v_lshl_add_u32 v14, v12, 2, v20
	ds_add_f32 v14, v27
	s_xor_b64 s[46:47], exec, -1
.LBB91_26:                              ;   in Loop: Header=BB91_20 Depth=3
	s_or_b64 exec, exec, s[48:49]
	s_andn2_b64 s[36:37], s[36:37], exec
	s_and_b64 s[46:47], s[46:47], exec
	s_or_b64 s[36:37], s[36:37], s[46:47]
.LBB91_27:                              ;   in Loop: Header=BB91_20 Depth=3
	s_or_b64 exec, exec, s[44:45]
	s_and_b64 s[36:37], s[36:37], exec
.LBB91_28:                              ;   in Loop: Header=BB91_20 Depth=3
	s_andn2_saveexec_b64 s[34:35], s[34:35]
	s_cbranch_execz .LBB91_19
; %bb.29:                               ;   in Loop: Header=BB91_20 Depth=3
	v_lshl_add_u32 v14, v12, 2, v20
	ds_add_f32 v14, v27
	s_andn2_b64 s[36:37], s[36:37], exec
	s_branch .LBB91_19
.LBB91_30:
	s_or_b64 exec, exec, s[2:3]
.LBB91_31:
	s_andn2_b64 vcc, exec, s[0:1]
	s_cbranch_vccnz .LBB91_48
; %bb.32:
	v_mov_b32_e32 v1, s9
	v_add_co_u32_e32 v0, vcc, s8, v4
	v_addc_co_u32_e32 v1, vcc, v1, v5, vcc
	global_load_dwordx4 v[6:9], v[0:1], off
	v_subrev_co_u32_e32 v2, vcc, s27, v22
	v_subb_co_u32_e64 v3, s[0:1], 0, 0, vcc
	s_mov_b32 s4, 0
	s_waitcnt vmcnt(0)
	v_subrev_co_u32_e32 v0, vcc, s27, v8
	v_subbrev_co_u32_e32 v1, vcc, 0, v9, vcc
	v_add_co_u32_e32 v2, vcc, v6, v2
	v_addc_co_u32_e32 v3, vcc, v7, v3, vcc
	v_cmp_lt_i64_e32 vcc, v[2:3], v[0:1]
	s_and_saveexec_b64 s[0:1], vcc
	s_cbranch_execz .LBB91_47
; %bb.33:
	s_mov_b32 s22, s27
	s_mov_b64 s[2:3], 0
	v_mov_b32_e32 v9, s11
	v_mov_b32_e32 v12, s4
	;; [unrolled: 1-line block ×3, first 2 shown]
	s_branch .LBB91_35
.LBB91_34:                              ;   in Loop: Header=BB91_35 Depth=1
	s_or_b64 exec, exec, s[4:5]
	v_add_co_u32_e32 v2, vcc, 8, v2
	v_addc_co_u32_e32 v3, vcc, 0, v3, vcc
	v_cmp_ge_i64_e32 vcc, v[2:3], v[0:1]
	s_or_b64 s[2:3], vcc, s[2:3]
	s_andn2_b64 exec, exec, s[2:3]
	s_cbranch_execz .LBB91_47
.LBB91_35:                              ; =>This Loop Header: Depth=1
                                        ;     Child Loop BB91_37 Depth 2
	v_lshlrev_b64 v[6:7], 3, v[2:3]
	v_add_co_u32_e32 v6, vcc, s10, v6
	v_addc_co_u32_e32 v7, vcc, v9, v7, vcc
	v_lshlrev_b64 v[10:11], 2, v[2:3]
	v_add_co_u32_e32 v10, vcc, s12, v10
	global_load_dwordx2 v[6:7], v[6:7], off
	v_addc_co_u32_e32 v11, vcc, v14, v11, vcc
	global_load_dword v8, v[10:11], off
	s_mov_b64 s[4:5], 0
	s_waitcnt vmcnt(1)
	v_subrev_co_u32_e32 v6, vcc, s22, v6
	v_subb_co_u32_e32 v7, vcc, v7, v12, vcc
	s_waitcnt vmcnt(0)
	v_mul_f32_e32 v15, v19, v8
	v_lshl_add_u32 v8, v6, 3, v6
	v_and_b32_e32 v8, 15, v8
	s_branch .LBB91_37
.LBB91_36:                              ;   in Loop: Header=BB91_37 Depth=2
	s_or_b64 exec, exec, s[6:7]
	s_xor_b64 s[6:7], s[8:9], -1
	s_and_b64 s[6:7], exec, s[6:7]
	s_or_b64 s[4:5], s[6:7], s[4:5]
	s_andn2_b64 exec, exec, s[4:5]
	s_cbranch_execz .LBB91_34
.LBB91_37:                              ;   Parent Loop BB91_35 Depth=1
                                        ; =>  This Inner Loop Header: Depth=2
	v_lshl_add_u32 v21, v8, 3, v18
	ds_read_b64 v[10:11], v21
                                        ; implicit-def: $sgpr8_sgpr9
	s_waitcnt lgkmcnt(0)
	v_cmp_ne_u64_e32 vcc, v[10:11], v[6:7]
	s_and_saveexec_b64 s[6:7], vcc
	s_xor_b64 s[6:7], exec, s[6:7]
	s_cbranch_execz .LBB91_45
; %bb.38:                               ;   in Loop: Header=BB91_37 Depth=2
	v_cmp_ne_u64_e32 vcc, s[38:39], v[10:11]
                                        ; implicit-def: $sgpr8_sgpr9
	s_and_saveexec_b64 s[16:17], vcc
	s_xor_b64 s[16:17], exec, s[16:17]
; %bb.39:                               ;   in Loop: Header=BB91_37 Depth=2
	v_add_u32_e32 v8, 1, v8
	v_and_b32_e32 v8, 15, v8
	s_mov_b64 s[8:9], -1
                                        ; implicit-def: $vgpr21
; %bb.40:                               ;   in Loop: Header=BB91_37 Depth=2
	s_andn2_saveexec_b64 s[16:17], s[16:17]
	s_cbranch_execz .LBB91_44
; %bb.41:                               ;   in Loop: Header=BB91_37 Depth=2
	v_pk_mov_b32 v[10:11], s[38:39], s[38:39] op_sel:[0,1]
	ds_cmpst_rtn_b64 v[10:11], v21, v[10:11], v[6:7]
	s_mov_b64 s[18:19], -1
	s_waitcnt lgkmcnt(0)
	v_cmp_eq_u64_e32 vcc, s[38:39], v[10:11]
	s_and_saveexec_b64 s[20:21], vcc
	s_cbranch_execz .LBB91_43
; %bb.42:                               ;   in Loop: Header=BB91_37 Depth=2
	v_lshl_add_u32 v10, v8, 2, v20
	ds_add_f32 v10, v15
	s_xor_b64 s[18:19], exec, -1
.LBB91_43:                              ;   in Loop: Header=BB91_37 Depth=2
	s_or_b64 exec, exec, s[20:21]
	s_andn2_b64 s[8:9], s[8:9], exec
	s_and_b64 s[18:19], s[18:19], exec
	s_or_b64 s[8:9], s[8:9], s[18:19]
.LBB91_44:                              ;   in Loop: Header=BB91_37 Depth=2
	s_or_b64 exec, exec, s[16:17]
	s_and_b64 s[8:9], s[8:9], exec
.LBB91_45:                              ;   in Loop: Header=BB91_37 Depth=2
	s_andn2_saveexec_b64 s[6:7], s[6:7]
	s_cbranch_execz .LBB91_36
; %bb.46:                               ;   in Loop: Header=BB91_37 Depth=2
	v_lshl_add_u32 v10, v8, 2, v20
	ds_add_f32 v10, v15
	s_andn2_b64 s[8:9], s[8:9], exec
	s_branch .LBB91_36
.LBB91_47:
	s_or_b64 exec, exec, s[0:1]
.LBB91_48:
	v_mov_b32_e32 v1, s15
	v_add_co_u32_e32 v0, vcc, s14, v4
	v_addc_co_u32_e32 v1, vcc, v1, v5, vcc
	s_waitcnt lgkmcnt(0)
	global_load_dwordx2 v[0:1], v[0:1], off
	s_mov_b32 s4, 0
	s_mov_b64 s[0:1], 0
	s_waitcnt vmcnt(0)
	v_subrev_co_u32_e32 v2, vcc, s26, v0
	v_subbrev_co_u32_e32 v3, vcc, 0, v1, vcc
	s_branch .LBB91_50
.LBB91_49:                              ;   in Loop: Header=BB91_50 Depth=1
	s_or_b64 exec, exec, s[2:3]
	v_add_co_u32_e32 v13, vcc, 8, v13
	s_xor_b64 s[2:3], vcc, -1
	s_and_b64 s[2:3], exec, s[2:3]
	v_add_u32_e32 v16, 32, v16
	s_or_b64 s[0:1], s[2:3], s[0:1]
	v_add_u32_e32 v17, 64, v17
	s_andn2_b64 exec, exec, s[0:1]
	s_cbranch_execz .LBB91_52
.LBB91_50:                              ; =>This Inner Loop Header: Depth=1
	ds_read_b64 v[0:1], v17
	s_waitcnt lgkmcnt(0)
	v_cmp_gt_i64_e32 vcc, s[38:39], v[0:1]
	s_and_saveexec_b64 s[2:3], vcc
	s_cbranch_execz .LBB91_49
; %bb.51:                               ;   in Loop: Header=BB91_50 Depth=1
	ds_read_b128 v[4:7], v18
	ds_read_b128 v[8:11], v18 offset:16
	ds_read_b128 v[20:23], v18 offset:32
	;; [unrolled: 1-line block ×3, first 2 shown]
	s_waitcnt lgkmcnt(3)
	v_cmp_gt_i64_e32 vcc, v[0:1], v[4:5]
	v_cndmask_b32_e64 v4, 0, 1, vcc
	v_add_co_u32_e32 v4, vcc, v2, v4
	v_addc_co_u32_e32 v5, vcc, 0, v3, vcc
	v_cmp_gt_i64_e32 vcc, v[0:1], v[6:7]
	v_cndmask_b32_e64 v6, 0, 1, vcc
	v_add_co_u32_e32 v4, vcc, v4, v6
	v_addc_co_u32_e32 v5, vcc, 0, v5, vcc
	s_waitcnt lgkmcnt(2)
	v_cmp_gt_i64_e32 vcc, v[0:1], v[8:9]
	v_cndmask_b32_e64 v6, 0, 1, vcc
	v_add_co_u32_e32 v4, vcc, v4, v6
	v_addc_co_u32_e32 v5, vcc, 0, v5, vcc
	v_cmp_gt_i64_e32 vcc, v[0:1], v[10:11]
	v_cndmask_b32_e64 v6, 0, 1, vcc
	v_add_co_u32_e32 v4, vcc, v4, v6
	v_addc_co_u32_e32 v5, vcc, 0, v5, vcc
	;; [unrolled: 9-line block ×3, first 2 shown]
	s_waitcnt lgkmcnt(0)
	v_cmp_gt_i64_e32 vcc, v[0:1], v[24:25]
	v_cndmask_b32_e64 v6, 0, 1, vcc
	v_add_co_u32_e32 v8, vcc, v4, v6
	v_addc_co_u32_e32 v9, vcc, 0, v5, vcc
	ds_read_b128 v[4:7], v18 offset:64
	v_cmp_gt_i64_e32 vcc, v[0:1], v[26:27]
	v_cndmask_b32_e64 v10, 0, 1, vcc
	v_add_co_u32_e32 v12, vcc, v8, v10
	v_addc_co_u32_e32 v14, vcc, 0, v9, vcc
	ds_read_b128 v[8:11], v18 offset:80
	s_waitcnt lgkmcnt(1)
	v_cmp_gt_i64_e32 vcc, v[0:1], v[4:5]
	v_cndmask_b32_e64 v4, 0, 1, vcc
	v_add_co_u32_e32 v4, vcc, v12, v4
	v_addc_co_u32_e32 v5, vcc, 0, v14, vcc
	v_cmp_gt_i64_e32 vcc, v[0:1], v[6:7]
	v_cndmask_b32_e64 v6, 0, 1, vcc
	v_add_co_u32_e32 v4, vcc, v4, v6
	v_addc_co_u32_e32 v5, vcc, 0, v5, vcc
	s_waitcnt lgkmcnt(0)
	v_cmp_gt_i64_e32 vcc, v[0:1], v[8:9]
	v_cndmask_b32_e64 v6, 0, 1, vcc
	v_add_co_u32_e32 v8, vcc, v4, v6
	v_addc_co_u32_e32 v9, vcc, 0, v5, vcc
	ds_read_b128 v[4:7], v18 offset:96
	v_cmp_gt_i64_e32 vcc, v[0:1], v[10:11]
	v_cndmask_b32_e64 v10, 0, 1, vcc
	v_add_co_u32_e32 v12, vcc, v8, v10
	v_addc_co_u32_e32 v14, vcc, 0, v9, vcc
	ds_read_b128 v[8:11], v18 offset:112
	s_waitcnt lgkmcnt(1)
	v_cmp_gt_i64_e32 vcc, v[0:1], v[4:5]
	v_cndmask_b32_e64 v4, 0, 1, vcc
	v_add_co_u32_e32 v4, vcc, v12, v4
	v_addc_co_u32_e32 v5, vcc, 0, v14, vcc
	v_cmp_gt_i64_e32 vcc, v[0:1], v[6:7]
	v_cndmask_b32_e64 v6, 0, 1, vcc
	v_add_co_u32_e32 v4, vcc, v4, v6
	v_addc_co_u32_e32 v5, vcc, 0, v5, vcc
	s_waitcnt lgkmcnt(0)
	v_cmp_gt_i64_e32 vcc, v[0:1], v[8:9]
	v_cndmask_b32_e64 v6, 0, 1, vcc
	v_add_co_u32_e32 v4, vcc, v4, v6
	v_addc_co_u32_e32 v5, vcc, 0, v5, vcc
	v_cmp_gt_i64_e32 vcc, v[0:1], v[10:11]
	v_cndmask_b32_e64 v6, 0, 1, vcc
	v_add_co_u32_e32 v4, vcc, v4, v6
	v_addc_co_u32_e32 v5, vcc, 0, v5, vcc
	v_mov_b32_e32 v6, s4
	v_add_co_u32_e32 v0, vcc, s26, v0
	v_addc_co_u32_e32 v1, vcc, v1, v6, vcc
	v_lshlrev_b64 v[6:7], 3, v[4:5]
	v_mov_b32_e32 v8, s29
	v_add_co_u32_e32 v6, vcc, s28, v6
	v_addc_co_u32_e32 v7, vcc, v8, v7, vcc
	global_store_dwordx2 v[6:7], v[0:1], off
	ds_read_b32 v6, v16
	v_lshlrev_b64 v[0:1], 2, v[4:5]
	v_mov_b32_e32 v4, s31
	v_add_co_u32_e32 v0, vcc, s30, v0
	v_addc_co_u32_e32 v1, vcc, v4, v1, vcc
	s_waitcnt lgkmcnt(0)
	global_store_dword v[0:1], v6, off
	s_branch .LBB91_49
.LBB91_52:
	s_endpgm
	.section	.rodata,"a",@progbits
	.p2align	6, 0x0
	.amdhsa_kernel _ZN9rocsparseL23csrgemm_fill_wf_per_rowILj256ELj8ELj16ELj137EllfEEvT4_S1_PKS1_S3_NS_24const_host_device_scalarIT5_EEPKT3_S3_PKS5_S9_S3_SB_S6_S9_S3_SB_S9_PS1_PS5_21rocsparse_index_base_SE_SE_SE_bbb
		.amdhsa_group_segment_fixed_size 6144
		.amdhsa_private_segment_fixed_size 0
		.amdhsa_kernarg_size 164
		.amdhsa_user_sgpr_count 6
		.amdhsa_user_sgpr_private_segment_buffer 1
		.amdhsa_user_sgpr_dispatch_ptr 0
		.amdhsa_user_sgpr_queue_ptr 0
		.amdhsa_user_sgpr_kernarg_segment_ptr 1
		.amdhsa_user_sgpr_dispatch_id 0
		.amdhsa_user_sgpr_flat_scratch_init 0
		.amdhsa_user_sgpr_kernarg_preload_length 0
		.amdhsa_user_sgpr_kernarg_preload_offset 0
		.amdhsa_user_sgpr_private_segment_size 0
		.amdhsa_uses_dynamic_stack 0
		.amdhsa_system_sgpr_private_segment_wavefront_offset 0
		.amdhsa_system_sgpr_workgroup_id_x 1
		.amdhsa_system_sgpr_workgroup_id_y 0
		.amdhsa_system_sgpr_workgroup_id_z 0
		.amdhsa_system_sgpr_workgroup_info 0
		.amdhsa_system_vgpr_workitem_id 0
		.amdhsa_next_free_vgpr 29
		.amdhsa_next_free_sgpr 52
		.amdhsa_accum_offset 32
		.amdhsa_reserve_vcc 1
		.amdhsa_reserve_flat_scratch 0
		.amdhsa_float_round_mode_32 0
		.amdhsa_float_round_mode_16_64 0
		.amdhsa_float_denorm_mode_32 3
		.amdhsa_float_denorm_mode_16_64 3
		.amdhsa_dx10_clamp 1
		.amdhsa_ieee_mode 1
		.amdhsa_fp16_overflow 0
		.amdhsa_tg_split 0
		.amdhsa_exception_fp_ieee_invalid_op 0
		.amdhsa_exception_fp_denorm_src 0
		.amdhsa_exception_fp_ieee_div_zero 0
		.amdhsa_exception_fp_ieee_overflow 0
		.amdhsa_exception_fp_ieee_underflow 0
		.amdhsa_exception_fp_ieee_inexact 0
		.amdhsa_exception_int_div_zero 0
	.end_amdhsa_kernel
	.section	.text._ZN9rocsparseL23csrgemm_fill_wf_per_rowILj256ELj8ELj16ELj137EllfEEvT4_S1_PKS1_S3_NS_24const_host_device_scalarIT5_EEPKT3_S3_PKS5_S9_S3_SB_S6_S9_S3_SB_S9_PS1_PS5_21rocsparse_index_base_SE_SE_SE_bbb,"axG",@progbits,_ZN9rocsparseL23csrgemm_fill_wf_per_rowILj256ELj8ELj16ELj137EllfEEvT4_S1_PKS1_S3_NS_24const_host_device_scalarIT5_EEPKT3_S3_PKS5_S9_S3_SB_S6_S9_S3_SB_S9_PS1_PS5_21rocsparse_index_base_SE_SE_SE_bbb,comdat
.Lfunc_end91:
	.size	_ZN9rocsparseL23csrgemm_fill_wf_per_rowILj256ELj8ELj16ELj137EllfEEvT4_S1_PKS1_S3_NS_24const_host_device_scalarIT5_EEPKT3_S3_PKS5_S9_S3_SB_S6_S9_S3_SB_S9_PS1_PS5_21rocsparse_index_base_SE_SE_SE_bbb, .Lfunc_end91-_ZN9rocsparseL23csrgemm_fill_wf_per_rowILj256ELj8ELj16ELj137EllfEEvT4_S1_PKS1_S3_NS_24const_host_device_scalarIT5_EEPKT3_S3_PKS5_S9_S3_SB_S6_S9_S3_SB_S9_PS1_PS5_21rocsparse_index_base_SE_SE_SE_bbb
                                        ; -- End function
	.section	.AMDGPU.csdata,"",@progbits
; Kernel info:
; codeLenInByte = 2092
; NumSgprs: 56
; NumVgprs: 29
; NumAgprs: 0
; TotalNumVgprs: 29
; ScratchSize: 0
; MemoryBound: 0
; FloatMode: 240
; IeeeMode: 1
; LDSByteSize: 6144 bytes/workgroup (compile time only)
; SGPRBlocks: 6
; VGPRBlocks: 3
; NumSGPRsForWavesPerEU: 56
; NumVGPRsForWavesPerEU: 29
; AccumOffset: 32
; Occupancy: 8
; WaveLimiterHint : 1
; COMPUTE_PGM_RSRC2:SCRATCH_EN: 0
; COMPUTE_PGM_RSRC2:USER_SGPR: 6
; COMPUTE_PGM_RSRC2:TRAP_HANDLER: 0
; COMPUTE_PGM_RSRC2:TGID_X_EN: 1
; COMPUTE_PGM_RSRC2:TGID_Y_EN: 0
; COMPUTE_PGM_RSRC2:TGID_Z_EN: 0
; COMPUTE_PGM_RSRC2:TIDIG_COMP_CNT: 0
; COMPUTE_PGM_RSRC3_GFX90A:ACCUM_OFFSET: 7
; COMPUTE_PGM_RSRC3_GFX90A:TG_SPLIT: 0
	.section	.text._ZN9rocsparseL23csrgemm_fill_wf_per_rowILj256ELj16ELj32ELj137EllfEEvT4_S1_PKS1_S3_NS_24const_host_device_scalarIT5_EEPKT3_S3_PKS5_S9_S3_SB_S6_S9_S3_SB_S9_PS1_PS5_21rocsparse_index_base_SE_SE_SE_bbb,"axG",@progbits,_ZN9rocsparseL23csrgemm_fill_wf_per_rowILj256ELj16ELj32ELj137EllfEEvT4_S1_PKS1_S3_NS_24const_host_device_scalarIT5_EEPKT3_S3_PKS5_S9_S3_SB_S6_S9_S3_SB_S9_PS1_PS5_21rocsparse_index_base_SE_SE_SE_bbb,comdat
	.globl	_ZN9rocsparseL23csrgemm_fill_wf_per_rowILj256ELj16ELj32ELj137EllfEEvT4_S1_PKS1_S3_NS_24const_host_device_scalarIT5_EEPKT3_S3_PKS5_S9_S3_SB_S6_S9_S3_SB_S9_PS1_PS5_21rocsparse_index_base_SE_SE_SE_bbb ; -- Begin function _ZN9rocsparseL23csrgemm_fill_wf_per_rowILj256ELj16ELj32ELj137EllfEEvT4_S1_PKS1_S3_NS_24const_host_device_scalarIT5_EEPKT3_S3_PKS5_S9_S3_SB_S6_S9_S3_SB_S9_PS1_PS5_21rocsparse_index_base_SE_SE_SE_bbb
	.p2align	8
	.type	_ZN9rocsparseL23csrgemm_fill_wf_per_rowILj256ELj16ELj32ELj137EllfEEvT4_S1_PKS1_S3_NS_24const_host_device_scalarIT5_EEPKT3_S3_PKS5_S9_S3_SB_S6_S9_S3_SB_S9_PS1_PS5_21rocsparse_index_base_SE_SE_SE_bbb,@function
_ZN9rocsparseL23csrgemm_fill_wf_per_rowILj256ELj16ELj32ELj137EllfEEvT4_S1_PKS1_S3_NS_24const_host_device_scalarIT5_EEPKT3_S3_PKS5_S9_S3_SB_S6_S9_S3_SB_S9_PS1_PS5_21rocsparse_index_base_SE_SE_SE_bbb: ; @_ZN9rocsparseL23csrgemm_fill_wf_per_rowILj256ELj16ELj32ELj137EllfEEvT4_S1_PKS1_S3_NS_24const_host_device_scalarIT5_EEPKT3_S3_PKS5_S9_S3_SB_S6_S9_S3_SB_S9_PS1_PS5_21rocsparse_index_base_SE_SE_SE_bbb
; %bb.0:
	s_load_dword s7, s[4:5], 0xa0
	s_load_dwordx4 s[24:27], s[4:5], 0x90
	s_load_dwordx2 s[0:1], s[4:5], 0x20
	s_load_dwordx2 s[34:35], s[4:5], 0x58
	s_waitcnt lgkmcnt(0)
	s_bitcmp1_b32 s7, 0
	s_cselect_b64 s[2:3], -1, 0
	s_bitcmp1_b32 s7, 16
	s_cselect_b64 s[36:37], -1, 0
	s_xor_b64 s[8:9], s[2:3], -1
	s_or_b64 s[8:9], s[8:9], s[36:37]
	s_and_b64 vcc, exec, s[8:9]
	s_cbranch_vccnz .LBB92_2
; %bb.1:
	s_load_dword s0, s[0:1], 0x0
	s_waitcnt lgkmcnt(0)
	v_mov_b32_e32 v21, s0
	s_branch .LBB92_3
.LBB92_2:
	v_mov_b32_e32 v1, s0
	v_cndmask_b32_e64 v21, 0, v1, s[2:3]
.LBB92_3:
	s_load_dwordx4 s[28:31], s[4:5], 0x80
	s_load_dwordx8 s[8:15], s[4:5], 0x60
	s_load_dwordx4 s[40:43], s[4:5], 0x48
	s_load_dwordx4 s[44:47], s[4:5], 0x10
	s_load_dwordx8 s[16:23], s[4:5], 0x28
	s_bitcmp1_b32 s7, 8
	s_cselect_b64 s[0:1], -1, 0
	s_xor_b64 s[38:39], s[0:1], -1
	s_or_b64 s[36:37], s[38:39], s[36:37]
	s_and_b64 vcc, exec, s[36:37]
	s_cbranch_vccnz .LBB92_5
; %bb.4:
	s_load_dword s7, s[34:35], 0x0
	s_waitcnt lgkmcnt(0)
	v_mov_b32_e32 v19, s7
	s_branch .LBB92_6
.LBB92_5:
	v_mov_b32_e32 v1, s34
	v_cndmask_b32_e64 v19, 0, v1, s[0:1]
.LBB92_6:
	s_load_dwordx4 s[36:39], s[4:5], 0x0
	v_and_b32_e32 v22, 15, v0
	v_lshrrev_b32_e32 v2, 4, v0
	v_lshlrev_b32_e32 v0, 7, v2
	v_lshlrev_b32_e32 v1, 2, v22
	s_movk_i32 s4, 0x1000
	v_or3_b32 v16, v0, v1, s4
	v_lshlrev_b32_e32 v0, 3, v22
	v_or_b32_e32 v13, -16, v22
	v_lshl_or_b32 v17, v2, 8, v0
	s_mov_b64 s[4:5], 0
	s_waitcnt lgkmcnt(0)
	v_pk_mov_b32 v[0:1], s[38:39], s[38:39] op_sel:[0,1]
	v_mov_b32_e32 v3, 0
	v_mov_b32_e32 v4, v17
	;; [unrolled: 1-line block ×4, first 2 shown]
.LBB92_7:                               ; =>This Inner Loop Header: Depth=1
	v_add_co_u32_e32 v6, vcc, 16, v6
	s_xor_b64 s[34:35], vcc, -1
	s_and_b64 s[34:35], exec, s[34:35]
	ds_write_b64 v4, v[0:1]
	ds_write_b32 v5, v3
	v_add_u32_e32 v5, 64, v5
	s_or_b64 s[4:5], s[34:35], s[4:5]
	v_add_u32_e32 v4, 0x80, v4
	s_andn2_b64 exec, exec, s[4:5]
	s_cbranch_execnz .LBB92_7
; %bb.8:
	s_or_b64 exec, exec, s[4:5]
	s_lshl_b32 s4, s6, 4
	s_and_b32 s4, s4, 0xffffff0
	v_or_b32_e32 v0, s4, v2
	v_mov_b32_e32 v1, 0
	v_cmp_gt_i64_e32 vcc, s[36:37], v[0:1]
	s_waitcnt lgkmcnt(0)
	s_and_saveexec_b64 s[4:5], vcc
	s_cbranch_execz .LBB92_52
; %bb.9:
	s_cmp_eq_u64 s[46:47], 0
	s_cbranch_scc1 .LBB92_11
; %bb.10:
	s_load_dwordx2 s[4:5], s[44:45], 0x0
	v_lshlrev_b32_e32 v0, 3, v0
	s_waitcnt lgkmcnt(0)
	s_lshl_b64 s[4:5], s[4:5], 3
	s_add_u32 s4, s46, s4
	s_addc_u32 s5, s47, s5
	global_load_dwordx2 v[0:1], v0, s[4:5]
.LBB92_11:
	v_mov_b32_e32 v3, 0x1000
	v_lshlrev_b32_e32 v18, 8, v2
	v_lshl_or_b32 v20, v2, 7, v3
	s_andn2_b64 vcc, exec, s[2:3]
	s_waitcnt vmcnt(0)
	v_lshlrev_b64 v[4:5], 3, v[0:1]
	s_cbranch_vccnz .LBB92_31
; %bb.12:
	v_mov_b32_e32 v1, s17
	v_add_co_u32_e32 v0, vcc, s16, v4
	v_addc_co_u32_e32 v1, vcc, v1, v5, vcc
	global_load_dwordx4 v[0:3], v[0:1], off
	v_subrev_co_u32_e32 v8, vcc, s24, v22
	v_subb_co_u32_e64 v9, s[2:3], 0, 0, vcc
	s_mov_b32 s6, 0
	s_waitcnt vmcnt(0)
	v_subrev_co_u32_e32 v6, vcc, s24, v2
	v_subbrev_co_u32_e32 v7, vcc, 0, v3, vcc
	v_add_co_u32_e32 v8, vcc, v0, v8
	v_addc_co_u32_e32 v9, vcc, v1, v9, vcc
	v_cmp_lt_i64_e32 vcc, v[8:9], v[6:7]
	s_and_saveexec_b64 s[2:3], vcc
	s_cbranch_execz .LBB92_30
; %bb.13:
	s_mov_b32 s33, s24
	s_mov_b32 s50, s25
	;; [unrolled: 1-line block ×3, first 2 shown]
	s_mov_b64 s[4:5], 0
	v_mov_b32_e32 v23, s19
	v_mov_b32_e32 v24, s6
	;; [unrolled: 1-line block ×3, first 2 shown]
	s_branch .LBB92_15
.LBB92_14:                              ;   in Loop: Header=BB92_15 Depth=1
	s_or_b64 exec, exec, s[6:7]
	v_add_co_u32_e32 v8, vcc, 16, v8
	v_addc_co_u32_e32 v9, vcc, 0, v9, vcc
	v_cmp_ge_i64_e32 vcc, v[8:9], v[6:7]
	s_or_b64 s[4:5], vcc, s[4:5]
	s_andn2_b64 exec, exec, s[4:5]
	s_cbranch_execz .LBB92_30
.LBB92_15:                              ; =>This Loop Header: Depth=1
                                        ;     Child Loop BB92_18 Depth 2
                                        ;       Child Loop BB92_20 Depth 3
	v_lshlrev_b64 v[0:1], 3, v[8:9]
	v_add_co_u32_e32 v0, vcc, s18, v0
	v_addc_co_u32_e32 v1, vcc, v23, v1, vcc
	global_load_dwordx2 v[0:1], v[0:1], off
	s_waitcnt vmcnt(0)
	v_subrev_co_u32_e32 v0, vcc, s33, v0
	v_subb_co_u32_e32 v1, vcc, v1, v24, vcc
	v_lshlrev_b64 v[0:1], 3, v[0:1]
	v_add_co_u32_e32 v0, vcc, s22, v0
	v_addc_co_u32_e32 v1, vcc, v25, v1, vcc
	global_load_dwordx4 v[0:3], v[0:1], off
	s_waitcnt vmcnt(0)
	v_cmp_lt_i64_e32 vcc, v[0:1], v[2:3]
	s_and_saveexec_b64 s[6:7], vcc
	s_cbranch_execz .LBB92_14
; %bb.16:                               ;   in Loop: Header=BB92_15 Depth=1
	v_lshlrev_b64 v[10:11], 2, v[8:9]
	v_mov_b32_e32 v12, s21
	v_add_co_u32_e32 v10, vcc, s20, v10
	v_addc_co_u32_e32 v11, vcc, v12, v11, vcc
	global_load_dword v10, v[10:11], off
	v_mov_b32_e32 v11, s51
	v_subrev_co_u32_e32 v2, vcc, s50, v2
	v_subb_co_u32_e32 v3, vcc, v3, v11, vcc
	v_subrev_co_u32_e32 v0, vcc, s50, v0
	v_subb_co_u32_e32 v1, vcc, v1, v11, vcc
	s_mov_b64 s[16:17], 0
	s_waitcnt vmcnt(0)
	v_mul_f32_e32 v26, v21, v10
	s_branch .LBB92_18
.LBB92_17:                              ;   in Loop: Header=BB92_18 Depth=2
	s_or_b64 exec, exec, s[24:25]
	v_add_co_u32_e32 v0, vcc, 1, v0
	v_addc_co_u32_e32 v1, vcc, 0, v1, vcc
	v_cmp_ge_i64_e32 vcc, v[0:1], v[2:3]
	s_or_b64 s[16:17], vcc, s[16:17]
	s_andn2_b64 exec, exec, s[16:17]
	s_cbranch_execz .LBB92_14
.LBB92_18:                              ;   Parent Loop BB92_15 Depth=1
                                        ; =>  This Loop Header: Depth=2
                                        ;       Child Loop BB92_20 Depth 3
	v_lshlrev_b64 v[10:11], 3, v[0:1]
	v_mov_b32_e32 v12, s41
	v_add_co_u32_e32 v10, vcc, s40, v10
	v_addc_co_u32_e32 v11, vcc, v12, v11, vcc
	v_lshlrev_b64 v[14:15], 2, v[0:1]
	v_mov_b32_e32 v12, s43
	v_add_co_u32_e32 v14, vcc, s42, v14
	global_load_dwordx2 v[10:11], v[10:11], off
	v_addc_co_u32_e32 v15, vcc, v12, v15, vcc
	global_load_dword v12, v[14:15], off
	v_mov_b32_e32 v14, s51
	s_mov_b64 s[24:25], 0
	s_waitcnt vmcnt(1)
	v_subrev_co_u32_e32 v10, vcc, s50, v10
	v_subb_co_u32_e32 v11, vcc, v11, v14, vcc
	s_waitcnt vmcnt(0)
	v_mul_f32_e32 v27, v26, v12
	v_lshl_add_u32 v12, v10, 3, v10
	v_and_b32_e32 v12, 31, v12
	s_branch .LBB92_20
.LBB92_19:                              ;   in Loop: Header=BB92_20 Depth=3
	s_or_b64 exec, exec, s[34:35]
	s_xor_b64 s[34:35], s[36:37], -1
	s_and_b64 s[34:35], exec, s[34:35]
	s_or_b64 s[24:25], s[34:35], s[24:25]
	s_andn2_b64 exec, exec, s[24:25]
	s_cbranch_execz .LBB92_17
.LBB92_20:                              ;   Parent Loop BB92_15 Depth=1
                                        ;     Parent Loop BB92_18 Depth=2
                                        ; =>    This Inner Loop Header: Depth=3
	v_lshl_add_u32 v28, v12, 3, v18
	ds_read_b64 v[14:15], v28
                                        ; implicit-def: $sgpr36_sgpr37
	s_waitcnt lgkmcnt(0)
	v_cmp_ne_u64_e32 vcc, v[14:15], v[10:11]
	s_and_saveexec_b64 s[34:35], vcc
	s_xor_b64 s[34:35], exec, s[34:35]
	s_cbranch_execz .LBB92_28
; %bb.21:                               ;   in Loop: Header=BB92_20 Depth=3
	v_cmp_ne_u64_e32 vcc, s[38:39], v[14:15]
                                        ; implicit-def: $sgpr36_sgpr37
	s_and_saveexec_b64 s[44:45], vcc
	s_xor_b64 s[44:45], exec, s[44:45]
; %bb.22:                               ;   in Loop: Header=BB92_20 Depth=3
	v_add_u32_e32 v12, 1, v12
	v_and_b32_e32 v12, 31, v12
	s_mov_b64 s[36:37], -1
                                        ; implicit-def: $vgpr28
; %bb.23:                               ;   in Loop: Header=BB92_20 Depth=3
	s_andn2_saveexec_b64 s[44:45], s[44:45]
	s_cbranch_execz .LBB92_27
; %bb.24:                               ;   in Loop: Header=BB92_20 Depth=3
	v_pk_mov_b32 v[14:15], s[38:39], s[38:39] op_sel:[0,1]
	ds_cmpst_rtn_b64 v[14:15], v28, v[14:15], v[10:11]
	s_mov_b64 s[46:47], -1
	s_waitcnt lgkmcnt(0)
	v_cmp_eq_u64_e32 vcc, s[38:39], v[14:15]
	s_and_saveexec_b64 s[48:49], vcc
	s_cbranch_execz .LBB92_26
; %bb.25:                               ;   in Loop: Header=BB92_20 Depth=3
	v_lshl_add_u32 v14, v12, 2, v20
	ds_add_f32 v14, v27
	s_xor_b64 s[46:47], exec, -1
.LBB92_26:                              ;   in Loop: Header=BB92_20 Depth=3
	s_or_b64 exec, exec, s[48:49]
	s_andn2_b64 s[36:37], s[36:37], exec
	s_and_b64 s[46:47], s[46:47], exec
	s_or_b64 s[36:37], s[36:37], s[46:47]
.LBB92_27:                              ;   in Loop: Header=BB92_20 Depth=3
	s_or_b64 exec, exec, s[44:45]
	s_and_b64 s[36:37], s[36:37], exec
.LBB92_28:                              ;   in Loop: Header=BB92_20 Depth=3
	s_andn2_saveexec_b64 s[34:35], s[34:35]
	s_cbranch_execz .LBB92_19
; %bb.29:                               ;   in Loop: Header=BB92_20 Depth=3
	v_lshl_add_u32 v14, v12, 2, v20
	ds_add_f32 v14, v27
	s_andn2_b64 s[36:37], s[36:37], exec
	s_branch .LBB92_19
.LBB92_30:
	s_or_b64 exec, exec, s[2:3]
.LBB92_31:
	s_andn2_b64 vcc, exec, s[0:1]
	s_cbranch_vccnz .LBB92_48
; %bb.32:
	v_mov_b32_e32 v1, s9
	v_add_co_u32_e32 v0, vcc, s8, v4
	v_addc_co_u32_e32 v1, vcc, v1, v5, vcc
	global_load_dwordx4 v[6:9], v[0:1], off
	v_subrev_co_u32_e32 v2, vcc, s27, v22
	v_subb_co_u32_e64 v3, s[0:1], 0, 0, vcc
	s_mov_b32 s4, 0
	s_waitcnt vmcnt(0)
	v_subrev_co_u32_e32 v0, vcc, s27, v8
	v_subbrev_co_u32_e32 v1, vcc, 0, v9, vcc
	v_add_co_u32_e32 v2, vcc, v6, v2
	v_addc_co_u32_e32 v3, vcc, v7, v3, vcc
	v_cmp_lt_i64_e32 vcc, v[2:3], v[0:1]
	s_and_saveexec_b64 s[0:1], vcc
	s_cbranch_execz .LBB92_47
; %bb.33:
	s_mov_b32 s22, s27
	s_mov_b64 s[2:3], 0
	v_mov_b32_e32 v9, s11
	v_mov_b32_e32 v12, s4
	;; [unrolled: 1-line block ×3, first 2 shown]
	s_branch .LBB92_35
.LBB92_34:                              ;   in Loop: Header=BB92_35 Depth=1
	s_or_b64 exec, exec, s[4:5]
	v_add_co_u32_e32 v2, vcc, 16, v2
	v_addc_co_u32_e32 v3, vcc, 0, v3, vcc
	v_cmp_ge_i64_e32 vcc, v[2:3], v[0:1]
	s_or_b64 s[2:3], vcc, s[2:3]
	s_andn2_b64 exec, exec, s[2:3]
	s_cbranch_execz .LBB92_47
.LBB92_35:                              ; =>This Loop Header: Depth=1
                                        ;     Child Loop BB92_37 Depth 2
	v_lshlrev_b64 v[6:7], 3, v[2:3]
	v_add_co_u32_e32 v6, vcc, s10, v6
	v_addc_co_u32_e32 v7, vcc, v9, v7, vcc
	v_lshlrev_b64 v[10:11], 2, v[2:3]
	v_add_co_u32_e32 v10, vcc, s12, v10
	global_load_dwordx2 v[6:7], v[6:7], off
	v_addc_co_u32_e32 v11, vcc, v14, v11, vcc
	global_load_dword v8, v[10:11], off
	s_mov_b64 s[4:5], 0
	s_waitcnt vmcnt(1)
	v_subrev_co_u32_e32 v6, vcc, s22, v6
	v_subb_co_u32_e32 v7, vcc, v7, v12, vcc
	s_waitcnt vmcnt(0)
	v_mul_f32_e32 v15, v19, v8
	v_lshl_add_u32 v8, v6, 3, v6
	v_and_b32_e32 v8, 31, v8
	s_branch .LBB92_37
.LBB92_36:                              ;   in Loop: Header=BB92_37 Depth=2
	s_or_b64 exec, exec, s[6:7]
	s_xor_b64 s[6:7], s[8:9], -1
	s_and_b64 s[6:7], exec, s[6:7]
	s_or_b64 s[4:5], s[6:7], s[4:5]
	s_andn2_b64 exec, exec, s[4:5]
	s_cbranch_execz .LBB92_34
.LBB92_37:                              ;   Parent Loop BB92_35 Depth=1
                                        ; =>  This Inner Loop Header: Depth=2
	v_lshl_add_u32 v21, v8, 3, v18
	ds_read_b64 v[10:11], v21
                                        ; implicit-def: $sgpr8_sgpr9
	s_waitcnt lgkmcnt(0)
	v_cmp_ne_u64_e32 vcc, v[10:11], v[6:7]
	s_and_saveexec_b64 s[6:7], vcc
	s_xor_b64 s[6:7], exec, s[6:7]
	s_cbranch_execz .LBB92_45
; %bb.38:                               ;   in Loop: Header=BB92_37 Depth=2
	v_cmp_ne_u64_e32 vcc, s[38:39], v[10:11]
                                        ; implicit-def: $sgpr8_sgpr9
	s_and_saveexec_b64 s[16:17], vcc
	s_xor_b64 s[16:17], exec, s[16:17]
; %bb.39:                               ;   in Loop: Header=BB92_37 Depth=2
	v_add_u32_e32 v8, 1, v8
	v_and_b32_e32 v8, 31, v8
	s_mov_b64 s[8:9], -1
                                        ; implicit-def: $vgpr21
; %bb.40:                               ;   in Loop: Header=BB92_37 Depth=2
	s_andn2_saveexec_b64 s[16:17], s[16:17]
	s_cbranch_execz .LBB92_44
; %bb.41:                               ;   in Loop: Header=BB92_37 Depth=2
	v_pk_mov_b32 v[10:11], s[38:39], s[38:39] op_sel:[0,1]
	ds_cmpst_rtn_b64 v[10:11], v21, v[10:11], v[6:7]
	s_mov_b64 s[18:19], -1
	s_waitcnt lgkmcnt(0)
	v_cmp_eq_u64_e32 vcc, s[38:39], v[10:11]
	s_and_saveexec_b64 s[20:21], vcc
	s_cbranch_execz .LBB92_43
; %bb.42:                               ;   in Loop: Header=BB92_37 Depth=2
	v_lshl_add_u32 v10, v8, 2, v20
	ds_add_f32 v10, v15
	s_xor_b64 s[18:19], exec, -1
.LBB92_43:                              ;   in Loop: Header=BB92_37 Depth=2
	s_or_b64 exec, exec, s[20:21]
	s_andn2_b64 s[8:9], s[8:9], exec
	s_and_b64 s[18:19], s[18:19], exec
	s_or_b64 s[8:9], s[8:9], s[18:19]
.LBB92_44:                              ;   in Loop: Header=BB92_37 Depth=2
	s_or_b64 exec, exec, s[16:17]
	s_and_b64 s[8:9], s[8:9], exec
.LBB92_45:                              ;   in Loop: Header=BB92_37 Depth=2
	s_andn2_saveexec_b64 s[6:7], s[6:7]
	s_cbranch_execz .LBB92_36
; %bb.46:                               ;   in Loop: Header=BB92_37 Depth=2
	v_lshl_add_u32 v10, v8, 2, v20
	ds_add_f32 v10, v15
	s_andn2_b64 s[8:9], s[8:9], exec
	s_branch .LBB92_36
.LBB92_47:
	s_or_b64 exec, exec, s[0:1]
.LBB92_48:
	v_mov_b32_e32 v1, s15
	v_add_co_u32_e32 v0, vcc, s14, v4
	v_addc_co_u32_e32 v1, vcc, v1, v5, vcc
	s_waitcnt lgkmcnt(0)
	global_load_dwordx2 v[0:1], v[0:1], off
	s_mov_b32 s4, 0
	s_mov_b64 s[0:1], 0
	s_waitcnt vmcnt(0)
	v_subrev_co_u32_e32 v2, vcc, s26, v0
	v_subbrev_co_u32_e32 v3, vcc, 0, v1, vcc
	s_branch .LBB92_50
.LBB92_49:                              ;   in Loop: Header=BB92_50 Depth=1
	s_or_b64 exec, exec, s[2:3]
	v_add_co_u32_e32 v13, vcc, 16, v13
	s_xor_b64 s[2:3], vcc, -1
	s_and_b64 s[2:3], exec, s[2:3]
	v_add_u32_e32 v16, 64, v16
	s_or_b64 s[0:1], s[2:3], s[0:1]
	v_add_u32_e32 v17, 0x80, v17
	s_andn2_b64 exec, exec, s[0:1]
	s_cbranch_execz .LBB92_52
.LBB92_50:                              ; =>This Inner Loop Header: Depth=1
	ds_read_b64 v[0:1], v17
	s_waitcnt lgkmcnt(0)
	v_cmp_gt_i64_e32 vcc, s[38:39], v[0:1]
	s_and_saveexec_b64 s[2:3], vcc
	s_cbranch_execz .LBB92_49
; %bb.51:                               ;   in Loop: Header=BB92_50 Depth=1
	ds_read_b128 v[4:7], v18
	ds_read_b128 v[8:11], v18 offset:16
	ds_read_b128 v[20:23], v18 offset:32
	;; [unrolled: 1-line block ×3, first 2 shown]
	s_waitcnt lgkmcnt(3)
	v_cmp_gt_i64_e32 vcc, v[0:1], v[4:5]
	v_cndmask_b32_e64 v4, 0, 1, vcc
	v_add_co_u32_e32 v4, vcc, v2, v4
	v_addc_co_u32_e32 v5, vcc, 0, v3, vcc
	v_cmp_gt_i64_e32 vcc, v[0:1], v[6:7]
	v_cndmask_b32_e64 v6, 0, 1, vcc
	v_add_co_u32_e32 v4, vcc, v4, v6
	v_addc_co_u32_e32 v5, vcc, 0, v5, vcc
	s_waitcnt lgkmcnt(2)
	v_cmp_gt_i64_e32 vcc, v[0:1], v[8:9]
	v_cndmask_b32_e64 v6, 0, 1, vcc
	v_add_co_u32_e32 v4, vcc, v4, v6
	v_addc_co_u32_e32 v5, vcc, 0, v5, vcc
	v_cmp_gt_i64_e32 vcc, v[0:1], v[10:11]
	v_cndmask_b32_e64 v6, 0, 1, vcc
	v_add_co_u32_e32 v4, vcc, v4, v6
	v_addc_co_u32_e32 v5, vcc, 0, v5, vcc
	;; [unrolled: 9-line block ×3, first 2 shown]
	s_waitcnt lgkmcnt(0)
	v_cmp_gt_i64_e32 vcc, v[0:1], v[24:25]
	v_cndmask_b32_e64 v6, 0, 1, vcc
	v_add_co_u32_e32 v8, vcc, v4, v6
	v_addc_co_u32_e32 v9, vcc, 0, v5, vcc
	ds_read_b128 v[4:7], v18 offset:64
	v_cmp_gt_i64_e32 vcc, v[0:1], v[26:27]
	v_cndmask_b32_e64 v10, 0, 1, vcc
	v_add_co_u32_e32 v12, vcc, v8, v10
	v_addc_co_u32_e32 v14, vcc, 0, v9, vcc
	ds_read_b128 v[8:11], v18 offset:80
	s_waitcnt lgkmcnt(1)
	v_cmp_gt_i64_e32 vcc, v[0:1], v[4:5]
	v_cndmask_b32_e64 v4, 0, 1, vcc
	v_add_co_u32_e32 v4, vcc, v12, v4
	v_addc_co_u32_e32 v5, vcc, 0, v14, vcc
	v_cmp_gt_i64_e32 vcc, v[0:1], v[6:7]
	v_cndmask_b32_e64 v6, 0, 1, vcc
	v_add_co_u32_e32 v4, vcc, v4, v6
	v_addc_co_u32_e32 v5, vcc, 0, v5, vcc
	s_waitcnt lgkmcnt(0)
	v_cmp_gt_i64_e32 vcc, v[0:1], v[8:9]
	v_cndmask_b32_e64 v6, 0, 1, vcc
	v_add_co_u32_e32 v8, vcc, v4, v6
	v_addc_co_u32_e32 v9, vcc, 0, v5, vcc
	ds_read_b128 v[4:7], v18 offset:96
	v_cmp_gt_i64_e32 vcc, v[0:1], v[10:11]
	v_cndmask_b32_e64 v10, 0, 1, vcc
	v_add_co_u32_e32 v12, vcc, v8, v10
	v_addc_co_u32_e32 v14, vcc, 0, v9, vcc
	ds_read_b128 v[8:11], v18 offset:112
	s_waitcnt lgkmcnt(1)
	v_cmp_gt_i64_e32 vcc, v[0:1], v[4:5]
	v_cndmask_b32_e64 v4, 0, 1, vcc
	v_add_co_u32_e32 v4, vcc, v12, v4
	v_addc_co_u32_e32 v5, vcc, 0, v14, vcc
	v_cmp_gt_i64_e32 vcc, v[0:1], v[6:7]
	v_cndmask_b32_e64 v6, 0, 1, vcc
	v_add_co_u32_e32 v4, vcc, v4, v6
	v_addc_co_u32_e32 v5, vcc, 0, v5, vcc
	;; [unrolled: 20-line block ×6, first 2 shown]
	s_waitcnt lgkmcnt(0)
	v_cmp_gt_i64_e32 vcc, v[0:1], v[8:9]
	v_cndmask_b32_e64 v6, 0, 1, vcc
	v_add_co_u32_e32 v4, vcc, v4, v6
	v_addc_co_u32_e32 v5, vcc, 0, v5, vcc
	v_cmp_gt_i64_e32 vcc, v[0:1], v[10:11]
	v_cndmask_b32_e64 v6, 0, 1, vcc
	v_add_co_u32_e32 v4, vcc, v4, v6
	v_addc_co_u32_e32 v5, vcc, 0, v5, vcc
	v_mov_b32_e32 v6, s4
	v_add_co_u32_e32 v0, vcc, s26, v0
	v_addc_co_u32_e32 v1, vcc, v1, v6, vcc
	v_lshlrev_b64 v[6:7], 3, v[4:5]
	v_mov_b32_e32 v8, s29
	v_add_co_u32_e32 v6, vcc, s28, v6
	v_addc_co_u32_e32 v7, vcc, v8, v7, vcc
	global_store_dwordx2 v[6:7], v[0:1], off
	ds_read_b32 v6, v16
	v_lshlrev_b64 v[0:1], 2, v[4:5]
	v_mov_b32_e32 v4, s31
	v_add_co_u32_e32 v0, vcc, s30, v0
	v_addc_co_u32_e32 v1, vcc, v4, v1, vcc
	s_waitcnt lgkmcnt(0)
	global_store_dword v[0:1], v6, off
	s_branch .LBB92_49
.LBB92_52:
	s_endpgm
	.section	.rodata,"a",@progbits
	.p2align	6, 0x0
	.amdhsa_kernel _ZN9rocsparseL23csrgemm_fill_wf_per_rowILj256ELj16ELj32ELj137EllfEEvT4_S1_PKS1_S3_NS_24const_host_device_scalarIT5_EEPKT3_S3_PKS5_S9_S3_SB_S6_S9_S3_SB_S9_PS1_PS5_21rocsparse_index_base_SE_SE_SE_bbb
		.amdhsa_group_segment_fixed_size 6144
		.amdhsa_private_segment_fixed_size 0
		.amdhsa_kernarg_size 164
		.amdhsa_user_sgpr_count 6
		.amdhsa_user_sgpr_private_segment_buffer 1
		.amdhsa_user_sgpr_dispatch_ptr 0
		.amdhsa_user_sgpr_queue_ptr 0
		.amdhsa_user_sgpr_kernarg_segment_ptr 1
		.amdhsa_user_sgpr_dispatch_id 0
		.amdhsa_user_sgpr_flat_scratch_init 0
		.amdhsa_user_sgpr_kernarg_preload_length 0
		.amdhsa_user_sgpr_kernarg_preload_offset 0
		.amdhsa_user_sgpr_private_segment_size 0
		.amdhsa_uses_dynamic_stack 0
		.amdhsa_system_sgpr_private_segment_wavefront_offset 0
		.amdhsa_system_sgpr_workgroup_id_x 1
		.amdhsa_system_sgpr_workgroup_id_y 0
		.amdhsa_system_sgpr_workgroup_id_z 0
		.amdhsa_system_sgpr_workgroup_info 0
		.amdhsa_system_vgpr_workitem_id 0
		.amdhsa_next_free_vgpr 29
		.amdhsa_next_free_sgpr 52
		.amdhsa_accum_offset 32
		.amdhsa_reserve_vcc 1
		.amdhsa_reserve_flat_scratch 0
		.amdhsa_float_round_mode_32 0
		.amdhsa_float_round_mode_16_64 0
		.amdhsa_float_denorm_mode_32 3
		.amdhsa_float_denorm_mode_16_64 3
		.amdhsa_dx10_clamp 1
		.amdhsa_ieee_mode 1
		.amdhsa_fp16_overflow 0
		.amdhsa_tg_split 0
		.amdhsa_exception_fp_ieee_invalid_op 0
		.amdhsa_exception_fp_denorm_src 0
		.amdhsa_exception_fp_ieee_div_zero 0
		.amdhsa_exception_fp_ieee_overflow 0
		.amdhsa_exception_fp_ieee_underflow 0
		.amdhsa_exception_fp_ieee_inexact 0
		.amdhsa_exception_int_div_zero 0
	.end_amdhsa_kernel
	.section	.text._ZN9rocsparseL23csrgemm_fill_wf_per_rowILj256ELj16ELj32ELj137EllfEEvT4_S1_PKS1_S3_NS_24const_host_device_scalarIT5_EEPKT3_S3_PKS5_S9_S3_SB_S6_S9_S3_SB_S9_PS1_PS5_21rocsparse_index_base_SE_SE_SE_bbb,"axG",@progbits,_ZN9rocsparseL23csrgemm_fill_wf_per_rowILj256ELj16ELj32ELj137EllfEEvT4_S1_PKS1_S3_NS_24const_host_device_scalarIT5_EEPKT3_S3_PKS5_S9_S3_SB_S6_S9_S3_SB_S9_PS1_PS5_21rocsparse_index_base_SE_SE_SE_bbb,comdat
.Lfunc_end92:
	.size	_ZN9rocsparseL23csrgemm_fill_wf_per_rowILj256ELj16ELj32ELj137EllfEEvT4_S1_PKS1_S3_NS_24const_host_device_scalarIT5_EEPKT3_S3_PKS5_S9_S3_SB_S6_S9_S3_SB_S9_PS1_PS5_21rocsparse_index_base_SE_SE_SE_bbb, .Lfunc_end92-_ZN9rocsparseL23csrgemm_fill_wf_per_rowILj256ELj16ELj32ELj137EllfEEvT4_S1_PKS1_S3_NS_24const_host_device_scalarIT5_EEPKT3_S3_PKS5_S9_S3_SB_S6_S9_S3_SB_S9_PS1_PS5_21rocsparse_index_base_SE_SE_SE_bbb
                                        ; -- End function
	.section	.AMDGPU.csdata,"",@progbits
; Kernel info:
; codeLenInByte = 2516
; NumSgprs: 56
; NumVgprs: 29
; NumAgprs: 0
; TotalNumVgprs: 29
; ScratchSize: 0
; MemoryBound: 0
; FloatMode: 240
; IeeeMode: 1
; LDSByteSize: 6144 bytes/workgroup (compile time only)
; SGPRBlocks: 6
; VGPRBlocks: 3
; NumSGPRsForWavesPerEU: 56
; NumVGPRsForWavesPerEU: 29
; AccumOffset: 32
; Occupancy: 8
; WaveLimiterHint : 1
; COMPUTE_PGM_RSRC2:SCRATCH_EN: 0
; COMPUTE_PGM_RSRC2:USER_SGPR: 6
; COMPUTE_PGM_RSRC2:TRAP_HANDLER: 0
; COMPUTE_PGM_RSRC2:TGID_X_EN: 1
; COMPUTE_PGM_RSRC2:TGID_Y_EN: 0
; COMPUTE_PGM_RSRC2:TGID_Z_EN: 0
; COMPUTE_PGM_RSRC2:TIDIG_COMP_CNT: 0
; COMPUTE_PGM_RSRC3_GFX90A:ACCUM_OFFSET: 7
; COMPUTE_PGM_RSRC3_GFX90A:TG_SPLIT: 0
	.section	.text._ZN9rocsparseL26csrgemm_fill_block_per_rowILj128ELj16ELj256ELj137ELj32EllfEEvT5_PKS1_S3_NS_24const_host_device_scalarIT6_EEPKT4_S3_PKS5_S9_S3_SB_S6_S9_S3_SB_S9_PS1_PS5_21rocsparse_index_base_SE_SE_SE_bbb,"axG",@progbits,_ZN9rocsparseL26csrgemm_fill_block_per_rowILj128ELj16ELj256ELj137ELj32EllfEEvT5_PKS1_S3_NS_24const_host_device_scalarIT6_EEPKT4_S3_PKS5_S9_S3_SB_S6_S9_S3_SB_S9_PS1_PS5_21rocsparse_index_base_SE_SE_SE_bbb,comdat
	.globl	_ZN9rocsparseL26csrgemm_fill_block_per_rowILj128ELj16ELj256ELj137ELj32EllfEEvT5_PKS1_S3_NS_24const_host_device_scalarIT6_EEPKT4_S3_PKS5_S9_S3_SB_S6_S9_S3_SB_S9_PS1_PS5_21rocsparse_index_base_SE_SE_SE_bbb ; -- Begin function _ZN9rocsparseL26csrgemm_fill_block_per_rowILj128ELj16ELj256ELj137ELj32EllfEEvT5_PKS1_S3_NS_24const_host_device_scalarIT6_EEPKT4_S3_PKS5_S9_S3_SB_S6_S9_S3_SB_S9_PS1_PS5_21rocsparse_index_base_SE_SE_SE_bbb
	.p2align	8
	.type	_ZN9rocsparseL26csrgemm_fill_block_per_rowILj128ELj16ELj256ELj137ELj32EllfEEvT5_PKS1_S3_NS_24const_host_device_scalarIT6_EEPKT4_S3_PKS5_S9_S3_SB_S6_S9_S3_SB_S9_PS1_PS5_21rocsparse_index_base_SE_SE_SE_bbb,@function
_ZN9rocsparseL26csrgemm_fill_block_per_rowILj128ELj16ELj256ELj137ELj32EllfEEvT5_PKS1_S3_NS_24const_host_device_scalarIT6_EEPKT4_S3_PKS5_S9_S3_SB_S6_S9_S3_SB_S9_PS1_PS5_21rocsparse_index_base_SE_SE_SE_bbb: ; @_ZN9rocsparseL26csrgemm_fill_block_per_rowILj128ELj16ELj256ELj137ELj32EllfEEvT5_PKS1_S3_NS_24const_host_device_scalarIT6_EEPKT4_S3_PKS5_S9_S3_SB_S6_S9_S3_SB_S9_PS1_PS5_21rocsparse_index_base_SE_SE_SE_bbb
; %bb.0:
	s_load_dword s7, s[4:5], 0x98
	s_load_dwordx2 s[2:3], s[4:5], 0x18
	s_load_dwordx2 s[0:1], s[4:5], 0x50
	s_waitcnt lgkmcnt(0)
	s_bitcmp1_b32 s7, 0
	s_cselect_b64 s[8:9], -1, 0
	s_bitcmp1_b32 s7, 16
	s_cselect_b64 s[10:11], -1, 0
	s_xor_b64 s[12:13], s[8:9], -1
	s_or_b64 s[12:13], s[12:13], s[10:11]
	s_and_b64 vcc, exec, s[12:13]
	s_cbranch_vccnz .LBB93_2
; %bb.1:
	s_load_dword s2, s[2:3], 0x0
	s_waitcnt lgkmcnt(0)
	v_mov_b32_e32 v15, s2
	s_branch .LBB93_3
.LBB93_2:
	v_mov_b32_e32 v1, s2
	v_cndmask_b32_e64 v15, 0, v1, s[8:9]
.LBB93_3:
	s_load_dwordx4 s[28:31], s[4:5], 0x88
	s_bitcmp1_b32 s7, 8
	s_cselect_b64 s[2:3], -1, 0
	s_xor_b64 s[12:13], s[2:3], -1
	s_or_b64 s[10:11], s[12:13], s[10:11]
	s_and_b64 vcc, exec, s[10:11]
	s_cbranch_vccnz .LBB93_5
; %bb.4:
	s_load_dword s0, s[0:1], 0x0
	s_waitcnt lgkmcnt(0)
	v_mov_b32_e32 v11, s0
	s_branch .LBB93_6
.LBB93_5:
	v_mov_b32_e32 v1, s0
	v_cndmask_b32_e64 v11, 0, v1, s[2:3]
.LBB93_6:
	s_load_dwordx4 s[36:39], s[4:5], 0x78
	s_load_dwordx8 s[12:19], s[4:5], 0x58
	s_load_dwordx4 s[44:47], s[4:5], 0x40
	s_load_dwordx4 s[40:43], s[4:5], 0x0
	s_load_dwordx2 s[10:11], s[4:5], 0x10
	s_load_dwordx8 s[20:27], s[4:5], 0x20
	s_movk_i32 s0, 0x100
	v_cmp_gt_u32_e64 s[0:1], s0, v0
	v_lshl_add_u32 v14, v0, 2, 0
	v_lshl_add_u32 v1, v0, 3, 0
	s_and_saveexec_b64 s[4:5], s[0:1]
	s_cbranch_execz .LBB93_9
; %bb.7:
	v_add_u32_e32 v4, 0x800, v14
	v_or_b32_e32 v5, 0xffffff80, v0
	v_lshl_add_u32 v6, v0, 3, 0
	s_mov_b64 s[34:35], 0
	s_waitcnt lgkmcnt(0)
	v_pk_mov_b32 v[2:3], s[40:41], s[40:41] op_sel:[0,1]
	v_mov_b32_e32 v7, 0
.LBB93_8:                               ; =>This Inner Loop Header: Depth=1
	v_add_co_u32_e32 v5, vcc, 0x80, v5
	s_xor_b64 s[48:49], vcc, -1
	s_and_b64 s[48:49], exec, s[48:49]
	ds_write_b64 v6, v[2:3]
	ds_write_b32 v4, v7
	v_add_u32_e32 v4, 0x200, v4
	s_or_b64 s[34:35], s[48:49], s[34:35]
	v_add_u32_e32 v6, 0x400, v6
	s_andn2_b64 exec, exec, s[34:35]
	s_cbranch_execnz .LBB93_8
.LBB93_9:
	s_or_b64 exec, exec, s[4:5]
	s_waitcnt lgkmcnt(0)
	s_barrier
	s_load_dwordx2 s[4:5], s[42:43], 0x0
	s_mov_b32 s7, 0
	s_waitcnt lgkmcnt(0)
	s_lshl_b64 s[4:5], s[4:5], 3
	s_add_u32 s10, s10, s4
	s_addc_u32 s11, s11, s5
	s_lshl_b64 s[4:5], s[6:7], 3
	s_add_u32 s4, s10, s4
	s_addc_u32 s5, s11, s5
	s_load_dwordx2 s[10:11], s[4:5], 0x0
	s_and_b64 vcc, exec, s[8:9]
	s_cbranch_vccz .LBB93_29
; %bb.10:
	s_waitcnt lgkmcnt(0)
	s_lshl_b64 s[4:5], s[10:11], 3
	s_add_u32 s4, s20, s4
	s_addc_u32 s5, s21, s5
	s_load_dwordx4 s[48:51], s[4:5], 0x0
	v_lshrrev_b32_e32 v2, 4, v0
	v_subrev_co_u32_e32 v2, vcc, s28, v2
	v_subb_co_u32_e64 v3, s[8:9], 0, 0, vcc
	s_waitcnt lgkmcnt(0)
	s_sub_u32 s4, s50, s28
	v_mov_b32_e32 v4, s49
	v_add_co_u32_e32 v2, vcc, s48, v2
	s_subb_u32 s5, s51, 0
	v_addc_co_u32_e32 v3, vcc, v4, v3, vcc
	v_cmp_gt_i64_e32 vcc, s[4:5], v[2:3]
	s_and_saveexec_b64 s[8:9], vcc
	s_cbranch_execz .LBB93_28
; %bb.11:
	v_and_b32_e32 v4, 15, v0
	v_subrev_co_u32_e32 v16, vcc, s29, v4
	s_mov_b32 s6, 0
	v_subb_co_u32_e64 v17, s[20:21], 0, 0, vcc
	s_mov_b32 s33, s28
	s_mov_b32 s56, s29
	s_mov_b64 s[20:21], 0
	v_mov_b32_e32 v18, s23
	v_mov_b32_e32 v19, s7
	;; [unrolled: 1-line block ×4, first 2 shown]
	s_movk_i32 s23, 0x89
	s_branch .LBB93_13
.LBB93_12:                              ;   in Loop: Header=BB93_13 Depth=1
	s_or_b64 exec, exec, s[6:7]
	v_add_co_u32_e32 v2, vcc, 8, v2
	v_addc_co_u32_e32 v3, vcc, 0, v3, vcc
	v_cmp_le_i64_e32 vcc, s[4:5], v[2:3]
	s_or_b64 s[20:21], vcc, s[20:21]
	s_andn2_b64 exec, exec, s[20:21]
	s_cbranch_execz .LBB93_28
.LBB93_13:                              ; =>This Loop Header: Depth=1
                                        ;     Child Loop BB93_16 Depth 2
                                        ;       Child Loop BB93_18 Depth 3
	v_lshlrev_b64 v[4:5], 3, v[2:3]
	v_add_co_u32_e32 v4, vcc, s22, v4
	v_addc_co_u32_e32 v5, vcc, v18, v5, vcc
	global_load_dwordx2 v[4:5], v[4:5], off
	s_waitcnt vmcnt(0)
	v_subrev_co_u32_e32 v4, vcc, s33, v4
	v_subb_co_u32_e32 v5, vcc, v5, v19, vcc
	v_lshlrev_b64 v[4:5], 3, v[4:5]
	v_add_co_u32_e32 v4, vcc, s26, v4
	v_addc_co_u32_e32 v5, vcc, v20, v5, vcc
	global_load_dwordx4 v[6:9], v[4:5], off
	s_waitcnt vmcnt(0)
	v_subrev_co_u32_e32 v4, vcc, s56, v8
	v_subb_co_u32_e32 v5, vcc, v9, v21, vcc
	v_add_co_u32_e32 v6, vcc, v6, v16
	v_addc_co_u32_e32 v7, vcc, v7, v17, vcc
	v_cmp_lt_i64_e32 vcc, v[6:7], v[4:5]
	s_and_saveexec_b64 s[6:7], vcc
	s_cbranch_execz .LBB93_12
; %bb.14:                               ;   in Loop: Header=BB93_13 Depth=1
	v_lshlrev_b64 v[8:9], 2, v[2:3]
	v_mov_b32_e32 v10, s25
	v_add_co_u32_e32 v8, vcc, s24, v8
	v_addc_co_u32_e32 v9, vcc, v10, v9, vcc
	global_load_dword v8, v[8:9], off
	s_mov_b64 s[28:29], 0
	s_waitcnt vmcnt(0)
	v_mul_f32_e32 v22, v15, v8
	s_branch .LBB93_16
.LBB93_15:                              ;   in Loop: Header=BB93_16 Depth=2
	s_or_b64 exec, exec, s[34:35]
	v_add_co_u32_e32 v6, vcc, 16, v6
	v_addc_co_u32_e32 v7, vcc, 0, v7, vcc
	v_cmp_ge_i64_e32 vcc, v[6:7], v[4:5]
	s_or_b64 s[28:29], vcc, s[28:29]
	s_andn2_b64 exec, exec, s[28:29]
	s_cbranch_execz .LBB93_12
.LBB93_16:                              ;   Parent Loop BB93_13 Depth=1
                                        ; =>  This Loop Header: Depth=2
                                        ;       Child Loop BB93_18 Depth 3
	v_lshlrev_b64 v[8:9], 3, v[6:7]
	v_mov_b32_e32 v10, s45
	v_add_co_u32_e32 v8, vcc, s44, v8
	v_addc_co_u32_e32 v9, vcc, v10, v9, vcc
	v_lshlrev_b64 v[12:13], 2, v[6:7]
	v_mov_b32_e32 v10, s47
	v_add_co_u32_e32 v12, vcc, s46, v12
	global_load_dwordx2 v[8:9], v[8:9], off
	v_addc_co_u32_e32 v13, vcc, v10, v13, vcc
	global_load_dword v10, v[12:13], off
	s_mov_b64 s[34:35], 0
	s_waitcnt vmcnt(1)
	v_subrev_co_u32_e32 v8, vcc, s56, v8
	v_subb_co_u32_e32 v9, vcc, v9, v21, vcc
	s_waitcnt vmcnt(0)
	v_mul_f32_e32 v23, v22, v10
	v_mul_lo_u32 v10, v8, s23
	v_and_b32_e32 v10, 0xff, v10
	s_branch .LBB93_18
.LBB93_17:                              ;   in Loop: Header=BB93_18 Depth=3
	s_or_b64 exec, exec, s[42:43]
	s_xor_b64 s[42:43], s[48:49], -1
	s_and_b64 s[42:43], exec, s[42:43]
	s_or_b64 s[34:35], s[42:43], s[34:35]
	s_andn2_b64 exec, exec, s[34:35]
	s_cbranch_execz .LBB93_15
.LBB93_18:                              ;   Parent Loop BB93_13 Depth=1
                                        ;     Parent Loop BB93_16 Depth=2
                                        ; =>    This Inner Loop Header: Depth=3
	v_lshl_add_u32 v24, v10, 3, 0
	ds_read_b64 v[12:13], v24
                                        ; implicit-def: $sgpr48_sgpr49
	s_waitcnt lgkmcnt(0)
	v_cmp_ne_u64_e32 vcc, v[12:13], v[8:9]
	s_and_saveexec_b64 s[42:43], vcc
	s_xor_b64 s[42:43], exec, s[42:43]
	s_cbranch_execz .LBB93_26
; %bb.19:                               ;   in Loop: Header=BB93_18 Depth=3
	v_cmp_ne_u64_e32 vcc, s[40:41], v[12:13]
                                        ; implicit-def: $sgpr48_sgpr49
	s_and_saveexec_b64 s[50:51], vcc
	s_xor_b64 s[50:51], exec, s[50:51]
; %bb.20:                               ;   in Loop: Header=BB93_18 Depth=3
	v_add_u32_e32 v10, 1, v10
	v_and_b32_e32 v10, 0xff, v10
	s_mov_b64 s[48:49], -1
                                        ; implicit-def: $vgpr24
; %bb.21:                               ;   in Loop: Header=BB93_18 Depth=3
	s_andn2_saveexec_b64 s[50:51], s[50:51]
	s_cbranch_execz .LBB93_25
; %bb.22:                               ;   in Loop: Header=BB93_18 Depth=3
	v_pk_mov_b32 v[12:13], s[40:41], s[40:41] op_sel:[0,1]
	ds_cmpst_rtn_b64 v[12:13], v24, v[12:13], v[8:9]
	s_mov_b64 s[52:53], -1
	s_waitcnt lgkmcnt(0)
	v_cmp_eq_u64_e32 vcc, s[40:41], v[12:13]
	s_and_saveexec_b64 s[54:55], vcc
	s_cbranch_execz .LBB93_24
; %bb.23:                               ;   in Loop: Header=BB93_18 Depth=3
	v_lshlrev_b32_e32 v12, 2, v10
	v_sub_u32_e32 v12, v24, v12
	ds_add_f32 v12, v23 offset:2048
	s_xor_b64 s[52:53], exec, -1
.LBB93_24:                              ;   in Loop: Header=BB93_18 Depth=3
	s_or_b64 exec, exec, s[54:55]
	s_andn2_b64 s[48:49], s[48:49], exec
	s_and_b64 s[52:53], s[52:53], exec
	s_or_b64 s[48:49], s[48:49], s[52:53]
.LBB93_25:                              ;   in Loop: Header=BB93_18 Depth=3
	s_or_b64 exec, exec, s[50:51]
	s_and_b64 s[48:49], s[48:49], exec
                                        ; implicit-def: $vgpr24
.LBB93_26:                              ;   in Loop: Header=BB93_18 Depth=3
	s_andn2_saveexec_b64 s[42:43], s[42:43]
	s_cbranch_execz .LBB93_17
; %bb.27:                               ;   in Loop: Header=BB93_18 Depth=3
	v_lshlrev_b32_e32 v12, 2, v10
	v_sub_u32_e32 v12, v24, v12
	ds_add_f32 v12, v23 offset:2048
	s_andn2_b64 s[48:49], s[48:49], exec
	s_branch .LBB93_17
.LBB93_28:
	s_or_b64 exec, exec, s[8:9]
.LBB93_29:
	s_andn2_b64 vcc, exec, s[2:3]
	s_cbranch_vccnz .LBB93_46
; %bb.30:
	s_waitcnt lgkmcnt(0)
	s_lshl_b64 s[2:3], s[10:11], 3
	s_add_u32 s2, s12, s2
	s_addc_u32 s3, s13, s3
	s_load_dwordx4 s[4:7], s[2:3], 0x0
	v_subrev_co_u32_e32 v2, vcc, s31, v0
	s_mov_b32 s8, 0
	s_waitcnt lgkmcnt(0)
	s_sub_u32 s2, s6, s31
	s_subb_u32 s3, s7, 0
	v_subb_co_u32_e64 v3, s[6:7], 0, 0, vcc
	v_mov_b32_e32 v4, s5
	v_add_co_u32_e32 v2, vcc, s4, v2
	v_addc_co_u32_e32 v3, vcc, v4, v3, vcc
	v_cmp_gt_i64_e32 vcc, s[2:3], v[2:3]
	s_and_saveexec_b64 s[4:5], vcc
	s_cbranch_execz .LBB93_45
; %bb.31:
	s_mov_b32 s28, s31
	s_mov_b64 s[6:7], 0
	v_mov_b32_e32 v7, s15
	v_mov_b32_e32 v10, s8
	;; [unrolled: 1-line block ×3, first 2 shown]
	s_movk_i32 s15, 0x89
	s_branch .LBB93_33
.LBB93_32:                              ;   in Loop: Header=BB93_33 Depth=1
	s_or_b64 exec, exec, s[8:9]
	v_add_co_u32_e32 v2, vcc, 0x80, v2
	v_addc_co_u32_e32 v3, vcc, 0, v3, vcc
	v_cmp_le_i64_e32 vcc, s[2:3], v[2:3]
	s_or_b64 s[6:7], vcc, s[6:7]
	s_andn2_b64 exec, exec, s[6:7]
	s_cbranch_execz .LBB93_45
.LBB93_33:                              ; =>This Loop Header: Depth=1
                                        ;     Child Loop BB93_35 Depth 2
	v_lshlrev_b64 v[4:5], 3, v[2:3]
	v_add_co_u32_e32 v4, vcc, s14, v4
	v_addc_co_u32_e32 v5, vcc, v7, v5, vcc
	v_lshlrev_b64 v[8:9], 2, v[2:3]
	v_add_co_u32_e32 v8, vcc, s16, v8
	global_load_dwordx2 v[4:5], v[4:5], off
	v_addc_co_u32_e32 v9, vcc, v12, v9, vcc
	global_load_dword v6, v[8:9], off
	s_mov_b64 s[8:9], 0
	s_waitcnt vmcnt(1)
	v_subrev_co_u32_e32 v4, vcc, s28, v4
	v_subb_co_u32_e32 v5, vcc, v5, v10, vcc
	s_waitcnt vmcnt(0)
	v_mul_f32_e32 v13, v11, v6
	v_mul_lo_u32 v6, v4, s15
	v_and_b32_e32 v6, 0xff, v6
	s_branch .LBB93_35
.LBB93_34:                              ;   in Loop: Header=BB93_35 Depth=2
	s_or_b64 exec, exec, s[12:13]
	s_xor_b64 s[12:13], s[20:21], -1
	s_and_b64 s[12:13], exec, s[12:13]
	s_or_b64 s[8:9], s[12:13], s[8:9]
	s_andn2_b64 exec, exec, s[8:9]
	s_cbranch_execz .LBB93_32
.LBB93_35:                              ;   Parent Loop BB93_33 Depth=1
                                        ; =>  This Inner Loop Header: Depth=2
	v_lshl_add_u32 v15, v6, 3, 0
	ds_read_b64 v[8:9], v15
                                        ; implicit-def: $sgpr20_sgpr21
	s_waitcnt lgkmcnt(0)
	v_cmp_ne_u64_e32 vcc, v[8:9], v[4:5]
	s_and_saveexec_b64 s[12:13], vcc
	s_xor_b64 s[12:13], exec, s[12:13]
	s_cbranch_execz .LBB93_43
; %bb.36:                               ;   in Loop: Header=BB93_35 Depth=2
	v_cmp_ne_u64_e32 vcc, s[40:41], v[8:9]
                                        ; implicit-def: $sgpr20_sgpr21
	s_and_saveexec_b64 s[22:23], vcc
	s_xor_b64 s[22:23], exec, s[22:23]
; %bb.37:                               ;   in Loop: Header=BB93_35 Depth=2
	v_add_u32_e32 v6, 1, v6
	v_and_b32_e32 v6, 0xff, v6
	s_mov_b64 s[20:21], -1
                                        ; implicit-def: $vgpr15
; %bb.38:                               ;   in Loop: Header=BB93_35 Depth=2
	s_andn2_saveexec_b64 s[22:23], s[22:23]
	s_cbranch_execz .LBB93_42
; %bb.39:                               ;   in Loop: Header=BB93_35 Depth=2
	v_pk_mov_b32 v[8:9], s[40:41], s[40:41] op_sel:[0,1]
	ds_cmpst_rtn_b64 v[8:9], v15, v[8:9], v[4:5]
	s_mov_b64 s[24:25], -1
	s_waitcnt lgkmcnt(0)
	v_cmp_eq_u64_e32 vcc, s[40:41], v[8:9]
	s_and_saveexec_b64 s[26:27], vcc
	s_cbranch_execz .LBB93_41
; %bb.40:                               ;   in Loop: Header=BB93_35 Depth=2
	v_lshlrev_b32_e32 v8, 2, v6
	v_sub_u32_e32 v8, v15, v8
	ds_add_f32 v8, v13 offset:2048
	s_xor_b64 s[24:25], exec, -1
.LBB93_41:                              ;   in Loop: Header=BB93_35 Depth=2
	s_or_b64 exec, exec, s[26:27]
	s_andn2_b64 s[20:21], s[20:21], exec
	s_and_b64 s[24:25], s[24:25], exec
	s_or_b64 s[20:21], s[20:21], s[24:25]
.LBB93_42:                              ;   in Loop: Header=BB93_35 Depth=2
	s_or_b64 exec, exec, s[22:23]
	s_and_b64 s[20:21], s[20:21], exec
                                        ; implicit-def: $vgpr15
.LBB93_43:                              ;   in Loop: Header=BB93_35 Depth=2
	s_andn2_saveexec_b64 s[12:13], s[12:13]
	s_cbranch_execz .LBB93_34
; %bb.44:                               ;   in Loop: Header=BB93_35 Depth=2
	v_lshlrev_b32_e32 v8, 2, v6
	v_sub_u32_e32 v8, v15, v8
	ds_add_f32 v8, v13 offset:2048
	s_andn2_b64 s[20:21], s[20:21], exec
	s_branch .LBB93_34
.LBB93_45:
	s_or_b64 exec, exec, s[4:5]
.LBB93_46:
	s_waitcnt lgkmcnt(0)
	s_barrier
	s_and_saveexec_b64 s[8:9], s[0:1]
	s_cbranch_execz .LBB93_59
; %bb.47:
	v_mbcnt_lo_u32_b32 v2, -1, 0
	v_mbcnt_hi_u32_b32 v2, -1, v2
	v_sub_u32_e32 v2, 63, v2
	v_lshrrev_b64 v[4:5], v2, -1
	v_lshrrev_b32_e32 v2, 2, v0
	v_and_b32_e32 v2, 24, v2
	s_movk_i32 s0, 0x7f
	s_movk_i32 s6, 0x5f
	v_mov_b32_e32 v3, 0
	v_add_u32_e32 v12, 0, v2
	v_cmp_eq_u32_e64 s[0:1], s0, v0
	v_cmp_lt_u32_e64 s[2:3], 31, v0
	v_cmp_lt_u32_e64 s[4:5], 63, v0
	v_cmp_lt_u32_e64 s[6:7], s6, v0
	v_add_u32_e32 v13, 0x800, v14
	v_or_b32_e32 v14, 0xffffff80, v0
	s_mov_b64 s[12:13], 0
	v_pk_mov_b32 v[6:7], 0, 0
	s_branch .LBB93_49
.LBB93_48:                              ;   in Loop: Header=BB93_49 Depth=1
	s_or_b64 exec, exec, s[14:15]
	s_waitcnt lgkmcnt(0)
	s_barrier
	ds_read_b64 v[8:9], v3 offset:3096
	v_add_u32_e32 v13, 0x200, v13
	v_add_u32_e32 v1, 0x400, v1
	s_waitcnt lgkmcnt(0)
	v_add_co_u32_e32 v6, vcc, v8, v6
	v_addc_co_u32_e32 v7, vcc, v9, v7, vcc
	v_add_co_u32_e32 v14, vcc, 0x80, v14
	s_xor_b64 s[14:15], vcc, -1
	s_and_b64 s[14:15], exec, s[14:15]
	s_or_b64 s[12:13], s[14:15], s[12:13]
	s_andn2_b64 exec, exec, s[12:13]
	s_cbranch_execz .LBB93_59
.LBB93_49:                              ; =>This Inner Loop Header: Depth=1
	ds_read_b64 v[8:9], v1
	ds_read_b32 v15, v13
	s_waitcnt lgkmcnt(0)
	s_barrier
	v_cmp_gt_i64_e32 vcc, s[40:41], v[8:9]
	v_and_b32_e32 v11, vcc_lo, v4
	s_bcnt1_i32_b64 s14, vcc
	v_and_b32_e32 v10, vcc_hi, v5
	v_bcnt_u32_b32 v11, v11, 0
	v_mov_b32_e32 v2, s14
	v_bcnt_u32_b32 v10, v10, v11
	ds_write_b64 v12, v[2:3] offset:3072
	s_waitcnt lgkmcnt(0)
	s_barrier
	s_and_saveexec_b64 s[14:15], s[2:3]
	s_cbranch_execnz .LBB93_54
; %bb.50:                               ;   in Loop: Header=BB93_49 Depth=1
	s_or_b64 exec, exec, s[14:15]
	s_and_saveexec_b64 s[14:15], s[4:5]
	s_cbranch_execnz .LBB93_55
.LBB93_51:                              ;   in Loop: Header=BB93_49 Depth=1
	s_or_b64 exec, exec, s[14:15]
	s_and_saveexec_b64 s[14:15], s[6:7]
	s_cbranch_execnz .LBB93_56
.LBB93_52:                              ;   in Loop: Header=BB93_49 Depth=1
	s_or_b64 exec, exec, s[14:15]
	v_ashrrev_i32_e32 v11, 31, v10
	s_and_saveexec_b64 s[14:15], vcc
	s_cbranch_execnz .LBB93_57
.LBB93_53:                              ;   in Loop: Header=BB93_49 Depth=1
	s_or_b64 exec, exec, s[14:15]
	s_and_saveexec_b64 s[14:15], s[0:1]
	s_cbranch_execz .LBB93_48
	s_branch .LBB93_58
.LBB93_54:                              ;   in Loop: Header=BB93_49 Depth=1
	ds_read_b32 v2, v3 offset:3072
	s_waitcnt lgkmcnt(0)
	v_add_u32_e32 v10, v2, v10
	s_or_b64 exec, exec, s[14:15]
	s_and_saveexec_b64 s[14:15], s[4:5]
	s_cbranch_execz .LBB93_51
.LBB93_55:                              ;   in Loop: Header=BB93_49 Depth=1
	ds_read_b32 v2, v3 offset:3080
	s_waitcnt lgkmcnt(0)
	v_add_u32_e32 v10, v10, v2
	s_or_b64 exec, exec, s[14:15]
	s_and_saveexec_b64 s[14:15], s[6:7]
	s_cbranch_execz .LBB93_52
.LBB93_56:                              ;   in Loop: Header=BB93_49 Depth=1
	ds_read_b32 v2, v3 offset:3088
	s_waitcnt lgkmcnt(0)
	v_add_u32_e32 v10, v10, v2
	s_or_b64 exec, exec, s[14:15]
	v_ashrrev_i32_e32 v11, 31, v10
	s_and_saveexec_b64 s[14:15], vcc
	s_cbranch_execz .LBB93_53
.LBB93_57:                              ;   in Loop: Header=BB93_49 Depth=1
	v_add3_u32 v2, v6, -1, v10
	v_lshl_add_u32 v16, v2, 3, 0
	v_lshl_add_u32 v2, v2, 2, 0
	ds_write_b64 v16, v[8:9]
	ds_write_b32 v2, v15 offset:2048
	s_or_b64 exec, exec, s[14:15]
	s_and_saveexec_b64 s[14:15], s[0:1]
	s_cbranch_execz .LBB93_48
.LBB93_58:                              ;   in Loop: Header=BB93_49 Depth=1
	ds_write_b64 v3, v[10:11] offset:3096
	s_branch .LBB93_48
.LBB93_59:
	s_or_b64 exec, exec, s[8:9]
	s_lshl_b64 s[0:1], s[10:11], 3
	s_add_u32 s0, s18, s0
	s_addc_u32 s1, s19, s1
	s_load_dwordx4 s[0:3], s[0:1], 0x0
	v_mov_b32_e32 v1, 0
	s_waitcnt lgkmcnt(0)
	s_sub_u32 s4, s2, s0
	s_subb_u32 s5, s3, s1
	v_cmp_gt_i64_e32 vcc, s[4:5], v[0:1]
	s_and_saveexec_b64 s[6:7], vcc
	s_cbranch_execz .LBB93_69
; %bb.60:
	s_sub_u32 s6, s0, s30
	s_subb_u32 s7, s1, 0
	s_and_b32 s8, s4, 7
	s_sub_u32 s0, s0, s2
	s_mov_b32 s16, 0
	s_subb_u32 s1, s1, s3
	s_mov_b32 s9, s16
	s_and_b32 s2, s4, -8
	v_cmp_lt_u64_e64 s[0:1], s[0:1], -7
	s_cmp_lg_u64 s[8:9], 0
	v_cndmask_b32_e64 v2, 0, 1, s[0:1]
	s_mov_b32 s3, s5
	s_mov_b64 s[10:11], 0
	s_cselect_b64 s[12:13], -1, 0
	v_cmp_ne_u32_e64 s[0:1], 1, v2
	s_branch .LBB93_62
.LBB93_61:                              ;   in Loop: Header=BB93_62 Depth=1
	v_mov_b32_e32 v7, s16
	s_waitcnt lgkmcnt(1)
	v_add_co_u32_e32 v2, vcc, s30, v2
	v_addc_co_u32_e32 v3, vcc, v3, v7, vcc
	v_lshlrev_b64 v[8:9], 3, v[4:5]
	v_mov_b32_e32 v7, s37
	v_add_co_u32_e32 v8, vcc, s36, v8
	v_addc_co_u32_e32 v9, vcc, v7, v9, vcc
	global_store_dwordx2 v[8:9], v[2:3], off
	v_lshlrev_b64 v[2:3], 2, v[4:5]
	v_mov_b32_e32 v4, s39
	v_add_co_u32_e32 v2, vcc, s38, v2
	v_addc_co_u32_e32 v3, vcc, v4, v3, vcc
	v_add_co_u32_e32 v0, vcc, 0x80, v0
	v_addc_co_u32_e32 v1, vcc, 0, v1, vcc
	v_cmp_le_i64_e32 vcc, s[4:5], v[0:1]
	s_or_b64 s[10:11], vcc, s[10:11]
	s_waitcnt lgkmcnt(0)
	global_store_dword v[2:3], v6, off
	s_andn2_b64 exec, exec, s[10:11]
	s_cbranch_execz .LBB93_69
.LBB93_62:                              ; =>This Loop Header: Depth=1
                                        ;     Child Loop BB93_64 Depth 2
                                        ;     Child Loop BB93_68 Depth 2
	v_lshl_add_u32 v2, v0, 3, 0
	v_lshlrev_b32_e32 v3, 2, v0
	v_sub_u32_e32 v4, v2, v3
	ds_read_b64 v[2:3], v2
	ds_read_b32 v6, v4 offset:2048
	s_and_b64 vcc, exec, s[0:1]
	v_pk_mov_b32 v[4:5], s[6:7], s[6:7] op_sel:[0,1]
	s_mov_b64 s[14:15], 0
	s_cbranch_vccnz .LBB93_66
; %bb.63:                               ;   in Loop: Header=BB93_62 Depth=1
	s_mov_b32 s17, 0
	v_pk_mov_b32 v[4:5], s[6:7], s[6:7] op_sel:[0,1]
.LBB93_64:                              ;   Parent Loop BB93_62 Depth=1
                                        ; =>  This Inner Loop Header: Depth=2
	v_mov_b32_e32 v7, s17
	ds_read2_b64 v[8:11], v7 offset1:1
	ds_read2_b64 v[12:15], v7 offset0:2 offset1:3
	ds_read2_b64 v[16:19], v7 offset0:4 offset1:5
	;; [unrolled: 1-line block ×3, first 2 shown]
	s_add_u32 s14, s14, 8
	s_waitcnt lgkmcnt(3)
	v_cmp_gt_i64_e32 vcc, v[2:3], v[8:9]
	v_cndmask_b32_e64 v7, 0, 1, vcc
	v_cmp_gt_i64_e32 vcc, v[2:3], v[10:11]
	v_cndmask_b32_e64 v8, 0, 1, vcc
	s_waitcnt lgkmcnt(2)
	v_cmp_gt_i64_e32 vcc, v[2:3], v[12:13]
	v_cndmask_b32_e64 v9, 0, 1, vcc
	v_cmp_gt_i64_e32 vcc, v[2:3], v[14:15]
	v_cndmask_b32_e64 v10, 0, 1, vcc
	s_waitcnt lgkmcnt(1)
	v_cmp_gt_i64_e32 vcc, v[2:3], v[16:17]
	v_cndmask_b32_e64 v11, 0, 1, vcc
	v_cmp_gt_i64_e32 vcc, v[2:3], v[18:19]
	v_cndmask_b32_e64 v12, 0, 1, vcc
	s_waitcnt lgkmcnt(0)
	v_cmp_gt_i64_e32 vcc, v[2:3], v[20:21]
	v_cndmask_b32_e64 v13, 0, 1, vcc
	v_cmp_gt_i64_e32 vcc, v[2:3], v[22:23]
	v_cndmask_b32_e64 v14, 0, 1, vcc
	v_add_co_u32_e32 v4, vcc, v4, v7
	v_addc_co_u32_e32 v5, vcc, 0, v5, vcc
	v_add_co_u32_e32 v4, vcc, v4, v8
	v_addc_co_u32_e32 v5, vcc, 0, v5, vcc
	;; [unrolled: 2-line block ×7, first 2 shown]
	s_addc_u32 s15, s15, 0
	s_add_i32 s17, s17, 64
	v_add_co_u32_e32 v4, vcc, v4, v14
	s_cmp_eq_u64 s[2:3], s[14:15]
	v_addc_co_u32_e32 v5, vcc, 0, v5, vcc
	s_cbranch_scc0 .LBB93_64
; %bb.65:                               ;   in Loop: Header=BB93_62 Depth=1
	s_mov_b64 s[14:15], s[2:3]
.LBB93_66:                              ;   in Loop: Header=BB93_62 Depth=1
	s_andn2_b64 vcc, exec, s[12:13]
	s_cbranch_vccnz .LBB93_61
; %bb.67:                               ;   in Loop: Header=BB93_62 Depth=1
	s_lshl_b32 s14, s14, 3
	s_add_i32 s17, s14, 0
	s_mov_b64 s[14:15], s[8:9]
.LBB93_68:                              ;   Parent Loop BB93_62 Depth=1
                                        ; =>  This Inner Loop Header: Depth=2
	v_mov_b32_e32 v7, s17
	ds_read_b64 v[8:9], v7
	s_add_i32 s17, s17, 8
	s_add_u32 s14, s14, -1
	s_addc_u32 s15, s15, -1
	s_cmp_lg_u64 s[14:15], 0
	s_waitcnt lgkmcnt(0)
	v_cmp_gt_i64_e32 vcc, v[2:3], v[8:9]
	v_cndmask_b32_e64 v7, 0, 1, vcc
	v_add_co_u32_e32 v4, vcc, v4, v7
	v_addc_co_u32_e32 v5, vcc, 0, v5, vcc
	s_cbranch_scc1 .LBB93_68
	s_branch .LBB93_61
.LBB93_69:
	s_endpgm
	.section	.rodata,"a",@progbits
	.p2align	6, 0x0
	.amdhsa_kernel _ZN9rocsparseL26csrgemm_fill_block_per_rowILj128ELj16ELj256ELj137ELj32EllfEEvT5_PKS1_S3_NS_24const_host_device_scalarIT6_EEPKT4_S3_PKS5_S9_S3_SB_S6_S9_S3_SB_S9_PS1_PS5_21rocsparse_index_base_SE_SE_SE_bbb
		.amdhsa_group_segment_fixed_size 0
		.amdhsa_private_segment_fixed_size 0
		.amdhsa_kernarg_size 156
		.amdhsa_user_sgpr_count 6
		.amdhsa_user_sgpr_private_segment_buffer 1
		.amdhsa_user_sgpr_dispatch_ptr 0
		.amdhsa_user_sgpr_queue_ptr 0
		.amdhsa_user_sgpr_kernarg_segment_ptr 1
		.amdhsa_user_sgpr_dispatch_id 0
		.amdhsa_user_sgpr_flat_scratch_init 0
		.amdhsa_user_sgpr_kernarg_preload_length 0
		.amdhsa_user_sgpr_kernarg_preload_offset 0
		.amdhsa_user_sgpr_private_segment_size 0
		.amdhsa_uses_dynamic_stack 0
		.amdhsa_system_sgpr_private_segment_wavefront_offset 0
		.amdhsa_system_sgpr_workgroup_id_x 1
		.amdhsa_system_sgpr_workgroup_id_y 0
		.amdhsa_system_sgpr_workgroup_id_z 0
		.amdhsa_system_sgpr_workgroup_info 0
		.amdhsa_system_vgpr_workitem_id 0
		.amdhsa_next_free_vgpr 25
		.amdhsa_next_free_sgpr 57
		.amdhsa_accum_offset 28
		.amdhsa_reserve_vcc 1
		.amdhsa_reserve_flat_scratch 0
		.amdhsa_float_round_mode_32 0
		.amdhsa_float_round_mode_16_64 0
		.amdhsa_float_denorm_mode_32 3
		.amdhsa_float_denorm_mode_16_64 3
		.amdhsa_dx10_clamp 1
		.amdhsa_ieee_mode 1
		.amdhsa_fp16_overflow 0
		.amdhsa_tg_split 0
		.amdhsa_exception_fp_ieee_invalid_op 0
		.amdhsa_exception_fp_denorm_src 0
		.amdhsa_exception_fp_ieee_div_zero 0
		.amdhsa_exception_fp_ieee_overflow 0
		.amdhsa_exception_fp_ieee_underflow 0
		.amdhsa_exception_fp_ieee_inexact 0
		.amdhsa_exception_int_div_zero 0
	.end_amdhsa_kernel
	.section	.text._ZN9rocsparseL26csrgemm_fill_block_per_rowILj128ELj16ELj256ELj137ELj32EllfEEvT5_PKS1_S3_NS_24const_host_device_scalarIT6_EEPKT4_S3_PKS5_S9_S3_SB_S6_S9_S3_SB_S9_PS1_PS5_21rocsparse_index_base_SE_SE_SE_bbb,"axG",@progbits,_ZN9rocsparseL26csrgemm_fill_block_per_rowILj128ELj16ELj256ELj137ELj32EllfEEvT5_PKS1_S3_NS_24const_host_device_scalarIT6_EEPKT4_S3_PKS5_S9_S3_SB_S6_S9_S3_SB_S9_PS1_PS5_21rocsparse_index_base_SE_SE_SE_bbb,comdat
.Lfunc_end93:
	.size	_ZN9rocsparseL26csrgemm_fill_block_per_rowILj128ELj16ELj256ELj137ELj32EllfEEvT5_PKS1_S3_NS_24const_host_device_scalarIT6_EEPKT4_S3_PKS5_S9_S3_SB_S6_S9_S3_SB_S9_PS1_PS5_21rocsparse_index_base_SE_SE_SE_bbb, .Lfunc_end93-_ZN9rocsparseL26csrgemm_fill_block_per_rowILj128ELj16ELj256ELj137ELj32EllfEEvT5_PKS1_S3_NS_24const_host_device_scalarIT6_EEPKT4_S3_PKS5_S9_S3_SB_S6_S9_S3_SB_S9_PS1_PS5_21rocsparse_index_base_SE_SE_SE_bbb
                                        ; -- End function
	.section	.AMDGPU.csdata,"",@progbits
; Kernel info:
; codeLenInByte = 2612
; NumSgprs: 61
; NumVgprs: 25
; NumAgprs: 0
; TotalNumVgprs: 25
; ScratchSize: 0
; MemoryBound: 0
; FloatMode: 240
; IeeeMode: 1
; LDSByteSize: 0 bytes/workgroup (compile time only)
; SGPRBlocks: 7
; VGPRBlocks: 3
; NumSGPRsForWavesPerEU: 61
; NumVGPRsForWavesPerEU: 25
; AccumOffset: 28
; Occupancy: 8
; WaveLimiterHint : 1
; COMPUTE_PGM_RSRC2:SCRATCH_EN: 0
; COMPUTE_PGM_RSRC2:USER_SGPR: 6
; COMPUTE_PGM_RSRC2:TRAP_HANDLER: 0
; COMPUTE_PGM_RSRC2:TGID_X_EN: 1
; COMPUTE_PGM_RSRC2:TGID_Y_EN: 0
; COMPUTE_PGM_RSRC2:TGID_Z_EN: 0
; COMPUTE_PGM_RSRC2:TIDIG_COMP_CNT: 0
; COMPUTE_PGM_RSRC3_GFX90A:ACCUM_OFFSET: 6
; COMPUTE_PGM_RSRC3_GFX90A:TG_SPLIT: 0
	.section	.text._ZN9rocsparseL26csrgemm_fill_block_per_rowILj128ELj16ELj256ELj137ELj64EllfEEvT5_PKS1_S3_NS_24const_host_device_scalarIT6_EEPKT4_S3_PKS5_S9_S3_SB_S6_S9_S3_SB_S9_PS1_PS5_21rocsparse_index_base_SE_SE_SE_bbb,"axG",@progbits,_ZN9rocsparseL26csrgemm_fill_block_per_rowILj128ELj16ELj256ELj137ELj64EllfEEvT5_PKS1_S3_NS_24const_host_device_scalarIT6_EEPKT4_S3_PKS5_S9_S3_SB_S6_S9_S3_SB_S9_PS1_PS5_21rocsparse_index_base_SE_SE_SE_bbb,comdat
	.globl	_ZN9rocsparseL26csrgemm_fill_block_per_rowILj128ELj16ELj256ELj137ELj64EllfEEvT5_PKS1_S3_NS_24const_host_device_scalarIT6_EEPKT4_S3_PKS5_S9_S3_SB_S6_S9_S3_SB_S9_PS1_PS5_21rocsparse_index_base_SE_SE_SE_bbb ; -- Begin function _ZN9rocsparseL26csrgemm_fill_block_per_rowILj128ELj16ELj256ELj137ELj64EllfEEvT5_PKS1_S3_NS_24const_host_device_scalarIT6_EEPKT4_S3_PKS5_S9_S3_SB_S6_S9_S3_SB_S9_PS1_PS5_21rocsparse_index_base_SE_SE_SE_bbb
	.p2align	8
	.type	_ZN9rocsparseL26csrgemm_fill_block_per_rowILj128ELj16ELj256ELj137ELj64EllfEEvT5_PKS1_S3_NS_24const_host_device_scalarIT6_EEPKT4_S3_PKS5_S9_S3_SB_S6_S9_S3_SB_S9_PS1_PS5_21rocsparse_index_base_SE_SE_SE_bbb,@function
_ZN9rocsparseL26csrgemm_fill_block_per_rowILj128ELj16ELj256ELj137ELj64EllfEEvT5_PKS1_S3_NS_24const_host_device_scalarIT6_EEPKT4_S3_PKS5_S9_S3_SB_S6_S9_S3_SB_S9_PS1_PS5_21rocsparse_index_base_SE_SE_SE_bbb: ; @_ZN9rocsparseL26csrgemm_fill_block_per_rowILj128ELj16ELj256ELj137ELj64EllfEEvT5_PKS1_S3_NS_24const_host_device_scalarIT6_EEPKT4_S3_PKS5_S9_S3_SB_S6_S9_S3_SB_S9_PS1_PS5_21rocsparse_index_base_SE_SE_SE_bbb
; %bb.0:
	s_load_dword s7, s[4:5], 0x98
	s_load_dwordx2 s[2:3], s[4:5], 0x18
	s_load_dwordx2 s[0:1], s[4:5], 0x50
	s_waitcnt lgkmcnt(0)
	s_bitcmp1_b32 s7, 0
	s_cselect_b64 s[8:9], -1, 0
	s_bitcmp1_b32 s7, 16
	s_cselect_b64 s[10:11], -1, 0
	s_xor_b64 s[12:13], s[8:9], -1
	s_or_b64 s[12:13], s[12:13], s[10:11]
	s_and_b64 vcc, exec, s[12:13]
	s_cbranch_vccnz .LBB94_2
; %bb.1:
	s_load_dword s2, s[2:3], 0x0
	s_waitcnt lgkmcnt(0)
	v_mov_b32_e32 v15, s2
	s_branch .LBB94_3
.LBB94_2:
	v_mov_b32_e32 v1, s2
	v_cndmask_b32_e64 v15, 0, v1, s[8:9]
.LBB94_3:
	s_load_dwordx4 s[28:31], s[4:5], 0x88
	s_bitcmp1_b32 s7, 8
	s_cselect_b64 s[2:3], -1, 0
	s_xor_b64 s[12:13], s[2:3], -1
	s_or_b64 s[10:11], s[12:13], s[10:11]
	s_and_b64 vcc, exec, s[10:11]
	s_cbranch_vccnz .LBB94_5
; %bb.4:
	s_load_dword s0, s[0:1], 0x0
	s_waitcnt lgkmcnt(0)
	v_mov_b32_e32 v11, s0
	s_branch .LBB94_6
.LBB94_5:
	v_mov_b32_e32 v1, s0
	v_cndmask_b32_e64 v11, 0, v1, s[2:3]
.LBB94_6:
	s_load_dwordx4 s[36:39], s[4:5], 0x78
	s_load_dwordx8 s[12:19], s[4:5], 0x58
	s_load_dwordx4 s[44:47], s[4:5], 0x40
	s_load_dwordx4 s[40:43], s[4:5], 0x0
	s_load_dwordx2 s[10:11], s[4:5], 0x10
	s_load_dwordx8 s[20:27], s[4:5], 0x20
	s_movk_i32 s0, 0x100
	v_cmp_gt_u32_e64 s[0:1], s0, v0
	v_lshl_add_u32 v14, v0, 2, 0
	v_lshl_add_u32 v1, v0, 3, 0
	s_and_saveexec_b64 s[4:5], s[0:1]
	s_cbranch_execz .LBB94_9
; %bb.7:
	v_add_u32_e32 v4, 0x800, v14
	v_or_b32_e32 v5, 0xffffff80, v0
	v_lshl_add_u32 v6, v0, 3, 0
	s_mov_b64 s[34:35], 0
	s_waitcnt lgkmcnt(0)
	v_pk_mov_b32 v[2:3], s[40:41], s[40:41] op_sel:[0,1]
	v_mov_b32_e32 v7, 0
.LBB94_8:                               ; =>This Inner Loop Header: Depth=1
	v_add_co_u32_e32 v5, vcc, 0x80, v5
	s_xor_b64 s[48:49], vcc, -1
	s_and_b64 s[48:49], exec, s[48:49]
	ds_write_b64 v6, v[2:3]
	ds_write_b32 v4, v7
	v_add_u32_e32 v4, 0x200, v4
	s_or_b64 s[34:35], s[48:49], s[34:35]
	v_add_u32_e32 v6, 0x400, v6
	s_andn2_b64 exec, exec, s[34:35]
	s_cbranch_execnz .LBB94_8
.LBB94_9:
	s_or_b64 exec, exec, s[4:5]
	s_waitcnt lgkmcnt(0)
	s_barrier
	s_load_dwordx2 s[4:5], s[42:43], 0x0
	s_mov_b32 s7, 0
	s_waitcnt lgkmcnt(0)
	s_lshl_b64 s[4:5], s[4:5], 3
	s_add_u32 s10, s10, s4
	s_addc_u32 s11, s11, s5
	s_lshl_b64 s[4:5], s[6:7], 3
	s_add_u32 s4, s10, s4
	s_addc_u32 s5, s11, s5
	s_load_dwordx2 s[10:11], s[4:5], 0x0
	s_and_b64 vcc, exec, s[8:9]
	s_cbranch_vccz .LBB94_29
; %bb.10:
	s_waitcnt lgkmcnt(0)
	s_lshl_b64 s[4:5], s[10:11], 3
	s_add_u32 s4, s20, s4
	s_addc_u32 s5, s21, s5
	s_load_dwordx4 s[48:51], s[4:5], 0x0
	v_lshrrev_b32_e32 v2, 4, v0
	v_subrev_co_u32_e32 v2, vcc, s28, v2
	v_subb_co_u32_e64 v3, s[8:9], 0, 0, vcc
	s_waitcnt lgkmcnt(0)
	s_sub_u32 s4, s50, s28
	v_mov_b32_e32 v4, s49
	v_add_co_u32_e32 v2, vcc, s48, v2
	s_subb_u32 s5, s51, 0
	v_addc_co_u32_e32 v3, vcc, v4, v3, vcc
	v_cmp_gt_i64_e32 vcc, s[4:5], v[2:3]
	s_and_saveexec_b64 s[8:9], vcc
	s_cbranch_execz .LBB94_28
; %bb.11:
	v_and_b32_e32 v4, 15, v0
	v_subrev_co_u32_e32 v16, vcc, s29, v4
	s_mov_b32 s6, 0
	v_subb_co_u32_e64 v17, s[20:21], 0, 0, vcc
	s_mov_b32 s33, s28
	s_mov_b32 s56, s29
	s_mov_b64 s[20:21], 0
	v_mov_b32_e32 v18, s23
	v_mov_b32_e32 v19, s7
	;; [unrolled: 1-line block ×4, first 2 shown]
	s_movk_i32 s23, 0x89
	s_branch .LBB94_13
.LBB94_12:                              ;   in Loop: Header=BB94_13 Depth=1
	s_or_b64 exec, exec, s[6:7]
	v_add_co_u32_e32 v2, vcc, 8, v2
	v_addc_co_u32_e32 v3, vcc, 0, v3, vcc
	v_cmp_le_i64_e32 vcc, s[4:5], v[2:3]
	s_or_b64 s[20:21], vcc, s[20:21]
	s_andn2_b64 exec, exec, s[20:21]
	s_cbranch_execz .LBB94_28
.LBB94_13:                              ; =>This Loop Header: Depth=1
                                        ;     Child Loop BB94_16 Depth 2
                                        ;       Child Loop BB94_18 Depth 3
	v_lshlrev_b64 v[4:5], 3, v[2:3]
	v_add_co_u32_e32 v4, vcc, s22, v4
	v_addc_co_u32_e32 v5, vcc, v18, v5, vcc
	global_load_dwordx2 v[4:5], v[4:5], off
	s_waitcnt vmcnt(0)
	v_subrev_co_u32_e32 v4, vcc, s33, v4
	v_subb_co_u32_e32 v5, vcc, v5, v19, vcc
	v_lshlrev_b64 v[4:5], 3, v[4:5]
	v_add_co_u32_e32 v4, vcc, s26, v4
	v_addc_co_u32_e32 v5, vcc, v20, v5, vcc
	global_load_dwordx4 v[6:9], v[4:5], off
	s_waitcnt vmcnt(0)
	v_subrev_co_u32_e32 v4, vcc, s56, v8
	v_subb_co_u32_e32 v5, vcc, v9, v21, vcc
	v_add_co_u32_e32 v6, vcc, v6, v16
	v_addc_co_u32_e32 v7, vcc, v7, v17, vcc
	v_cmp_lt_i64_e32 vcc, v[6:7], v[4:5]
	s_and_saveexec_b64 s[6:7], vcc
	s_cbranch_execz .LBB94_12
; %bb.14:                               ;   in Loop: Header=BB94_13 Depth=1
	v_lshlrev_b64 v[8:9], 2, v[2:3]
	v_mov_b32_e32 v10, s25
	v_add_co_u32_e32 v8, vcc, s24, v8
	v_addc_co_u32_e32 v9, vcc, v10, v9, vcc
	global_load_dword v8, v[8:9], off
	s_mov_b64 s[28:29], 0
	s_waitcnt vmcnt(0)
	v_mul_f32_e32 v22, v15, v8
	s_branch .LBB94_16
.LBB94_15:                              ;   in Loop: Header=BB94_16 Depth=2
	s_or_b64 exec, exec, s[34:35]
	v_add_co_u32_e32 v6, vcc, 16, v6
	v_addc_co_u32_e32 v7, vcc, 0, v7, vcc
	v_cmp_ge_i64_e32 vcc, v[6:7], v[4:5]
	s_or_b64 s[28:29], vcc, s[28:29]
	s_andn2_b64 exec, exec, s[28:29]
	s_cbranch_execz .LBB94_12
.LBB94_16:                              ;   Parent Loop BB94_13 Depth=1
                                        ; =>  This Loop Header: Depth=2
                                        ;       Child Loop BB94_18 Depth 3
	v_lshlrev_b64 v[8:9], 3, v[6:7]
	v_mov_b32_e32 v10, s45
	v_add_co_u32_e32 v8, vcc, s44, v8
	v_addc_co_u32_e32 v9, vcc, v10, v9, vcc
	v_lshlrev_b64 v[12:13], 2, v[6:7]
	v_mov_b32_e32 v10, s47
	v_add_co_u32_e32 v12, vcc, s46, v12
	global_load_dwordx2 v[8:9], v[8:9], off
	v_addc_co_u32_e32 v13, vcc, v10, v13, vcc
	global_load_dword v10, v[12:13], off
	s_mov_b64 s[34:35], 0
	s_waitcnt vmcnt(1)
	v_subrev_co_u32_e32 v8, vcc, s56, v8
	v_subb_co_u32_e32 v9, vcc, v9, v21, vcc
	s_waitcnt vmcnt(0)
	v_mul_f32_e32 v23, v22, v10
	v_mul_lo_u32 v10, v8, s23
	v_and_b32_e32 v10, 0xff, v10
	s_branch .LBB94_18
.LBB94_17:                              ;   in Loop: Header=BB94_18 Depth=3
	s_or_b64 exec, exec, s[42:43]
	s_xor_b64 s[42:43], s[48:49], -1
	s_and_b64 s[42:43], exec, s[42:43]
	s_or_b64 s[34:35], s[42:43], s[34:35]
	s_andn2_b64 exec, exec, s[34:35]
	s_cbranch_execz .LBB94_15
.LBB94_18:                              ;   Parent Loop BB94_13 Depth=1
                                        ;     Parent Loop BB94_16 Depth=2
                                        ; =>    This Inner Loop Header: Depth=3
	v_lshl_add_u32 v24, v10, 3, 0
	ds_read_b64 v[12:13], v24
                                        ; implicit-def: $sgpr48_sgpr49
	s_waitcnt lgkmcnt(0)
	v_cmp_ne_u64_e32 vcc, v[12:13], v[8:9]
	s_and_saveexec_b64 s[42:43], vcc
	s_xor_b64 s[42:43], exec, s[42:43]
	s_cbranch_execz .LBB94_26
; %bb.19:                               ;   in Loop: Header=BB94_18 Depth=3
	v_cmp_ne_u64_e32 vcc, s[40:41], v[12:13]
                                        ; implicit-def: $sgpr48_sgpr49
	s_and_saveexec_b64 s[50:51], vcc
	s_xor_b64 s[50:51], exec, s[50:51]
; %bb.20:                               ;   in Loop: Header=BB94_18 Depth=3
	v_add_u32_e32 v10, 1, v10
	v_and_b32_e32 v10, 0xff, v10
	s_mov_b64 s[48:49], -1
                                        ; implicit-def: $vgpr24
; %bb.21:                               ;   in Loop: Header=BB94_18 Depth=3
	s_andn2_saveexec_b64 s[50:51], s[50:51]
	s_cbranch_execz .LBB94_25
; %bb.22:                               ;   in Loop: Header=BB94_18 Depth=3
	v_pk_mov_b32 v[12:13], s[40:41], s[40:41] op_sel:[0,1]
	ds_cmpst_rtn_b64 v[12:13], v24, v[12:13], v[8:9]
	s_mov_b64 s[52:53], -1
	s_waitcnt lgkmcnt(0)
	v_cmp_eq_u64_e32 vcc, s[40:41], v[12:13]
	s_and_saveexec_b64 s[54:55], vcc
	s_cbranch_execz .LBB94_24
; %bb.23:                               ;   in Loop: Header=BB94_18 Depth=3
	v_lshlrev_b32_e32 v12, 2, v10
	v_sub_u32_e32 v12, v24, v12
	ds_add_f32 v12, v23 offset:2048
	s_xor_b64 s[52:53], exec, -1
.LBB94_24:                              ;   in Loop: Header=BB94_18 Depth=3
	s_or_b64 exec, exec, s[54:55]
	s_andn2_b64 s[48:49], s[48:49], exec
	s_and_b64 s[52:53], s[52:53], exec
	s_or_b64 s[48:49], s[48:49], s[52:53]
.LBB94_25:                              ;   in Loop: Header=BB94_18 Depth=3
	s_or_b64 exec, exec, s[50:51]
	s_and_b64 s[48:49], s[48:49], exec
                                        ; implicit-def: $vgpr24
.LBB94_26:                              ;   in Loop: Header=BB94_18 Depth=3
	s_andn2_saveexec_b64 s[42:43], s[42:43]
	s_cbranch_execz .LBB94_17
; %bb.27:                               ;   in Loop: Header=BB94_18 Depth=3
	v_lshlrev_b32_e32 v12, 2, v10
	v_sub_u32_e32 v12, v24, v12
	ds_add_f32 v12, v23 offset:2048
	s_andn2_b64 s[48:49], s[48:49], exec
	s_branch .LBB94_17
.LBB94_28:
	s_or_b64 exec, exec, s[8:9]
.LBB94_29:
	s_andn2_b64 vcc, exec, s[2:3]
	s_cbranch_vccnz .LBB94_46
; %bb.30:
	s_waitcnt lgkmcnt(0)
	s_lshl_b64 s[2:3], s[10:11], 3
	s_add_u32 s2, s12, s2
	s_addc_u32 s3, s13, s3
	s_load_dwordx4 s[4:7], s[2:3], 0x0
	v_subrev_co_u32_e32 v2, vcc, s31, v0
	s_mov_b32 s8, 0
	s_waitcnt lgkmcnt(0)
	s_sub_u32 s2, s6, s31
	s_subb_u32 s3, s7, 0
	v_subb_co_u32_e64 v3, s[6:7], 0, 0, vcc
	v_mov_b32_e32 v4, s5
	v_add_co_u32_e32 v2, vcc, s4, v2
	v_addc_co_u32_e32 v3, vcc, v4, v3, vcc
	v_cmp_gt_i64_e32 vcc, s[2:3], v[2:3]
	s_and_saveexec_b64 s[4:5], vcc
	s_cbranch_execz .LBB94_45
; %bb.31:
	s_mov_b32 s28, s31
	s_mov_b64 s[6:7], 0
	v_mov_b32_e32 v7, s15
	v_mov_b32_e32 v10, s8
	;; [unrolled: 1-line block ×3, first 2 shown]
	s_movk_i32 s15, 0x89
	s_branch .LBB94_33
.LBB94_32:                              ;   in Loop: Header=BB94_33 Depth=1
	s_or_b64 exec, exec, s[8:9]
	v_add_co_u32_e32 v2, vcc, 0x80, v2
	v_addc_co_u32_e32 v3, vcc, 0, v3, vcc
	v_cmp_le_i64_e32 vcc, s[2:3], v[2:3]
	s_or_b64 s[6:7], vcc, s[6:7]
	s_andn2_b64 exec, exec, s[6:7]
	s_cbranch_execz .LBB94_45
.LBB94_33:                              ; =>This Loop Header: Depth=1
                                        ;     Child Loop BB94_35 Depth 2
	v_lshlrev_b64 v[4:5], 3, v[2:3]
	v_add_co_u32_e32 v4, vcc, s14, v4
	v_addc_co_u32_e32 v5, vcc, v7, v5, vcc
	v_lshlrev_b64 v[8:9], 2, v[2:3]
	v_add_co_u32_e32 v8, vcc, s16, v8
	global_load_dwordx2 v[4:5], v[4:5], off
	v_addc_co_u32_e32 v9, vcc, v12, v9, vcc
	global_load_dword v6, v[8:9], off
	s_mov_b64 s[8:9], 0
	s_waitcnt vmcnt(1)
	v_subrev_co_u32_e32 v4, vcc, s28, v4
	v_subb_co_u32_e32 v5, vcc, v5, v10, vcc
	s_waitcnt vmcnt(0)
	v_mul_f32_e32 v13, v11, v6
	v_mul_lo_u32 v6, v4, s15
	v_and_b32_e32 v6, 0xff, v6
	s_branch .LBB94_35
.LBB94_34:                              ;   in Loop: Header=BB94_35 Depth=2
	s_or_b64 exec, exec, s[12:13]
	s_xor_b64 s[12:13], s[20:21], -1
	s_and_b64 s[12:13], exec, s[12:13]
	s_or_b64 s[8:9], s[12:13], s[8:9]
	s_andn2_b64 exec, exec, s[8:9]
	s_cbranch_execz .LBB94_32
.LBB94_35:                              ;   Parent Loop BB94_33 Depth=1
                                        ; =>  This Inner Loop Header: Depth=2
	v_lshl_add_u32 v15, v6, 3, 0
	ds_read_b64 v[8:9], v15
                                        ; implicit-def: $sgpr20_sgpr21
	s_waitcnt lgkmcnt(0)
	v_cmp_ne_u64_e32 vcc, v[8:9], v[4:5]
	s_and_saveexec_b64 s[12:13], vcc
	s_xor_b64 s[12:13], exec, s[12:13]
	s_cbranch_execz .LBB94_43
; %bb.36:                               ;   in Loop: Header=BB94_35 Depth=2
	v_cmp_ne_u64_e32 vcc, s[40:41], v[8:9]
                                        ; implicit-def: $sgpr20_sgpr21
	s_and_saveexec_b64 s[22:23], vcc
	s_xor_b64 s[22:23], exec, s[22:23]
; %bb.37:                               ;   in Loop: Header=BB94_35 Depth=2
	v_add_u32_e32 v6, 1, v6
	v_and_b32_e32 v6, 0xff, v6
	s_mov_b64 s[20:21], -1
                                        ; implicit-def: $vgpr15
; %bb.38:                               ;   in Loop: Header=BB94_35 Depth=2
	s_andn2_saveexec_b64 s[22:23], s[22:23]
	s_cbranch_execz .LBB94_42
; %bb.39:                               ;   in Loop: Header=BB94_35 Depth=2
	v_pk_mov_b32 v[8:9], s[40:41], s[40:41] op_sel:[0,1]
	ds_cmpst_rtn_b64 v[8:9], v15, v[8:9], v[4:5]
	s_mov_b64 s[24:25], -1
	s_waitcnt lgkmcnt(0)
	v_cmp_eq_u64_e32 vcc, s[40:41], v[8:9]
	s_and_saveexec_b64 s[26:27], vcc
	s_cbranch_execz .LBB94_41
; %bb.40:                               ;   in Loop: Header=BB94_35 Depth=2
	v_lshlrev_b32_e32 v8, 2, v6
	v_sub_u32_e32 v8, v15, v8
	ds_add_f32 v8, v13 offset:2048
	s_xor_b64 s[24:25], exec, -1
.LBB94_41:                              ;   in Loop: Header=BB94_35 Depth=2
	s_or_b64 exec, exec, s[26:27]
	s_andn2_b64 s[20:21], s[20:21], exec
	s_and_b64 s[24:25], s[24:25], exec
	s_or_b64 s[20:21], s[20:21], s[24:25]
.LBB94_42:                              ;   in Loop: Header=BB94_35 Depth=2
	s_or_b64 exec, exec, s[22:23]
	s_and_b64 s[20:21], s[20:21], exec
                                        ; implicit-def: $vgpr15
.LBB94_43:                              ;   in Loop: Header=BB94_35 Depth=2
	s_andn2_saveexec_b64 s[12:13], s[12:13]
	s_cbranch_execz .LBB94_34
; %bb.44:                               ;   in Loop: Header=BB94_35 Depth=2
	v_lshlrev_b32_e32 v8, 2, v6
	v_sub_u32_e32 v8, v15, v8
	ds_add_f32 v8, v13 offset:2048
	s_andn2_b64 s[20:21], s[20:21], exec
	s_branch .LBB94_34
.LBB94_45:
	s_or_b64 exec, exec, s[4:5]
.LBB94_46:
	s_waitcnt lgkmcnt(0)
	s_barrier
	s_and_saveexec_b64 s[6:7], s[0:1]
	s_cbranch_execz .LBB94_55
; %bb.47:
	v_mbcnt_lo_u32_b32 v2, -1, 0
	v_mbcnt_hi_u32_b32 v2, -1, v2
	v_sub_u32_e32 v2, 63, v2
	v_lshrrev_b64 v[4:5], v2, -1
	v_lshrrev_b32_e32 v2, 3, v0
	v_and_b32_e32 v2, 8, v2
	s_movk_i32 s2, 0x7f
	v_mov_b32_e32 v3, 0
	v_add_u32_e32 v12, 0, v2
	v_cmp_lt_u32_e64 s[0:1], 63, v0
	v_cmp_eq_u32_e64 s[2:3], s2, v0
	v_add_u32_e32 v13, 0x800, v14
	v_or_b32_e32 v14, 0xffffff80, v0
	s_mov_b64 s[8:9], 0
	v_pk_mov_b32 v[6:7], 0, 0
	s_branch .LBB94_49
.LBB94_48:                              ;   in Loop: Header=BB94_49 Depth=1
	s_or_b64 exec, exec, s[4:5]
	s_waitcnt lgkmcnt(0)
	s_barrier
	ds_read_b64 v[8:9], v3 offset:3080
	v_add_u32_e32 v13, 0x200, v13
	v_add_u32_e32 v1, 0x400, v1
	s_waitcnt lgkmcnt(0)
	v_add_co_u32_e32 v6, vcc, v8, v6
	v_addc_co_u32_e32 v7, vcc, v9, v7, vcc
	v_add_co_u32_e32 v14, vcc, 0x80, v14
	s_xor_b64 s[4:5], vcc, -1
	s_and_b64 s[4:5], exec, s[4:5]
	s_or_b64 s[8:9], s[4:5], s[8:9]
	s_andn2_b64 exec, exec, s[8:9]
	s_cbranch_execz .LBB94_55
.LBB94_49:                              ; =>This Inner Loop Header: Depth=1
	ds_read_b64 v[10:11], v1
	ds_read_b32 v9, v13
	s_waitcnt lgkmcnt(0)
	s_barrier
	v_cmp_gt_i64_e32 vcc, s[40:41], v[10:11]
	v_and_b32_e32 v15, vcc_lo, v4
	s_bcnt1_i32_b64 s4, vcc
	v_and_b32_e32 v8, vcc_hi, v5
	v_bcnt_u32_b32 v15, v15, 0
	v_mov_b32_e32 v2, s4
	v_bcnt_u32_b32 v8, v8, v15
	ds_write_b64 v12, v[2:3] offset:3072
	s_waitcnt lgkmcnt(0)
	s_barrier
	s_and_saveexec_b64 s[12:13], s[0:1]
	s_cbranch_execnz .LBB94_52
; %bb.50:                               ;   in Loop: Header=BB94_49 Depth=1
	s_or_b64 exec, exec, s[12:13]
	s_and_saveexec_b64 s[4:5], vcc
	s_cbranch_execnz .LBB94_53
.LBB94_51:                              ;   in Loop: Header=BB94_49 Depth=1
	s_or_b64 exec, exec, s[4:5]
	s_and_saveexec_b64 s[4:5], s[2:3]
	s_cbranch_execz .LBB94_48
	s_branch .LBB94_54
.LBB94_52:                              ;   in Loop: Header=BB94_49 Depth=1
	ds_read_b64 v[16:17], v3 offset:3072
	s_waitcnt lgkmcnt(0)
	v_add_co_u32_e64 v8, s[4:5], v16, v8
	s_or_b64 exec, exec, s[12:13]
	s_and_saveexec_b64 s[4:5], vcc
	s_cbranch_execz .LBB94_51
.LBB94_53:                              ;   in Loop: Header=BB94_49 Depth=1
	v_add3_u32 v2, v6, -1, v8
	v_lshl_add_u32 v15, v2, 3, 0
	v_lshl_add_u32 v2, v2, 2, 0
	ds_write_b64 v15, v[10:11]
	ds_write_b32 v2, v9 offset:2048
	s_or_b64 exec, exec, s[4:5]
	s_and_saveexec_b64 s[4:5], s[2:3]
	s_cbranch_execz .LBB94_48
.LBB94_54:                              ;   in Loop: Header=BB94_49 Depth=1
	v_ashrrev_i32_e32 v9, 31, v8
	ds_write_b64 v3, v[8:9] offset:3080
	s_branch .LBB94_48
.LBB94_55:
	s_or_b64 exec, exec, s[6:7]
	s_lshl_b64 s[0:1], s[10:11], 3
	s_add_u32 s0, s18, s0
	s_addc_u32 s1, s19, s1
	s_load_dwordx4 s[0:3], s[0:1], 0x0
	v_mov_b32_e32 v1, 0
	s_waitcnt lgkmcnt(0)
	s_sub_u32 s4, s2, s0
	s_subb_u32 s5, s3, s1
	v_cmp_gt_i64_e32 vcc, s[4:5], v[0:1]
	s_and_saveexec_b64 s[6:7], vcc
	s_cbranch_execz .LBB94_65
; %bb.56:
	s_sub_u32 s6, s0, s30
	s_subb_u32 s7, s1, 0
	s_and_b32 s8, s4, 7
	s_sub_u32 s0, s0, s2
	s_mov_b32 s16, 0
	s_subb_u32 s1, s1, s3
	s_mov_b32 s9, s16
	s_and_b32 s2, s4, -8
	v_cmp_lt_u64_e64 s[0:1], s[0:1], -7
	s_cmp_lg_u64 s[8:9], 0
	v_cndmask_b32_e64 v2, 0, 1, s[0:1]
	s_mov_b32 s3, s5
	s_mov_b64 s[10:11], 0
	s_cselect_b64 s[12:13], -1, 0
	v_cmp_ne_u32_e64 s[0:1], 1, v2
	s_branch .LBB94_58
.LBB94_57:                              ;   in Loop: Header=BB94_58 Depth=1
	v_mov_b32_e32 v7, s16
	s_waitcnt lgkmcnt(1)
	v_add_co_u32_e32 v2, vcc, s30, v2
	v_addc_co_u32_e32 v3, vcc, v3, v7, vcc
	v_lshlrev_b64 v[8:9], 3, v[4:5]
	v_mov_b32_e32 v7, s37
	v_add_co_u32_e32 v8, vcc, s36, v8
	v_addc_co_u32_e32 v9, vcc, v7, v9, vcc
	global_store_dwordx2 v[8:9], v[2:3], off
	v_lshlrev_b64 v[2:3], 2, v[4:5]
	v_mov_b32_e32 v4, s39
	v_add_co_u32_e32 v2, vcc, s38, v2
	v_addc_co_u32_e32 v3, vcc, v4, v3, vcc
	v_add_co_u32_e32 v0, vcc, 0x80, v0
	v_addc_co_u32_e32 v1, vcc, 0, v1, vcc
	v_cmp_le_i64_e32 vcc, s[4:5], v[0:1]
	s_or_b64 s[10:11], vcc, s[10:11]
	s_waitcnt lgkmcnt(0)
	global_store_dword v[2:3], v6, off
	s_andn2_b64 exec, exec, s[10:11]
	s_cbranch_execz .LBB94_65
.LBB94_58:                              ; =>This Loop Header: Depth=1
                                        ;     Child Loop BB94_60 Depth 2
                                        ;     Child Loop BB94_64 Depth 2
	v_lshl_add_u32 v2, v0, 3, 0
	v_lshlrev_b32_e32 v3, 2, v0
	v_sub_u32_e32 v4, v2, v3
	ds_read_b64 v[2:3], v2
	ds_read_b32 v6, v4 offset:2048
	s_and_b64 vcc, exec, s[0:1]
	v_pk_mov_b32 v[4:5], s[6:7], s[6:7] op_sel:[0,1]
	s_mov_b64 s[14:15], 0
	s_cbranch_vccnz .LBB94_62
; %bb.59:                               ;   in Loop: Header=BB94_58 Depth=1
	s_mov_b32 s17, 0
	v_pk_mov_b32 v[4:5], s[6:7], s[6:7] op_sel:[0,1]
.LBB94_60:                              ;   Parent Loop BB94_58 Depth=1
                                        ; =>  This Inner Loop Header: Depth=2
	v_mov_b32_e32 v7, s17
	ds_read2_b64 v[8:11], v7 offset1:1
	ds_read2_b64 v[12:15], v7 offset0:2 offset1:3
	ds_read2_b64 v[16:19], v7 offset0:4 offset1:5
	;; [unrolled: 1-line block ×3, first 2 shown]
	s_add_u32 s14, s14, 8
	s_waitcnt lgkmcnt(3)
	v_cmp_gt_i64_e32 vcc, v[2:3], v[8:9]
	v_cndmask_b32_e64 v7, 0, 1, vcc
	v_cmp_gt_i64_e32 vcc, v[2:3], v[10:11]
	v_cndmask_b32_e64 v8, 0, 1, vcc
	s_waitcnt lgkmcnt(2)
	v_cmp_gt_i64_e32 vcc, v[2:3], v[12:13]
	v_cndmask_b32_e64 v9, 0, 1, vcc
	v_cmp_gt_i64_e32 vcc, v[2:3], v[14:15]
	v_cndmask_b32_e64 v10, 0, 1, vcc
	;; [unrolled: 5-line block ×4, first 2 shown]
	v_add_co_u32_e32 v4, vcc, v4, v7
	v_addc_co_u32_e32 v5, vcc, 0, v5, vcc
	v_add_co_u32_e32 v4, vcc, v4, v8
	v_addc_co_u32_e32 v5, vcc, 0, v5, vcc
	;; [unrolled: 2-line block ×7, first 2 shown]
	s_addc_u32 s15, s15, 0
	s_add_i32 s17, s17, 64
	v_add_co_u32_e32 v4, vcc, v4, v14
	s_cmp_eq_u64 s[2:3], s[14:15]
	v_addc_co_u32_e32 v5, vcc, 0, v5, vcc
	s_cbranch_scc0 .LBB94_60
; %bb.61:                               ;   in Loop: Header=BB94_58 Depth=1
	s_mov_b64 s[14:15], s[2:3]
.LBB94_62:                              ;   in Loop: Header=BB94_58 Depth=1
	s_andn2_b64 vcc, exec, s[12:13]
	s_cbranch_vccnz .LBB94_57
; %bb.63:                               ;   in Loop: Header=BB94_58 Depth=1
	s_lshl_b32 s14, s14, 3
	s_add_i32 s17, s14, 0
	s_mov_b64 s[14:15], s[8:9]
.LBB94_64:                              ;   Parent Loop BB94_58 Depth=1
                                        ; =>  This Inner Loop Header: Depth=2
	v_mov_b32_e32 v7, s17
	ds_read_b64 v[8:9], v7
	s_add_i32 s17, s17, 8
	s_add_u32 s14, s14, -1
	s_addc_u32 s15, s15, -1
	s_cmp_lg_u64 s[14:15], 0
	s_waitcnt lgkmcnt(0)
	v_cmp_gt_i64_e32 vcc, v[2:3], v[8:9]
	v_cndmask_b32_e64 v7, 0, 1, vcc
	v_add_co_u32_e32 v4, vcc, v4, v7
	v_addc_co_u32_e32 v5, vcc, 0, v5, vcc
	s_cbranch_scc1 .LBB94_64
	s_branch .LBB94_57
.LBB94_65:
	s_endpgm
	.section	.rodata,"a",@progbits
	.p2align	6, 0x0
	.amdhsa_kernel _ZN9rocsparseL26csrgemm_fill_block_per_rowILj128ELj16ELj256ELj137ELj64EllfEEvT5_PKS1_S3_NS_24const_host_device_scalarIT6_EEPKT4_S3_PKS5_S9_S3_SB_S6_S9_S3_SB_S9_PS1_PS5_21rocsparse_index_base_SE_SE_SE_bbb
		.amdhsa_group_segment_fixed_size 0
		.amdhsa_private_segment_fixed_size 0
		.amdhsa_kernarg_size 156
		.amdhsa_user_sgpr_count 6
		.amdhsa_user_sgpr_private_segment_buffer 1
		.amdhsa_user_sgpr_dispatch_ptr 0
		.amdhsa_user_sgpr_queue_ptr 0
		.amdhsa_user_sgpr_kernarg_segment_ptr 1
		.amdhsa_user_sgpr_dispatch_id 0
		.amdhsa_user_sgpr_flat_scratch_init 0
		.amdhsa_user_sgpr_kernarg_preload_length 0
		.amdhsa_user_sgpr_kernarg_preload_offset 0
		.amdhsa_user_sgpr_private_segment_size 0
		.amdhsa_uses_dynamic_stack 0
		.amdhsa_system_sgpr_private_segment_wavefront_offset 0
		.amdhsa_system_sgpr_workgroup_id_x 1
		.amdhsa_system_sgpr_workgroup_id_y 0
		.amdhsa_system_sgpr_workgroup_id_z 0
		.amdhsa_system_sgpr_workgroup_info 0
		.amdhsa_system_vgpr_workitem_id 0
		.amdhsa_next_free_vgpr 25
		.amdhsa_next_free_sgpr 57
		.amdhsa_accum_offset 28
		.amdhsa_reserve_vcc 1
		.amdhsa_reserve_flat_scratch 0
		.amdhsa_float_round_mode_32 0
		.amdhsa_float_round_mode_16_64 0
		.amdhsa_float_denorm_mode_32 3
		.amdhsa_float_denorm_mode_16_64 3
		.amdhsa_dx10_clamp 1
		.amdhsa_ieee_mode 1
		.amdhsa_fp16_overflow 0
		.amdhsa_tg_split 0
		.amdhsa_exception_fp_ieee_invalid_op 0
		.amdhsa_exception_fp_denorm_src 0
		.amdhsa_exception_fp_ieee_div_zero 0
		.amdhsa_exception_fp_ieee_overflow 0
		.amdhsa_exception_fp_ieee_underflow 0
		.amdhsa_exception_fp_ieee_inexact 0
		.amdhsa_exception_int_div_zero 0
	.end_amdhsa_kernel
	.section	.text._ZN9rocsparseL26csrgemm_fill_block_per_rowILj128ELj16ELj256ELj137ELj64EllfEEvT5_PKS1_S3_NS_24const_host_device_scalarIT6_EEPKT4_S3_PKS5_S9_S3_SB_S6_S9_S3_SB_S9_PS1_PS5_21rocsparse_index_base_SE_SE_SE_bbb,"axG",@progbits,_ZN9rocsparseL26csrgemm_fill_block_per_rowILj128ELj16ELj256ELj137ELj64EllfEEvT5_PKS1_S3_NS_24const_host_device_scalarIT6_EEPKT4_S3_PKS5_S9_S3_SB_S6_S9_S3_SB_S9_PS1_PS5_21rocsparse_index_base_SE_SE_SE_bbb,comdat
.Lfunc_end94:
	.size	_ZN9rocsparseL26csrgemm_fill_block_per_rowILj128ELj16ELj256ELj137ELj64EllfEEvT5_PKS1_S3_NS_24const_host_device_scalarIT6_EEPKT4_S3_PKS5_S9_S3_SB_S6_S9_S3_SB_S9_PS1_PS5_21rocsparse_index_base_SE_SE_SE_bbb, .Lfunc_end94-_ZN9rocsparseL26csrgemm_fill_block_per_rowILj128ELj16ELj256ELj137ELj64EllfEEvT5_PKS1_S3_NS_24const_host_device_scalarIT6_EEPKT4_S3_PKS5_S9_S3_SB_S6_S9_S3_SB_S9_PS1_PS5_21rocsparse_index_base_SE_SE_SE_bbb
                                        ; -- End function
	.section	.AMDGPU.csdata,"",@progbits
; Kernel info:
; codeLenInByte = 2512
; NumSgprs: 61
; NumVgprs: 25
; NumAgprs: 0
; TotalNumVgprs: 25
; ScratchSize: 0
; MemoryBound: 0
; FloatMode: 240
; IeeeMode: 1
; LDSByteSize: 0 bytes/workgroup (compile time only)
; SGPRBlocks: 7
; VGPRBlocks: 3
; NumSGPRsForWavesPerEU: 61
; NumVGPRsForWavesPerEU: 25
; AccumOffset: 28
; Occupancy: 8
; WaveLimiterHint : 1
; COMPUTE_PGM_RSRC2:SCRATCH_EN: 0
; COMPUTE_PGM_RSRC2:USER_SGPR: 6
; COMPUTE_PGM_RSRC2:TRAP_HANDLER: 0
; COMPUTE_PGM_RSRC2:TGID_X_EN: 1
; COMPUTE_PGM_RSRC2:TGID_Y_EN: 0
; COMPUTE_PGM_RSRC2:TGID_Z_EN: 0
; COMPUTE_PGM_RSRC2:TIDIG_COMP_CNT: 0
; COMPUTE_PGM_RSRC3_GFX90A:ACCUM_OFFSET: 6
; COMPUTE_PGM_RSRC3_GFX90A:TG_SPLIT: 0
	.section	.text._ZN9rocsparseL26csrgemm_fill_block_per_rowILj256ELj32ELj512ELj137ELj32EllfEEvT5_PKS1_S3_NS_24const_host_device_scalarIT6_EEPKT4_S3_PKS5_S9_S3_SB_S6_S9_S3_SB_S9_PS1_PS5_21rocsparse_index_base_SE_SE_SE_bbb,"axG",@progbits,_ZN9rocsparseL26csrgemm_fill_block_per_rowILj256ELj32ELj512ELj137ELj32EllfEEvT5_PKS1_S3_NS_24const_host_device_scalarIT6_EEPKT4_S3_PKS5_S9_S3_SB_S6_S9_S3_SB_S9_PS1_PS5_21rocsparse_index_base_SE_SE_SE_bbb,comdat
	.globl	_ZN9rocsparseL26csrgemm_fill_block_per_rowILj256ELj32ELj512ELj137ELj32EllfEEvT5_PKS1_S3_NS_24const_host_device_scalarIT6_EEPKT4_S3_PKS5_S9_S3_SB_S6_S9_S3_SB_S9_PS1_PS5_21rocsparse_index_base_SE_SE_SE_bbb ; -- Begin function _ZN9rocsparseL26csrgemm_fill_block_per_rowILj256ELj32ELj512ELj137ELj32EllfEEvT5_PKS1_S3_NS_24const_host_device_scalarIT6_EEPKT4_S3_PKS5_S9_S3_SB_S6_S9_S3_SB_S9_PS1_PS5_21rocsparse_index_base_SE_SE_SE_bbb
	.p2align	8
	.type	_ZN9rocsparseL26csrgemm_fill_block_per_rowILj256ELj32ELj512ELj137ELj32EllfEEvT5_PKS1_S3_NS_24const_host_device_scalarIT6_EEPKT4_S3_PKS5_S9_S3_SB_S6_S9_S3_SB_S9_PS1_PS5_21rocsparse_index_base_SE_SE_SE_bbb,@function
_ZN9rocsparseL26csrgemm_fill_block_per_rowILj256ELj32ELj512ELj137ELj32EllfEEvT5_PKS1_S3_NS_24const_host_device_scalarIT6_EEPKT4_S3_PKS5_S9_S3_SB_S6_S9_S3_SB_S9_PS1_PS5_21rocsparse_index_base_SE_SE_SE_bbb: ; @_ZN9rocsparseL26csrgemm_fill_block_per_rowILj256ELj32ELj512ELj137ELj32EllfEEvT5_PKS1_S3_NS_24const_host_device_scalarIT6_EEPKT4_S3_PKS5_S9_S3_SB_S6_S9_S3_SB_S9_PS1_PS5_21rocsparse_index_base_SE_SE_SE_bbb
; %bb.0:
	s_load_dword s7, s[4:5], 0x98
	s_load_dwordx2 s[2:3], s[4:5], 0x18
	s_load_dwordx2 s[0:1], s[4:5], 0x50
	s_waitcnt lgkmcnt(0)
	s_bitcmp1_b32 s7, 0
	s_cselect_b64 s[8:9], -1, 0
	s_bitcmp1_b32 s7, 16
	s_cselect_b64 s[10:11], -1, 0
	s_xor_b64 s[12:13], s[8:9], -1
	s_or_b64 s[12:13], s[12:13], s[10:11]
	s_and_b64 vcc, exec, s[12:13]
	s_cbranch_vccnz .LBB95_2
; %bb.1:
	s_load_dword s2, s[2:3], 0x0
	s_waitcnt lgkmcnt(0)
	v_mov_b32_e32 v16, s2
	s_branch .LBB95_3
.LBB95_2:
	v_mov_b32_e32 v1, s2
	v_cndmask_b32_e64 v16, 0, v1, s[8:9]
.LBB95_3:
	s_load_dwordx4 s[28:31], s[4:5], 0x88
	s_bitcmp1_b32 s7, 8
	s_cselect_b64 s[2:3], -1, 0
	s_xor_b64 s[12:13], s[2:3], -1
	s_or_b64 s[10:11], s[12:13], s[10:11]
	s_and_b64 vcc, exec, s[10:11]
	s_cbranch_vccnz .LBB95_5
; %bb.4:
	s_load_dword s0, s[0:1], 0x0
	s_waitcnt lgkmcnt(0)
	v_mov_b32_e32 v14, s0
	s_branch .LBB95_6
.LBB95_5:
	v_mov_b32_e32 v1, s0
	v_cndmask_b32_e64 v14, 0, v1, s[2:3]
.LBB95_6:
	s_load_dwordx4 s[36:39], s[4:5], 0x78
	s_load_dwordx8 s[12:19], s[4:5], 0x58
	s_load_dwordx4 s[44:47], s[4:5], 0x40
	s_load_dwordx4 s[40:43], s[4:5], 0x0
	s_load_dwordx2 s[10:11], s[4:5], 0x10
	s_load_dwordx8 s[20:27], s[4:5], 0x20
	s_movk_i32 s0, 0x200
	v_cmp_gt_u32_e64 s[0:1], s0, v0
	v_lshl_add_u32 v11, v0, 2, 0
	v_lshl_add_u32 v1, v0, 3, 0
	s_and_saveexec_b64 s[4:5], s[0:1]
	s_cbranch_execz .LBB95_9
; %bb.7:
	v_add_u32_e32 v4, 0x1000, v11
	v_or_b32_e32 v5, 0xffffff00, v0
	v_lshl_add_u32 v6, v0, 3, 0
	s_mov_b64 s[34:35], 0
	s_waitcnt lgkmcnt(0)
	v_pk_mov_b32 v[2:3], s[40:41], s[40:41] op_sel:[0,1]
	v_mov_b32_e32 v7, 0
.LBB95_8:                               ; =>This Inner Loop Header: Depth=1
	v_add_co_u32_e32 v5, vcc, 0x100, v5
	s_xor_b64 s[48:49], vcc, -1
	s_and_b64 s[48:49], exec, s[48:49]
	ds_write_b64 v6, v[2:3]
	ds_write_b32 v4, v7
	v_add_u32_e32 v4, 0x400, v4
	s_or_b64 s[34:35], s[48:49], s[34:35]
	v_add_u32_e32 v6, 0x800, v6
	s_andn2_b64 exec, exec, s[34:35]
	s_cbranch_execnz .LBB95_8
.LBB95_9:
	s_or_b64 exec, exec, s[4:5]
	s_waitcnt lgkmcnt(0)
	s_barrier
	s_load_dwordx2 s[4:5], s[42:43], 0x0
	s_mov_b32 s7, 0
	v_lshrrev_b32_e32 v15, 5, v0
	s_waitcnt lgkmcnt(0)
	s_lshl_b64 s[4:5], s[4:5], 3
	s_add_u32 s10, s10, s4
	s_addc_u32 s11, s11, s5
	s_lshl_b64 s[4:5], s[6:7], 3
	s_add_u32 s4, s10, s4
	s_addc_u32 s5, s11, s5
	s_load_dwordx2 s[34:35], s[4:5], 0x0
	s_and_b64 vcc, exec, s[8:9]
	s_cbranch_vccz .LBB95_29
; %bb.10:
	s_waitcnt lgkmcnt(0)
	s_lshl_b64 s[4:5], s[34:35], 3
	s_add_u32 s4, s20, s4
	s_addc_u32 s5, s21, s5
	s_load_dwordx4 s[8:11], s[4:5], 0x0
	v_subrev_co_u32_e32 v2, vcc, s28, v15
	s_waitcnt lgkmcnt(0)
	s_sub_u32 s4, s10, s28
	s_subb_u32 s5, s11, 0
	v_subb_co_u32_e64 v3, s[10:11], 0, 0, vcc
	v_mov_b32_e32 v4, s9
	v_add_co_u32_e32 v2, vcc, s8, v2
	v_addc_co_u32_e32 v3, vcc, v4, v3, vcc
	v_cmp_gt_i64_e32 vcc, s[4:5], v[2:3]
	s_and_saveexec_b64 s[8:9], vcc
	s_cbranch_execz .LBB95_28
; %bb.11:
	v_and_b32_e32 v4, 31, v0
	v_subrev_co_u32_e32 v17, vcc, s29, v4
	s_mov_b32 s6, 0
	v_subb_co_u32_e64 v18, s[10:11], 0, 0, vcc
	s_mov_b32 s33, s28
	s_mov_b32 s56, s29
	s_mov_b64 s[10:11], 0
	v_mov_b32_e32 v19, s23
	v_mov_b32_e32 v20, s7
	;; [unrolled: 1-line block ×4, first 2 shown]
	s_movk_i32 s23, 0x89
	s_branch .LBB95_13
.LBB95_12:                              ;   in Loop: Header=BB95_13 Depth=1
	s_or_b64 exec, exec, s[6:7]
	v_add_co_u32_e32 v2, vcc, 8, v2
	v_addc_co_u32_e32 v3, vcc, 0, v3, vcc
	v_cmp_le_i64_e32 vcc, s[4:5], v[2:3]
	s_or_b64 s[10:11], vcc, s[10:11]
	s_andn2_b64 exec, exec, s[10:11]
	s_cbranch_execz .LBB95_28
.LBB95_13:                              ; =>This Loop Header: Depth=1
                                        ;     Child Loop BB95_16 Depth 2
                                        ;       Child Loop BB95_18 Depth 3
	v_lshlrev_b64 v[4:5], 3, v[2:3]
	v_add_co_u32_e32 v4, vcc, s22, v4
	v_addc_co_u32_e32 v5, vcc, v19, v5, vcc
	global_load_dwordx2 v[4:5], v[4:5], off
	s_waitcnt vmcnt(0)
	v_subrev_co_u32_e32 v4, vcc, s33, v4
	v_subb_co_u32_e32 v5, vcc, v5, v20, vcc
	v_lshlrev_b64 v[4:5], 3, v[4:5]
	v_add_co_u32_e32 v4, vcc, s26, v4
	v_addc_co_u32_e32 v5, vcc, v21, v5, vcc
	global_load_dwordx4 v[6:9], v[4:5], off
	s_waitcnt vmcnt(0)
	v_subrev_co_u32_e32 v4, vcc, s56, v8
	v_subb_co_u32_e32 v5, vcc, v9, v22, vcc
	v_add_co_u32_e32 v6, vcc, v6, v17
	v_addc_co_u32_e32 v7, vcc, v7, v18, vcc
	v_cmp_lt_i64_e32 vcc, v[6:7], v[4:5]
	s_and_saveexec_b64 s[6:7], vcc
	s_cbranch_execz .LBB95_12
; %bb.14:                               ;   in Loop: Header=BB95_13 Depth=1
	v_lshlrev_b64 v[8:9], 2, v[2:3]
	v_mov_b32_e32 v10, s25
	v_add_co_u32_e32 v8, vcc, s24, v8
	v_addc_co_u32_e32 v9, vcc, v10, v9, vcc
	global_load_dword v8, v[8:9], off
	s_mov_b64 s[20:21], 0
	s_waitcnt vmcnt(0)
	v_mul_f32_e32 v23, v16, v8
	s_branch .LBB95_16
.LBB95_15:                              ;   in Loop: Header=BB95_16 Depth=2
	s_or_b64 exec, exec, s[28:29]
	v_add_co_u32_e32 v6, vcc, 32, v6
	v_addc_co_u32_e32 v7, vcc, 0, v7, vcc
	v_cmp_ge_i64_e32 vcc, v[6:7], v[4:5]
	s_or_b64 s[20:21], vcc, s[20:21]
	s_andn2_b64 exec, exec, s[20:21]
	s_cbranch_execz .LBB95_12
.LBB95_16:                              ;   Parent Loop BB95_13 Depth=1
                                        ; =>  This Loop Header: Depth=2
                                        ;       Child Loop BB95_18 Depth 3
	v_lshlrev_b64 v[8:9], 3, v[6:7]
	v_mov_b32_e32 v10, s45
	v_add_co_u32_e32 v8, vcc, s44, v8
	v_addc_co_u32_e32 v9, vcc, v10, v9, vcc
	v_lshlrev_b64 v[12:13], 2, v[6:7]
	v_mov_b32_e32 v10, s47
	v_add_co_u32_e32 v12, vcc, s46, v12
	global_load_dwordx2 v[8:9], v[8:9], off
	v_addc_co_u32_e32 v13, vcc, v10, v13, vcc
	global_load_dword v10, v[12:13], off
	s_mov_b64 s[28:29], 0
	s_waitcnt vmcnt(1)
	v_subrev_co_u32_e32 v8, vcc, s56, v8
	v_subb_co_u32_e32 v9, vcc, v9, v22, vcc
	s_waitcnt vmcnt(0)
	v_mul_f32_e32 v24, v23, v10
	v_mul_lo_u32 v10, v8, s23
	v_and_b32_e32 v10, 0x1ff, v10
	s_branch .LBB95_18
.LBB95_17:                              ;   in Loop: Header=BB95_18 Depth=3
	s_or_b64 exec, exec, s[42:43]
	s_xor_b64 s[42:43], s[48:49], -1
	s_and_b64 s[42:43], exec, s[42:43]
	s_or_b64 s[28:29], s[42:43], s[28:29]
	s_andn2_b64 exec, exec, s[28:29]
	s_cbranch_execz .LBB95_15
.LBB95_18:                              ;   Parent Loop BB95_13 Depth=1
                                        ;     Parent Loop BB95_16 Depth=2
                                        ; =>    This Inner Loop Header: Depth=3
	v_lshl_add_u32 v25, v10, 3, 0
	ds_read_b64 v[12:13], v25
                                        ; implicit-def: $sgpr48_sgpr49
	s_waitcnt lgkmcnt(0)
	v_cmp_ne_u64_e32 vcc, v[12:13], v[8:9]
	s_and_saveexec_b64 s[42:43], vcc
	s_xor_b64 s[42:43], exec, s[42:43]
	s_cbranch_execz .LBB95_26
; %bb.19:                               ;   in Loop: Header=BB95_18 Depth=3
	v_cmp_ne_u64_e32 vcc, s[40:41], v[12:13]
                                        ; implicit-def: $sgpr48_sgpr49
	s_and_saveexec_b64 s[50:51], vcc
	s_xor_b64 s[50:51], exec, s[50:51]
; %bb.20:                               ;   in Loop: Header=BB95_18 Depth=3
	v_add_u32_e32 v10, 1, v10
	v_and_b32_e32 v10, 0x1ff, v10
	s_mov_b64 s[48:49], -1
                                        ; implicit-def: $vgpr25
; %bb.21:                               ;   in Loop: Header=BB95_18 Depth=3
	s_andn2_saveexec_b64 s[50:51], s[50:51]
	s_cbranch_execz .LBB95_25
; %bb.22:                               ;   in Loop: Header=BB95_18 Depth=3
	v_pk_mov_b32 v[12:13], s[40:41], s[40:41] op_sel:[0,1]
	ds_cmpst_rtn_b64 v[12:13], v25, v[12:13], v[8:9]
	s_mov_b64 s[52:53], -1
	s_waitcnt lgkmcnt(0)
	v_cmp_eq_u64_e32 vcc, s[40:41], v[12:13]
	s_and_saveexec_b64 s[54:55], vcc
	s_cbranch_execz .LBB95_24
; %bb.23:                               ;   in Loop: Header=BB95_18 Depth=3
	v_lshlrev_b32_e32 v12, 2, v10
	v_sub_u32_e32 v12, v25, v12
	ds_add_f32 v12, v24 offset:4096
	s_xor_b64 s[52:53], exec, -1
.LBB95_24:                              ;   in Loop: Header=BB95_18 Depth=3
	s_or_b64 exec, exec, s[54:55]
	s_andn2_b64 s[48:49], s[48:49], exec
	s_and_b64 s[52:53], s[52:53], exec
	s_or_b64 s[48:49], s[48:49], s[52:53]
.LBB95_25:                              ;   in Loop: Header=BB95_18 Depth=3
	s_or_b64 exec, exec, s[50:51]
	s_and_b64 s[48:49], s[48:49], exec
                                        ; implicit-def: $vgpr25
.LBB95_26:                              ;   in Loop: Header=BB95_18 Depth=3
	s_andn2_saveexec_b64 s[42:43], s[42:43]
	s_cbranch_execz .LBB95_17
; %bb.27:                               ;   in Loop: Header=BB95_18 Depth=3
	v_lshlrev_b32_e32 v12, 2, v10
	v_sub_u32_e32 v12, v25, v12
	ds_add_f32 v12, v24 offset:4096
	s_andn2_b64 s[48:49], s[48:49], exec
	s_branch .LBB95_17
.LBB95_28:
	s_or_b64 exec, exec, s[8:9]
.LBB95_29:
	s_andn2_b64 vcc, exec, s[2:3]
	s_cbranch_vccnz .LBB95_46
; %bb.30:
	s_waitcnt lgkmcnt(0)
	s_lshl_b64 s[2:3], s[34:35], 3
	s_add_u32 s2, s12, s2
	s_addc_u32 s3, s13, s3
	s_load_dwordx4 s[4:7], s[2:3], 0x0
	v_subrev_co_u32_e32 v2, vcc, s31, v0
	s_mov_b32 s8, 0
	s_waitcnt lgkmcnt(0)
	s_sub_u32 s2, s6, s31
	s_subb_u32 s3, s7, 0
	v_subb_co_u32_e64 v3, s[6:7], 0, 0, vcc
	v_mov_b32_e32 v4, s5
	v_add_co_u32_e32 v2, vcc, s4, v2
	v_addc_co_u32_e32 v3, vcc, v4, v3, vcc
	v_cmp_gt_i64_e32 vcc, s[2:3], v[2:3]
	s_and_saveexec_b64 s[4:5], vcc
	s_cbranch_execz .LBB95_45
; %bb.31:
	s_mov_b32 s26, s31
	s_mov_b64 s[6:7], 0
	v_mov_b32_e32 v7, s15
	v_mov_b32_e32 v10, s8
	v_mov_b32_e32 v12, s17
	s_movk_i32 s15, 0x89
	s_branch .LBB95_33
.LBB95_32:                              ;   in Loop: Header=BB95_33 Depth=1
	s_or_b64 exec, exec, s[8:9]
	v_add_co_u32_e32 v2, vcc, 0x100, v2
	v_addc_co_u32_e32 v3, vcc, 0, v3, vcc
	v_cmp_le_i64_e32 vcc, s[2:3], v[2:3]
	s_or_b64 s[6:7], vcc, s[6:7]
	s_andn2_b64 exec, exec, s[6:7]
	s_cbranch_execz .LBB95_45
.LBB95_33:                              ; =>This Loop Header: Depth=1
                                        ;     Child Loop BB95_35 Depth 2
	v_lshlrev_b64 v[4:5], 3, v[2:3]
	v_add_co_u32_e32 v4, vcc, s14, v4
	v_addc_co_u32_e32 v5, vcc, v7, v5, vcc
	v_lshlrev_b64 v[8:9], 2, v[2:3]
	v_add_co_u32_e32 v8, vcc, s16, v8
	global_load_dwordx2 v[4:5], v[4:5], off
	v_addc_co_u32_e32 v9, vcc, v12, v9, vcc
	global_load_dword v6, v[8:9], off
	s_mov_b64 s[8:9], 0
	s_waitcnt vmcnt(1)
	v_subrev_co_u32_e32 v4, vcc, s26, v4
	v_subb_co_u32_e32 v5, vcc, v5, v10, vcc
	s_waitcnt vmcnt(0)
	v_mul_f32_e32 v13, v14, v6
	v_mul_lo_u32 v6, v4, s15
	v_and_b32_e32 v6, 0x1ff, v6
	s_branch .LBB95_35
.LBB95_34:                              ;   in Loop: Header=BB95_35 Depth=2
	s_or_b64 exec, exec, s[10:11]
	s_xor_b64 s[10:11], s[12:13], -1
	s_and_b64 s[10:11], exec, s[10:11]
	s_or_b64 s[8:9], s[10:11], s[8:9]
	s_andn2_b64 exec, exec, s[8:9]
	s_cbranch_execz .LBB95_32
.LBB95_35:                              ;   Parent Loop BB95_33 Depth=1
                                        ; =>  This Inner Loop Header: Depth=2
	v_lshl_add_u32 v16, v6, 3, 0
	ds_read_b64 v[8:9], v16
                                        ; implicit-def: $sgpr12_sgpr13
	s_waitcnt lgkmcnt(0)
	v_cmp_ne_u64_e32 vcc, v[8:9], v[4:5]
	s_and_saveexec_b64 s[10:11], vcc
	s_xor_b64 s[10:11], exec, s[10:11]
	s_cbranch_execz .LBB95_43
; %bb.36:                               ;   in Loop: Header=BB95_35 Depth=2
	v_cmp_ne_u64_e32 vcc, s[40:41], v[8:9]
                                        ; implicit-def: $sgpr12_sgpr13
	s_and_saveexec_b64 s[20:21], vcc
	s_xor_b64 s[20:21], exec, s[20:21]
; %bb.37:                               ;   in Loop: Header=BB95_35 Depth=2
	v_add_u32_e32 v6, 1, v6
	v_and_b32_e32 v6, 0x1ff, v6
	s_mov_b64 s[12:13], -1
                                        ; implicit-def: $vgpr16
; %bb.38:                               ;   in Loop: Header=BB95_35 Depth=2
	s_andn2_saveexec_b64 s[20:21], s[20:21]
	s_cbranch_execz .LBB95_42
; %bb.39:                               ;   in Loop: Header=BB95_35 Depth=2
	v_pk_mov_b32 v[8:9], s[40:41], s[40:41] op_sel:[0,1]
	ds_cmpst_rtn_b64 v[8:9], v16, v[8:9], v[4:5]
	s_mov_b64 s[22:23], -1
	s_waitcnt lgkmcnt(0)
	v_cmp_eq_u64_e32 vcc, s[40:41], v[8:9]
	s_and_saveexec_b64 s[24:25], vcc
	s_cbranch_execz .LBB95_41
; %bb.40:                               ;   in Loop: Header=BB95_35 Depth=2
	v_lshlrev_b32_e32 v8, 2, v6
	v_sub_u32_e32 v8, v16, v8
	ds_add_f32 v8, v13 offset:4096
	s_xor_b64 s[22:23], exec, -1
.LBB95_41:                              ;   in Loop: Header=BB95_35 Depth=2
	s_or_b64 exec, exec, s[24:25]
	s_andn2_b64 s[12:13], s[12:13], exec
	s_and_b64 s[22:23], s[22:23], exec
	s_or_b64 s[12:13], s[12:13], s[22:23]
.LBB95_42:                              ;   in Loop: Header=BB95_35 Depth=2
	s_or_b64 exec, exec, s[20:21]
	s_and_b64 s[12:13], s[12:13], exec
                                        ; implicit-def: $vgpr16
.LBB95_43:                              ;   in Loop: Header=BB95_35 Depth=2
	s_andn2_saveexec_b64 s[10:11], s[10:11]
	s_cbranch_execz .LBB95_34
; %bb.44:                               ;   in Loop: Header=BB95_35 Depth=2
	v_lshlrev_b32_e32 v8, 2, v6
	v_sub_u32_e32 v8, v16, v8
	ds_add_f32 v8, v13 offset:4096
	s_andn2_b64 s[12:13], s[12:13], exec
	s_branch .LBB95_34
.LBB95_45:
	s_or_b64 exec, exec, s[4:5]
.LBB95_46:
	s_waitcnt lgkmcnt(0)
	s_barrier
	s_and_saveexec_b64 s[16:17], s[0:1]
	s_cbranch_execz .LBB95_67
; %bb.47:
	v_mbcnt_lo_u32_b32 v2, -1, 0
	v_mbcnt_hi_u32_b32 v2, -1, v2
	v_sub_u32_e32 v2, 63, v2
	s_movk_i32 s0, 0xff
	s_movk_i32 s6, 0x5f
	;; [unrolled: 1-line block ×6, first 2 shown]
	v_mov_b32_e32 v3, 0
	v_lshrrev_b64 v[4:5], v2, -1
	v_lshl_add_u32 v12, v15, 3, 0
	v_cmp_eq_u32_e64 s[0:1], s0, v0
	v_cmp_lt_u32_e64 s[2:3], 31, v0
	v_cmp_lt_u32_e64 s[4:5], 63, v0
	v_cmp_lt_u32_e64 s[6:7], s6, v0
	v_cmp_lt_u32_e64 s[8:9], s8, v0
	v_cmp_lt_u32_e64 s[10:11], s10, v0
	v_cmp_lt_u32_e64 s[12:13], s12, v0
	v_cmp_lt_u32_e64 s[14:15], s14, v0
	v_add_u32_e32 v13, 0x1000, v11
	v_or_b32_e32 v14, 0xffffff00, v0
	s_mov_b64 s[20:21], 0
	v_pk_mov_b32 v[6:7], 0, 0
	s_branch .LBB95_49
.LBB95_48:                              ;   in Loop: Header=BB95_49 Depth=1
	s_or_b64 exec, exec, s[22:23]
	s_waitcnt lgkmcnt(0)
	s_barrier
	ds_read_b64 v[8:9], v3 offset:6200
	v_add_u32_e32 v13, 0x400, v13
	v_add_u32_e32 v1, 0x800, v1
	s_waitcnt lgkmcnt(0)
	v_add_co_u32_e32 v6, vcc, v8, v6
	v_addc_co_u32_e32 v7, vcc, v9, v7, vcc
	v_add_co_u32_e32 v14, vcc, 0x100, v14
	s_xor_b64 s[22:23], vcc, -1
	s_and_b64 s[22:23], exec, s[22:23]
	s_or_b64 s[20:21], s[22:23], s[20:21]
	s_andn2_b64 exec, exec, s[20:21]
	s_cbranch_execz .LBB95_67
.LBB95_49:                              ; =>This Inner Loop Header: Depth=1
	ds_read_b64 v[8:9], v1
	ds_read_b32 v15, v13
	s_waitcnt lgkmcnt(0)
	s_barrier
	v_cmp_gt_i64_e32 vcc, s[40:41], v[8:9]
	v_and_b32_e32 v11, vcc_lo, v4
	s_bcnt1_i32_b64 s22, vcc
	v_and_b32_e32 v10, vcc_hi, v5
	v_bcnt_u32_b32 v11, v11, 0
	v_mov_b32_e32 v2, s22
	v_bcnt_u32_b32 v10, v10, v11
	ds_write_b64 v12, v[2:3] offset:6144
	s_waitcnt lgkmcnt(0)
	s_barrier
	s_and_saveexec_b64 s[22:23], s[2:3]
	s_cbranch_execnz .LBB95_58
; %bb.50:                               ;   in Loop: Header=BB95_49 Depth=1
	s_or_b64 exec, exec, s[22:23]
	s_and_saveexec_b64 s[22:23], s[4:5]
	s_cbranch_execnz .LBB95_59
.LBB95_51:                              ;   in Loop: Header=BB95_49 Depth=1
	s_or_b64 exec, exec, s[22:23]
	s_and_saveexec_b64 s[22:23], s[6:7]
	s_cbranch_execnz .LBB95_60
.LBB95_52:                              ;   in Loop: Header=BB95_49 Depth=1
	s_or_b64 exec, exec, s[22:23]
	s_and_saveexec_b64 s[22:23], s[8:9]
	s_cbranch_execnz .LBB95_61
.LBB95_53:                              ;   in Loop: Header=BB95_49 Depth=1
	s_or_b64 exec, exec, s[22:23]
	s_and_saveexec_b64 s[22:23], s[10:11]
	s_cbranch_execnz .LBB95_62
.LBB95_54:                              ;   in Loop: Header=BB95_49 Depth=1
	s_or_b64 exec, exec, s[22:23]
	s_and_saveexec_b64 s[22:23], s[12:13]
	s_cbranch_execnz .LBB95_63
.LBB95_55:                              ;   in Loop: Header=BB95_49 Depth=1
	s_or_b64 exec, exec, s[22:23]
	s_and_saveexec_b64 s[22:23], s[14:15]
	s_cbranch_execnz .LBB95_64
.LBB95_56:                              ;   in Loop: Header=BB95_49 Depth=1
	s_or_b64 exec, exec, s[22:23]
	v_ashrrev_i32_e32 v11, 31, v10
	s_and_saveexec_b64 s[22:23], vcc
	s_cbranch_execnz .LBB95_65
.LBB95_57:                              ;   in Loop: Header=BB95_49 Depth=1
	s_or_b64 exec, exec, s[22:23]
	s_and_saveexec_b64 s[22:23], s[0:1]
	s_cbranch_execz .LBB95_48
	s_branch .LBB95_66
.LBB95_58:                              ;   in Loop: Header=BB95_49 Depth=1
	ds_read_b32 v2, v3 offset:6144
	s_waitcnt lgkmcnt(0)
	v_add_u32_e32 v10, v2, v10
	s_or_b64 exec, exec, s[22:23]
	s_and_saveexec_b64 s[22:23], s[4:5]
	s_cbranch_execz .LBB95_51
.LBB95_59:                              ;   in Loop: Header=BB95_49 Depth=1
	ds_read_b32 v2, v3 offset:6152
	s_waitcnt lgkmcnt(0)
	v_add_u32_e32 v10, v10, v2
	s_or_b64 exec, exec, s[22:23]
	s_and_saveexec_b64 s[22:23], s[6:7]
	s_cbranch_execz .LBB95_52
.LBB95_60:                              ;   in Loop: Header=BB95_49 Depth=1
	ds_read_b32 v2, v3 offset:6160
	s_waitcnt lgkmcnt(0)
	v_add_u32_e32 v10, v10, v2
	s_or_b64 exec, exec, s[22:23]
	s_and_saveexec_b64 s[22:23], s[8:9]
	s_cbranch_execz .LBB95_53
.LBB95_61:                              ;   in Loop: Header=BB95_49 Depth=1
	ds_read_b32 v2, v3 offset:6168
	s_waitcnt lgkmcnt(0)
	v_add_u32_e32 v10, v10, v2
	s_or_b64 exec, exec, s[22:23]
	s_and_saveexec_b64 s[22:23], s[10:11]
	s_cbranch_execz .LBB95_54
.LBB95_62:                              ;   in Loop: Header=BB95_49 Depth=1
	ds_read_b32 v2, v3 offset:6176
	s_waitcnt lgkmcnt(0)
	v_add_u32_e32 v10, v10, v2
	s_or_b64 exec, exec, s[22:23]
	s_and_saveexec_b64 s[22:23], s[12:13]
	s_cbranch_execz .LBB95_55
.LBB95_63:                              ;   in Loop: Header=BB95_49 Depth=1
	ds_read_b32 v2, v3 offset:6184
	s_waitcnt lgkmcnt(0)
	v_add_u32_e32 v10, v10, v2
	s_or_b64 exec, exec, s[22:23]
	s_and_saveexec_b64 s[22:23], s[14:15]
	s_cbranch_execz .LBB95_56
.LBB95_64:                              ;   in Loop: Header=BB95_49 Depth=1
	ds_read_b32 v2, v3 offset:6192
	s_waitcnt lgkmcnt(0)
	v_add_u32_e32 v10, v10, v2
	s_or_b64 exec, exec, s[22:23]
	v_ashrrev_i32_e32 v11, 31, v10
	s_and_saveexec_b64 s[22:23], vcc
	s_cbranch_execz .LBB95_57
.LBB95_65:                              ;   in Loop: Header=BB95_49 Depth=1
	v_add3_u32 v2, v6, -1, v10
	v_lshl_add_u32 v16, v2, 3, 0
	v_lshl_add_u32 v2, v2, 2, 0
	ds_write_b64 v16, v[8:9]
	ds_write_b32 v2, v15 offset:4096
	s_or_b64 exec, exec, s[22:23]
	s_and_saveexec_b64 s[22:23], s[0:1]
	s_cbranch_execz .LBB95_48
.LBB95_66:                              ;   in Loop: Header=BB95_49 Depth=1
	ds_write_b64 v3, v[10:11] offset:6200
	s_branch .LBB95_48
.LBB95_67:
	s_or_b64 exec, exec, s[16:17]
	s_lshl_b64 s[0:1], s[34:35], 3
	s_add_u32 s0, s18, s0
	s_addc_u32 s1, s19, s1
	s_load_dwordx4 s[0:3], s[0:1], 0x0
	v_mov_b32_e32 v1, 0
	s_waitcnt lgkmcnt(0)
	s_sub_u32 s4, s2, s0
	s_subb_u32 s5, s3, s1
	v_cmp_gt_i64_e32 vcc, s[4:5], v[0:1]
	s_and_saveexec_b64 s[6:7], vcc
	s_cbranch_execz .LBB95_77
; %bb.68:
	s_sub_u32 s6, s0, s30
	s_subb_u32 s7, s1, 0
	s_and_b32 s8, s4, 7
	s_sub_u32 s0, s0, s2
	s_mov_b32 s16, 0
	s_subb_u32 s1, s1, s3
	s_mov_b32 s9, s16
	s_and_b32 s2, s4, -8
	v_cmp_lt_u64_e64 s[0:1], s[0:1], -7
	s_cmp_lg_u64 s[8:9], 0
	v_cndmask_b32_e64 v2, 0, 1, s[0:1]
	s_mov_b32 s3, s5
	s_mov_b64 s[10:11], 0
	s_cselect_b64 s[12:13], -1, 0
	v_cmp_ne_u32_e64 s[0:1], 1, v2
	s_branch .LBB95_70
.LBB95_69:                              ;   in Loop: Header=BB95_70 Depth=1
	v_mov_b32_e32 v7, s16
	s_waitcnt lgkmcnt(1)
	v_add_co_u32_e32 v2, vcc, s30, v2
	v_addc_co_u32_e32 v3, vcc, v3, v7, vcc
	v_lshlrev_b64 v[8:9], 3, v[4:5]
	v_mov_b32_e32 v7, s37
	v_add_co_u32_e32 v8, vcc, s36, v8
	v_addc_co_u32_e32 v9, vcc, v7, v9, vcc
	global_store_dwordx2 v[8:9], v[2:3], off
	v_lshlrev_b64 v[2:3], 2, v[4:5]
	v_mov_b32_e32 v4, s39
	v_add_co_u32_e32 v2, vcc, s38, v2
	v_addc_co_u32_e32 v3, vcc, v4, v3, vcc
	v_add_co_u32_e32 v0, vcc, 0x100, v0
	v_addc_co_u32_e32 v1, vcc, 0, v1, vcc
	v_cmp_le_i64_e32 vcc, s[4:5], v[0:1]
	s_or_b64 s[10:11], vcc, s[10:11]
	s_waitcnt lgkmcnt(0)
	global_store_dword v[2:3], v6, off
	s_andn2_b64 exec, exec, s[10:11]
	s_cbranch_execz .LBB95_77
.LBB95_70:                              ; =>This Loop Header: Depth=1
                                        ;     Child Loop BB95_72 Depth 2
                                        ;     Child Loop BB95_76 Depth 2
	v_lshl_add_u32 v2, v0, 3, 0
	v_lshlrev_b32_e32 v3, 2, v0
	v_sub_u32_e32 v4, v2, v3
	ds_read_b64 v[2:3], v2
	ds_read_b32 v6, v4 offset:4096
	s_and_b64 vcc, exec, s[0:1]
	v_pk_mov_b32 v[4:5], s[6:7], s[6:7] op_sel:[0,1]
	s_mov_b64 s[14:15], 0
	s_cbranch_vccnz .LBB95_74
; %bb.71:                               ;   in Loop: Header=BB95_70 Depth=1
	s_mov_b32 s17, 0
	v_pk_mov_b32 v[4:5], s[6:7], s[6:7] op_sel:[0,1]
.LBB95_72:                              ;   Parent Loop BB95_70 Depth=1
                                        ; =>  This Inner Loop Header: Depth=2
	v_mov_b32_e32 v7, s17
	ds_read2_b64 v[8:11], v7 offset1:1
	ds_read2_b64 v[12:15], v7 offset0:2 offset1:3
	ds_read2_b64 v[16:19], v7 offset0:4 offset1:5
	;; [unrolled: 1-line block ×3, first 2 shown]
	s_add_u32 s14, s14, 8
	s_waitcnt lgkmcnt(3)
	v_cmp_gt_i64_e32 vcc, v[2:3], v[8:9]
	v_cndmask_b32_e64 v7, 0, 1, vcc
	v_cmp_gt_i64_e32 vcc, v[2:3], v[10:11]
	v_cndmask_b32_e64 v8, 0, 1, vcc
	s_waitcnt lgkmcnt(2)
	v_cmp_gt_i64_e32 vcc, v[2:3], v[12:13]
	v_cndmask_b32_e64 v9, 0, 1, vcc
	v_cmp_gt_i64_e32 vcc, v[2:3], v[14:15]
	v_cndmask_b32_e64 v10, 0, 1, vcc
	;; [unrolled: 5-line block ×4, first 2 shown]
	v_add_co_u32_e32 v4, vcc, v4, v7
	v_addc_co_u32_e32 v5, vcc, 0, v5, vcc
	v_add_co_u32_e32 v4, vcc, v4, v8
	v_addc_co_u32_e32 v5, vcc, 0, v5, vcc
	;; [unrolled: 2-line block ×7, first 2 shown]
	s_addc_u32 s15, s15, 0
	s_add_i32 s17, s17, 64
	v_add_co_u32_e32 v4, vcc, v4, v14
	s_cmp_eq_u64 s[2:3], s[14:15]
	v_addc_co_u32_e32 v5, vcc, 0, v5, vcc
	s_cbranch_scc0 .LBB95_72
; %bb.73:                               ;   in Loop: Header=BB95_70 Depth=1
	s_mov_b64 s[14:15], s[2:3]
.LBB95_74:                              ;   in Loop: Header=BB95_70 Depth=1
	s_andn2_b64 vcc, exec, s[12:13]
	s_cbranch_vccnz .LBB95_69
; %bb.75:                               ;   in Loop: Header=BB95_70 Depth=1
	s_lshl_b32 s14, s14, 3
	s_add_i32 s17, s14, 0
	s_mov_b64 s[14:15], s[8:9]
.LBB95_76:                              ;   Parent Loop BB95_70 Depth=1
                                        ; =>  This Inner Loop Header: Depth=2
	v_mov_b32_e32 v7, s17
	ds_read_b64 v[8:9], v7
	s_add_i32 s17, s17, 8
	s_add_u32 s14, s14, -1
	s_addc_u32 s15, s15, -1
	s_cmp_lg_u64 s[14:15], 0
	s_waitcnt lgkmcnt(0)
	v_cmp_gt_i64_e32 vcc, v[2:3], v[8:9]
	v_cndmask_b32_e64 v7, 0, 1, vcc
	v_add_co_u32_e32 v4, vcc, v4, v7
	v_addc_co_u32_e32 v5, vcc, 0, v5, vcc
	s_cbranch_scc1 .LBB95_76
	s_branch .LBB95_69
.LBB95_77:
	s_endpgm
	.section	.rodata,"a",@progbits
	.p2align	6, 0x0
	.amdhsa_kernel _ZN9rocsparseL26csrgemm_fill_block_per_rowILj256ELj32ELj512ELj137ELj32EllfEEvT5_PKS1_S3_NS_24const_host_device_scalarIT6_EEPKT4_S3_PKS5_S9_S3_SB_S6_S9_S3_SB_S9_PS1_PS5_21rocsparse_index_base_SE_SE_SE_bbb
		.amdhsa_group_segment_fixed_size 0
		.amdhsa_private_segment_fixed_size 0
		.amdhsa_kernarg_size 156
		.amdhsa_user_sgpr_count 6
		.amdhsa_user_sgpr_private_segment_buffer 1
		.amdhsa_user_sgpr_dispatch_ptr 0
		.amdhsa_user_sgpr_queue_ptr 0
		.amdhsa_user_sgpr_kernarg_segment_ptr 1
		.amdhsa_user_sgpr_dispatch_id 0
		.amdhsa_user_sgpr_flat_scratch_init 0
		.amdhsa_user_sgpr_kernarg_preload_length 0
		.amdhsa_user_sgpr_kernarg_preload_offset 0
		.amdhsa_user_sgpr_private_segment_size 0
		.amdhsa_uses_dynamic_stack 0
		.amdhsa_system_sgpr_private_segment_wavefront_offset 0
		.amdhsa_system_sgpr_workgroup_id_x 1
		.amdhsa_system_sgpr_workgroup_id_y 0
		.amdhsa_system_sgpr_workgroup_id_z 0
		.amdhsa_system_sgpr_workgroup_info 0
		.amdhsa_system_vgpr_workitem_id 0
		.amdhsa_next_free_vgpr 26
		.amdhsa_next_free_sgpr 57
		.amdhsa_accum_offset 28
		.amdhsa_reserve_vcc 1
		.amdhsa_reserve_flat_scratch 0
		.amdhsa_float_round_mode_32 0
		.amdhsa_float_round_mode_16_64 0
		.amdhsa_float_denorm_mode_32 3
		.amdhsa_float_denorm_mode_16_64 3
		.amdhsa_dx10_clamp 1
		.amdhsa_ieee_mode 1
		.amdhsa_fp16_overflow 0
		.amdhsa_tg_split 0
		.amdhsa_exception_fp_ieee_invalid_op 0
		.amdhsa_exception_fp_denorm_src 0
		.amdhsa_exception_fp_ieee_div_zero 0
		.amdhsa_exception_fp_ieee_overflow 0
		.amdhsa_exception_fp_ieee_underflow 0
		.amdhsa_exception_fp_ieee_inexact 0
		.amdhsa_exception_int_div_zero 0
	.end_amdhsa_kernel
	.section	.text._ZN9rocsparseL26csrgemm_fill_block_per_rowILj256ELj32ELj512ELj137ELj32EllfEEvT5_PKS1_S3_NS_24const_host_device_scalarIT6_EEPKT4_S3_PKS5_S9_S3_SB_S6_S9_S3_SB_S9_PS1_PS5_21rocsparse_index_base_SE_SE_SE_bbb,"axG",@progbits,_ZN9rocsparseL26csrgemm_fill_block_per_rowILj256ELj32ELj512ELj137ELj32EllfEEvT5_PKS1_S3_NS_24const_host_device_scalarIT6_EEPKT4_S3_PKS5_S9_S3_SB_S6_S9_S3_SB_S9_PS1_PS5_21rocsparse_index_base_SE_SE_SE_bbb,comdat
.Lfunc_end95:
	.size	_ZN9rocsparseL26csrgemm_fill_block_per_rowILj256ELj32ELj512ELj137ELj32EllfEEvT5_PKS1_S3_NS_24const_host_device_scalarIT6_EEPKT4_S3_PKS5_S9_S3_SB_S6_S9_S3_SB_S9_PS1_PS5_21rocsparse_index_base_SE_SE_SE_bbb, .Lfunc_end95-_ZN9rocsparseL26csrgemm_fill_block_per_rowILj256ELj32ELj512ELj137ELj32EllfEEvT5_PKS1_S3_NS_24const_host_device_scalarIT6_EEPKT4_S3_PKS5_S9_S3_SB_S6_S9_S3_SB_S9_PS1_PS5_21rocsparse_index_base_SE_SE_SE_bbb
                                        ; -- End function
	.section	.AMDGPU.csdata,"",@progbits
; Kernel info:
; codeLenInByte = 2816
; NumSgprs: 61
; NumVgprs: 26
; NumAgprs: 0
; TotalNumVgprs: 26
; ScratchSize: 0
; MemoryBound: 0
; FloatMode: 240
; IeeeMode: 1
; LDSByteSize: 0 bytes/workgroup (compile time only)
; SGPRBlocks: 7
; VGPRBlocks: 3
; NumSGPRsForWavesPerEU: 61
; NumVGPRsForWavesPerEU: 26
; AccumOffset: 28
; Occupancy: 8
; WaveLimiterHint : 1
; COMPUTE_PGM_RSRC2:SCRATCH_EN: 0
; COMPUTE_PGM_RSRC2:USER_SGPR: 6
; COMPUTE_PGM_RSRC2:TRAP_HANDLER: 0
; COMPUTE_PGM_RSRC2:TGID_X_EN: 1
; COMPUTE_PGM_RSRC2:TGID_Y_EN: 0
; COMPUTE_PGM_RSRC2:TGID_Z_EN: 0
; COMPUTE_PGM_RSRC2:TIDIG_COMP_CNT: 0
; COMPUTE_PGM_RSRC3_GFX90A:ACCUM_OFFSET: 6
; COMPUTE_PGM_RSRC3_GFX90A:TG_SPLIT: 0
	.section	.text._ZN9rocsparseL26csrgemm_fill_block_per_rowILj256ELj32ELj512ELj137ELj64EllfEEvT5_PKS1_S3_NS_24const_host_device_scalarIT6_EEPKT4_S3_PKS5_S9_S3_SB_S6_S9_S3_SB_S9_PS1_PS5_21rocsparse_index_base_SE_SE_SE_bbb,"axG",@progbits,_ZN9rocsparseL26csrgemm_fill_block_per_rowILj256ELj32ELj512ELj137ELj64EllfEEvT5_PKS1_S3_NS_24const_host_device_scalarIT6_EEPKT4_S3_PKS5_S9_S3_SB_S6_S9_S3_SB_S9_PS1_PS5_21rocsparse_index_base_SE_SE_SE_bbb,comdat
	.globl	_ZN9rocsparseL26csrgemm_fill_block_per_rowILj256ELj32ELj512ELj137ELj64EllfEEvT5_PKS1_S3_NS_24const_host_device_scalarIT6_EEPKT4_S3_PKS5_S9_S3_SB_S6_S9_S3_SB_S9_PS1_PS5_21rocsparse_index_base_SE_SE_SE_bbb ; -- Begin function _ZN9rocsparseL26csrgemm_fill_block_per_rowILj256ELj32ELj512ELj137ELj64EllfEEvT5_PKS1_S3_NS_24const_host_device_scalarIT6_EEPKT4_S3_PKS5_S9_S3_SB_S6_S9_S3_SB_S9_PS1_PS5_21rocsparse_index_base_SE_SE_SE_bbb
	.p2align	8
	.type	_ZN9rocsparseL26csrgemm_fill_block_per_rowILj256ELj32ELj512ELj137ELj64EllfEEvT5_PKS1_S3_NS_24const_host_device_scalarIT6_EEPKT4_S3_PKS5_S9_S3_SB_S6_S9_S3_SB_S9_PS1_PS5_21rocsparse_index_base_SE_SE_SE_bbb,@function
_ZN9rocsparseL26csrgemm_fill_block_per_rowILj256ELj32ELj512ELj137ELj64EllfEEvT5_PKS1_S3_NS_24const_host_device_scalarIT6_EEPKT4_S3_PKS5_S9_S3_SB_S6_S9_S3_SB_S9_PS1_PS5_21rocsparse_index_base_SE_SE_SE_bbb: ; @_ZN9rocsparseL26csrgemm_fill_block_per_rowILj256ELj32ELj512ELj137ELj64EllfEEvT5_PKS1_S3_NS_24const_host_device_scalarIT6_EEPKT4_S3_PKS5_S9_S3_SB_S6_S9_S3_SB_S9_PS1_PS5_21rocsparse_index_base_SE_SE_SE_bbb
; %bb.0:
	s_load_dword s7, s[4:5], 0x98
	s_load_dwordx2 s[2:3], s[4:5], 0x18
	s_load_dwordx2 s[0:1], s[4:5], 0x50
	s_waitcnt lgkmcnt(0)
	s_bitcmp1_b32 s7, 0
	s_cselect_b64 s[8:9], -1, 0
	s_bitcmp1_b32 s7, 16
	s_cselect_b64 s[10:11], -1, 0
	s_xor_b64 s[12:13], s[8:9], -1
	s_or_b64 s[12:13], s[12:13], s[10:11]
	s_and_b64 vcc, exec, s[12:13]
	s_cbranch_vccnz .LBB96_2
; %bb.1:
	s_load_dword s2, s[2:3], 0x0
	s_waitcnt lgkmcnt(0)
	v_mov_b32_e32 v15, s2
	s_branch .LBB96_3
.LBB96_2:
	v_mov_b32_e32 v1, s2
	v_cndmask_b32_e64 v15, 0, v1, s[8:9]
.LBB96_3:
	s_load_dwordx4 s[28:31], s[4:5], 0x88
	s_bitcmp1_b32 s7, 8
	s_cselect_b64 s[2:3], -1, 0
	s_xor_b64 s[12:13], s[2:3], -1
	s_or_b64 s[10:11], s[12:13], s[10:11]
	s_and_b64 vcc, exec, s[10:11]
	s_cbranch_vccnz .LBB96_5
; %bb.4:
	s_load_dword s0, s[0:1], 0x0
	s_waitcnt lgkmcnt(0)
	v_mov_b32_e32 v11, s0
	s_branch .LBB96_6
.LBB96_5:
	v_mov_b32_e32 v1, s0
	v_cndmask_b32_e64 v11, 0, v1, s[2:3]
.LBB96_6:
	s_load_dwordx4 s[36:39], s[4:5], 0x78
	s_load_dwordx8 s[12:19], s[4:5], 0x58
	s_load_dwordx4 s[44:47], s[4:5], 0x40
	s_load_dwordx4 s[40:43], s[4:5], 0x0
	s_load_dwordx2 s[10:11], s[4:5], 0x10
	s_load_dwordx8 s[20:27], s[4:5], 0x20
	s_movk_i32 s0, 0x200
	v_cmp_gt_u32_e64 s[0:1], s0, v0
	v_lshl_add_u32 v14, v0, 2, 0
	v_lshl_add_u32 v1, v0, 3, 0
	s_and_saveexec_b64 s[4:5], s[0:1]
	s_cbranch_execz .LBB96_9
; %bb.7:
	v_add_u32_e32 v4, 0x1000, v14
	v_or_b32_e32 v5, 0xffffff00, v0
	v_lshl_add_u32 v6, v0, 3, 0
	s_mov_b64 s[34:35], 0
	s_waitcnt lgkmcnt(0)
	v_pk_mov_b32 v[2:3], s[40:41], s[40:41] op_sel:[0,1]
	v_mov_b32_e32 v7, 0
.LBB96_8:                               ; =>This Inner Loop Header: Depth=1
	v_add_co_u32_e32 v5, vcc, 0x100, v5
	s_xor_b64 s[48:49], vcc, -1
	s_and_b64 s[48:49], exec, s[48:49]
	ds_write_b64 v6, v[2:3]
	ds_write_b32 v4, v7
	v_add_u32_e32 v4, 0x400, v4
	s_or_b64 s[34:35], s[48:49], s[34:35]
	v_add_u32_e32 v6, 0x800, v6
	s_andn2_b64 exec, exec, s[34:35]
	s_cbranch_execnz .LBB96_8
.LBB96_9:
	s_or_b64 exec, exec, s[4:5]
	s_waitcnt lgkmcnt(0)
	s_barrier
	s_load_dwordx2 s[4:5], s[42:43], 0x0
	s_mov_b32 s7, 0
	s_waitcnt lgkmcnt(0)
	s_lshl_b64 s[4:5], s[4:5], 3
	s_add_u32 s10, s10, s4
	s_addc_u32 s11, s11, s5
	s_lshl_b64 s[4:5], s[6:7], 3
	s_add_u32 s4, s10, s4
	s_addc_u32 s5, s11, s5
	s_load_dwordx2 s[10:11], s[4:5], 0x0
	s_and_b64 vcc, exec, s[8:9]
	s_cbranch_vccz .LBB96_29
; %bb.10:
	s_waitcnt lgkmcnt(0)
	s_lshl_b64 s[4:5], s[10:11], 3
	s_add_u32 s4, s20, s4
	s_addc_u32 s5, s21, s5
	s_load_dwordx4 s[48:51], s[4:5], 0x0
	v_lshrrev_b32_e32 v2, 5, v0
	v_subrev_co_u32_e32 v2, vcc, s28, v2
	v_subb_co_u32_e64 v3, s[8:9], 0, 0, vcc
	s_waitcnt lgkmcnt(0)
	s_sub_u32 s4, s50, s28
	v_mov_b32_e32 v4, s49
	v_add_co_u32_e32 v2, vcc, s48, v2
	s_subb_u32 s5, s51, 0
	v_addc_co_u32_e32 v3, vcc, v4, v3, vcc
	v_cmp_gt_i64_e32 vcc, s[4:5], v[2:3]
	s_and_saveexec_b64 s[8:9], vcc
	s_cbranch_execz .LBB96_28
; %bb.11:
	v_and_b32_e32 v4, 31, v0
	v_subrev_co_u32_e32 v16, vcc, s29, v4
	s_mov_b32 s6, 0
	v_subb_co_u32_e64 v17, s[20:21], 0, 0, vcc
	s_mov_b32 s33, s28
	s_mov_b32 s56, s29
	s_mov_b64 s[20:21], 0
	v_mov_b32_e32 v18, s23
	v_mov_b32_e32 v19, s7
	;; [unrolled: 1-line block ×4, first 2 shown]
	s_movk_i32 s23, 0x89
	s_branch .LBB96_13
.LBB96_12:                              ;   in Loop: Header=BB96_13 Depth=1
	s_or_b64 exec, exec, s[6:7]
	v_add_co_u32_e32 v2, vcc, 8, v2
	v_addc_co_u32_e32 v3, vcc, 0, v3, vcc
	v_cmp_le_i64_e32 vcc, s[4:5], v[2:3]
	s_or_b64 s[20:21], vcc, s[20:21]
	s_andn2_b64 exec, exec, s[20:21]
	s_cbranch_execz .LBB96_28
.LBB96_13:                              ; =>This Loop Header: Depth=1
                                        ;     Child Loop BB96_16 Depth 2
                                        ;       Child Loop BB96_18 Depth 3
	v_lshlrev_b64 v[4:5], 3, v[2:3]
	v_add_co_u32_e32 v4, vcc, s22, v4
	v_addc_co_u32_e32 v5, vcc, v18, v5, vcc
	global_load_dwordx2 v[4:5], v[4:5], off
	s_waitcnt vmcnt(0)
	v_subrev_co_u32_e32 v4, vcc, s33, v4
	v_subb_co_u32_e32 v5, vcc, v5, v19, vcc
	v_lshlrev_b64 v[4:5], 3, v[4:5]
	v_add_co_u32_e32 v4, vcc, s26, v4
	v_addc_co_u32_e32 v5, vcc, v20, v5, vcc
	global_load_dwordx4 v[6:9], v[4:5], off
	s_waitcnt vmcnt(0)
	v_subrev_co_u32_e32 v4, vcc, s56, v8
	v_subb_co_u32_e32 v5, vcc, v9, v21, vcc
	v_add_co_u32_e32 v6, vcc, v6, v16
	v_addc_co_u32_e32 v7, vcc, v7, v17, vcc
	v_cmp_lt_i64_e32 vcc, v[6:7], v[4:5]
	s_and_saveexec_b64 s[6:7], vcc
	s_cbranch_execz .LBB96_12
; %bb.14:                               ;   in Loop: Header=BB96_13 Depth=1
	v_lshlrev_b64 v[8:9], 2, v[2:3]
	v_mov_b32_e32 v10, s25
	v_add_co_u32_e32 v8, vcc, s24, v8
	v_addc_co_u32_e32 v9, vcc, v10, v9, vcc
	global_load_dword v8, v[8:9], off
	s_mov_b64 s[28:29], 0
	s_waitcnt vmcnt(0)
	v_mul_f32_e32 v22, v15, v8
	s_branch .LBB96_16
.LBB96_15:                              ;   in Loop: Header=BB96_16 Depth=2
	s_or_b64 exec, exec, s[34:35]
	v_add_co_u32_e32 v6, vcc, 32, v6
	v_addc_co_u32_e32 v7, vcc, 0, v7, vcc
	v_cmp_ge_i64_e32 vcc, v[6:7], v[4:5]
	s_or_b64 s[28:29], vcc, s[28:29]
	s_andn2_b64 exec, exec, s[28:29]
	s_cbranch_execz .LBB96_12
.LBB96_16:                              ;   Parent Loop BB96_13 Depth=1
                                        ; =>  This Loop Header: Depth=2
                                        ;       Child Loop BB96_18 Depth 3
	v_lshlrev_b64 v[8:9], 3, v[6:7]
	v_mov_b32_e32 v10, s45
	v_add_co_u32_e32 v8, vcc, s44, v8
	v_addc_co_u32_e32 v9, vcc, v10, v9, vcc
	v_lshlrev_b64 v[12:13], 2, v[6:7]
	v_mov_b32_e32 v10, s47
	v_add_co_u32_e32 v12, vcc, s46, v12
	global_load_dwordx2 v[8:9], v[8:9], off
	v_addc_co_u32_e32 v13, vcc, v10, v13, vcc
	global_load_dword v10, v[12:13], off
	s_mov_b64 s[34:35], 0
	s_waitcnt vmcnt(1)
	v_subrev_co_u32_e32 v8, vcc, s56, v8
	v_subb_co_u32_e32 v9, vcc, v9, v21, vcc
	s_waitcnt vmcnt(0)
	v_mul_f32_e32 v23, v22, v10
	v_mul_lo_u32 v10, v8, s23
	v_and_b32_e32 v10, 0x1ff, v10
	s_branch .LBB96_18
.LBB96_17:                              ;   in Loop: Header=BB96_18 Depth=3
	s_or_b64 exec, exec, s[42:43]
	s_xor_b64 s[42:43], s[48:49], -1
	s_and_b64 s[42:43], exec, s[42:43]
	s_or_b64 s[34:35], s[42:43], s[34:35]
	s_andn2_b64 exec, exec, s[34:35]
	s_cbranch_execz .LBB96_15
.LBB96_18:                              ;   Parent Loop BB96_13 Depth=1
                                        ;     Parent Loop BB96_16 Depth=2
                                        ; =>    This Inner Loop Header: Depth=3
	v_lshl_add_u32 v24, v10, 3, 0
	ds_read_b64 v[12:13], v24
                                        ; implicit-def: $sgpr48_sgpr49
	s_waitcnt lgkmcnt(0)
	v_cmp_ne_u64_e32 vcc, v[12:13], v[8:9]
	s_and_saveexec_b64 s[42:43], vcc
	s_xor_b64 s[42:43], exec, s[42:43]
	s_cbranch_execz .LBB96_26
; %bb.19:                               ;   in Loop: Header=BB96_18 Depth=3
	v_cmp_ne_u64_e32 vcc, s[40:41], v[12:13]
                                        ; implicit-def: $sgpr48_sgpr49
	s_and_saveexec_b64 s[50:51], vcc
	s_xor_b64 s[50:51], exec, s[50:51]
; %bb.20:                               ;   in Loop: Header=BB96_18 Depth=3
	v_add_u32_e32 v10, 1, v10
	v_and_b32_e32 v10, 0x1ff, v10
	s_mov_b64 s[48:49], -1
                                        ; implicit-def: $vgpr24
; %bb.21:                               ;   in Loop: Header=BB96_18 Depth=3
	s_andn2_saveexec_b64 s[50:51], s[50:51]
	s_cbranch_execz .LBB96_25
; %bb.22:                               ;   in Loop: Header=BB96_18 Depth=3
	v_pk_mov_b32 v[12:13], s[40:41], s[40:41] op_sel:[0,1]
	ds_cmpst_rtn_b64 v[12:13], v24, v[12:13], v[8:9]
	s_mov_b64 s[52:53], -1
	s_waitcnt lgkmcnt(0)
	v_cmp_eq_u64_e32 vcc, s[40:41], v[12:13]
	s_and_saveexec_b64 s[54:55], vcc
	s_cbranch_execz .LBB96_24
; %bb.23:                               ;   in Loop: Header=BB96_18 Depth=3
	v_lshlrev_b32_e32 v12, 2, v10
	v_sub_u32_e32 v12, v24, v12
	ds_add_f32 v12, v23 offset:4096
	s_xor_b64 s[52:53], exec, -1
.LBB96_24:                              ;   in Loop: Header=BB96_18 Depth=3
	s_or_b64 exec, exec, s[54:55]
	s_andn2_b64 s[48:49], s[48:49], exec
	s_and_b64 s[52:53], s[52:53], exec
	s_or_b64 s[48:49], s[48:49], s[52:53]
.LBB96_25:                              ;   in Loop: Header=BB96_18 Depth=3
	s_or_b64 exec, exec, s[50:51]
	s_and_b64 s[48:49], s[48:49], exec
                                        ; implicit-def: $vgpr24
.LBB96_26:                              ;   in Loop: Header=BB96_18 Depth=3
	s_andn2_saveexec_b64 s[42:43], s[42:43]
	s_cbranch_execz .LBB96_17
; %bb.27:                               ;   in Loop: Header=BB96_18 Depth=3
	v_lshlrev_b32_e32 v12, 2, v10
	v_sub_u32_e32 v12, v24, v12
	ds_add_f32 v12, v23 offset:4096
	s_andn2_b64 s[48:49], s[48:49], exec
	s_branch .LBB96_17
.LBB96_28:
	s_or_b64 exec, exec, s[8:9]
.LBB96_29:
	s_andn2_b64 vcc, exec, s[2:3]
	s_cbranch_vccnz .LBB96_46
; %bb.30:
	s_waitcnt lgkmcnt(0)
	s_lshl_b64 s[2:3], s[10:11], 3
	s_add_u32 s2, s12, s2
	s_addc_u32 s3, s13, s3
	s_load_dwordx4 s[4:7], s[2:3], 0x0
	v_subrev_co_u32_e32 v2, vcc, s31, v0
	s_mov_b32 s8, 0
	s_waitcnt lgkmcnt(0)
	s_sub_u32 s2, s6, s31
	s_subb_u32 s3, s7, 0
	v_subb_co_u32_e64 v3, s[6:7], 0, 0, vcc
	v_mov_b32_e32 v4, s5
	v_add_co_u32_e32 v2, vcc, s4, v2
	v_addc_co_u32_e32 v3, vcc, v4, v3, vcc
	v_cmp_gt_i64_e32 vcc, s[2:3], v[2:3]
	s_and_saveexec_b64 s[4:5], vcc
	s_cbranch_execz .LBB96_45
; %bb.31:
	s_mov_b32 s28, s31
	s_mov_b64 s[6:7], 0
	v_mov_b32_e32 v7, s15
	v_mov_b32_e32 v10, s8
	;; [unrolled: 1-line block ×3, first 2 shown]
	s_movk_i32 s15, 0x89
	s_branch .LBB96_33
.LBB96_32:                              ;   in Loop: Header=BB96_33 Depth=1
	s_or_b64 exec, exec, s[8:9]
	v_add_co_u32_e32 v2, vcc, 0x100, v2
	v_addc_co_u32_e32 v3, vcc, 0, v3, vcc
	v_cmp_le_i64_e32 vcc, s[2:3], v[2:3]
	s_or_b64 s[6:7], vcc, s[6:7]
	s_andn2_b64 exec, exec, s[6:7]
	s_cbranch_execz .LBB96_45
.LBB96_33:                              ; =>This Loop Header: Depth=1
                                        ;     Child Loop BB96_35 Depth 2
	v_lshlrev_b64 v[4:5], 3, v[2:3]
	v_add_co_u32_e32 v4, vcc, s14, v4
	v_addc_co_u32_e32 v5, vcc, v7, v5, vcc
	v_lshlrev_b64 v[8:9], 2, v[2:3]
	v_add_co_u32_e32 v8, vcc, s16, v8
	global_load_dwordx2 v[4:5], v[4:5], off
	v_addc_co_u32_e32 v9, vcc, v12, v9, vcc
	global_load_dword v6, v[8:9], off
	s_mov_b64 s[8:9], 0
	s_waitcnt vmcnt(1)
	v_subrev_co_u32_e32 v4, vcc, s28, v4
	v_subb_co_u32_e32 v5, vcc, v5, v10, vcc
	s_waitcnt vmcnt(0)
	v_mul_f32_e32 v13, v11, v6
	v_mul_lo_u32 v6, v4, s15
	v_and_b32_e32 v6, 0x1ff, v6
	s_branch .LBB96_35
.LBB96_34:                              ;   in Loop: Header=BB96_35 Depth=2
	s_or_b64 exec, exec, s[12:13]
	s_xor_b64 s[12:13], s[20:21], -1
	s_and_b64 s[12:13], exec, s[12:13]
	s_or_b64 s[8:9], s[12:13], s[8:9]
	s_andn2_b64 exec, exec, s[8:9]
	s_cbranch_execz .LBB96_32
.LBB96_35:                              ;   Parent Loop BB96_33 Depth=1
                                        ; =>  This Inner Loop Header: Depth=2
	v_lshl_add_u32 v15, v6, 3, 0
	ds_read_b64 v[8:9], v15
                                        ; implicit-def: $sgpr20_sgpr21
	s_waitcnt lgkmcnt(0)
	v_cmp_ne_u64_e32 vcc, v[8:9], v[4:5]
	s_and_saveexec_b64 s[12:13], vcc
	s_xor_b64 s[12:13], exec, s[12:13]
	s_cbranch_execz .LBB96_43
; %bb.36:                               ;   in Loop: Header=BB96_35 Depth=2
	v_cmp_ne_u64_e32 vcc, s[40:41], v[8:9]
                                        ; implicit-def: $sgpr20_sgpr21
	s_and_saveexec_b64 s[22:23], vcc
	s_xor_b64 s[22:23], exec, s[22:23]
; %bb.37:                               ;   in Loop: Header=BB96_35 Depth=2
	v_add_u32_e32 v6, 1, v6
	v_and_b32_e32 v6, 0x1ff, v6
	s_mov_b64 s[20:21], -1
                                        ; implicit-def: $vgpr15
; %bb.38:                               ;   in Loop: Header=BB96_35 Depth=2
	s_andn2_saveexec_b64 s[22:23], s[22:23]
	s_cbranch_execz .LBB96_42
; %bb.39:                               ;   in Loop: Header=BB96_35 Depth=2
	v_pk_mov_b32 v[8:9], s[40:41], s[40:41] op_sel:[0,1]
	ds_cmpst_rtn_b64 v[8:9], v15, v[8:9], v[4:5]
	s_mov_b64 s[24:25], -1
	s_waitcnt lgkmcnt(0)
	v_cmp_eq_u64_e32 vcc, s[40:41], v[8:9]
	s_and_saveexec_b64 s[26:27], vcc
	s_cbranch_execz .LBB96_41
; %bb.40:                               ;   in Loop: Header=BB96_35 Depth=2
	v_lshlrev_b32_e32 v8, 2, v6
	v_sub_u32_e32 v8, v15, v8
	ds_add_f32 v8, v13 offset:4096
	s_xor_b64 s[24:25], exec, -1
.LBB96_41:                              ;   in Loop: Header=BB96_35 Depth=2
	s_or_b64 exec, exec, s[26:27]
	s_andn2_b64 s[20:21], s[20:21], exec
	s_and_b64 s[24:25], s[24:25], exec
	s_or_b64 s[20:21], s[20:21], s[24:25]
.LBB96_42:                              ;   in Loop: Header=BB96_35 Depth=2
	s_or_b64 exec, exec, s[22:23]
	s_and_b64 s[20:21], s[20:21], exec
                                        ; implicit-def: $vgpr15
.LBB96_43:                              ;   in Loop: Header=BB96_35 Depth=2
	s_andn2_saveexec_b64 s[12:13], s[12:13]
	s_cbranch_execz .LBB96_34
; %bb.44:                               ;   in Loop: Header=BB96_35 Depth=2
	v_lshlrev_b32_e32 v8, 2, v6
	v_sub_u32_e32 v8, v15, v8
	ds_add_f32 v8, v13 offset:4096
	s_andn2_b64 s[20:21], s[20:21], exec
	s_branch .LBB96_34
.LBB96_45:
	s_or_b64 exec, exec, s[4:5]
.LBB96_46:
	s_waitcnt lgkmcnt(0)
	s_barrier
	s_and_saveexec_b64 s[8:9], s[0:1]
	s_cbranch_execz .LBB96_59
; %bb.47:
	v_mbcnt_lo_u32_b32 v2, -1, 0
	v_mbcnt_hi_u32_b32 v2, -1, v2
	v_sub_u32_e32 v2, 63, v2
	v_lshrrev_b64 v[4:5], v2, -1
	v_lshrrev_b32_e32 v2, 3, v0
	v_and_b32_e32 v2, 24, v2
	s_movk_i32 s0, 0xff
	s_movk_i32 s4, 0x7f
	;; [unrolled: 1-line block ×3, first 2 shown]
	v_mov_b32_e32 v3, 0
	v_add_u32_e32 v12, 0, v2
	v_cmp_eq_u32_e64 s[0:1], s0, v0
	v_cmp_lt_u32_e64 s[2:3], 63, v0
	v_cmp_lt_u32_e64 s[4:5], s4, v0
	;; [unrolled: 1-line block ×3, first 2 shown]
	v_add_u32_e32 v13, 0x1000, v14
	v_or_b32_e32 v14, 0xffffff00, v0
	s_mov_b64 s[12:13], 0
	v_pk_mov_b32 v[6:7], 0, 0
	s_branch .LBB96_49
.LBB96_48:                              ;   in Loop: Header=BB96_49 Depth=1
	s_or_b64 exec, exec, s[14:15]
	s_waitcnt lgkmcnt(0)
	s_barrier
	ds_read_b64 v[8:9], v3 offset:6168
	v_add_u32_e32 v13, 0x400, v13
	v_add_u32_e32 v1, 0x800, v1
	s_waitcnt lgkmcnt(0)
	v_add_co_u32_e32 v6, vcc, v8, v6
	v_addc_co_u32_e32 v7, vcc, v9, v7, vcc
	v_add_co_u32_e32 v14, vcc, 0x100, v14
	s_xor_b64 s[14:15], vcc, -1
	s_and_b64 s[14:15], exec, s[14:15]
	s_or_b64 s[12:13], s[14:15], s[12:13]
	s_andn2_b64 exec, exec, s[12:13]
	s_cbranch_execz .LBB96_59
.LBB96_49:                              ; =>This Inner Loop Header: Depth=1
	ds_read_b64 v[8:9], v1
	ds_read_b32 v15, v13
	s_waitcnt lgkmcnt(0)
	s_barrier
	v_cmp_gt_i64_e32 vcc, s[40:41], v[8:9]
	v_and_b32_e32 v11, vcc_lo, v4
	s_bcnt1_i32_b64 s14, vcc
	v_and_b32_e32 v10, vcc_hi, v5
	v_bcnt_u32_b32 v11, v11, 0
	v_mov_b32_e32 v2, s14
	v_bcnt_u32_b32 v10, v10, v11
	ds_write_b64 v12, v[2:3] offset:6144
	s_waitcnt lgkmcnt(0)
	s_barrier
	s_and_saveexec_b64 s[14:15], s[2:3]
	s_cbranch_execnz .LBB96_54
; %bb.50:                               ;   in Loop: Header=BB96_49 Depth=1
	s_or_b64 exec, exec, s[14:15]
	s_and_saveexec_b64 s[14:15], s[4:5]
	s_cbranch_execnz .LBB96_55
.LBB96_51:                              ;   in Loop: Header=BB96_49 Depth=1
	s_or_b64 exec, exec, s[14:15]
	s_and_saveexec_b64 s[14:15], s[6:7]
	s_cbranch_execnz .LBB96_56
.LBB96_52:                              ;   in Loop: Header=BB96_49 Depth=1
	s_or_b64 exec, exec, s[14:15]
	v_ashrrev_i32_e32 v11, 31, v10
	s_and_saveexec_b64 s[14:15], vcc
	s_cbranch_execnz .LBB96_57
.LBB96_53:                              ;   in Loop: Header=BB96_49 Depth=1
	s_or_b64 exec, exec, s[14:15]
	s_and_saveexec_b64 s[14:15], s[0:1]
	s_cbranch_execz .LBB96_48
	s_branch .LBB96_58
.LBB96_54:                              ;   in Loop: Header=BB96_49 Depth=1
	ds_read_b32 v2, v3 offset:6144
	s_waitcnt lgkmcnt(0)
	v_add_u32_e32 v10, v2, v10
	s_or_b64 exec, exec, s[14:15]
	s_and_saveexec_b64 s[14:15], s[4:5]
	s_cbranch_execz .LBB96_51
.LBB96_55:                              ;   in Loop: Header=BB96_49 Depth=1
	ds_read_b32 v2, v3 offset:6152
	s_waitcnt lgkmcnt(0)
	v_add_u32_e32 v10, v10, v2
	s_or_b64 exec, exec, s[14:15]
	s_and_saveexec_b64 s[14:15], s[6:7]
	s_cbranch_execz .LBB96_52
.LBB96_56:                              ;   in Loop: Header=BB96_49 Depth=1
	ds_read_b32 v2, v3 offset:6160
	s_waitcnt lgkmcnt(0)
	v_add_u32_e32 v10, v10, v2
	s_or_b64 exec, exec, s[14:15]
	v_ashrrev_i32_e32 v11, 31, v10
	s_and_saveexec_b64 s[14:15], vcc
	s_cbranch_execz .LBB96_53
.LBB96_57:                              ;   in Loop: Header=BB96_49 Depth=1
	v_add3_u32 v2, v6, -1, v10
	v_lshl_add_u32 v16, v2, 3, 0
	v_lshl_add_u32 v2, v2, 2, 0
	ds_write_b64 v16, v[8:9]
	ds_write_b32 v2, v15 offset:4096
	s_or_b64 exec, exec, s[14:15]
	s_and_saveexec_b64 s[14:15], s[0:1]
	s_cbranch_execz .LBB96_48
.LBB96_58:                              ;   in Loop: Header=BB96_49 Depth=1
	ds_write_b64 v3, v[10:11] offset:6168
	s_branch .LBB96_48
.LBB96_59:
	s_or_b64 exec, exec, s[8:9]
	s_lshl_b64 s[0:1], s[10:11], 3
	s_add_u32 s0, s18, s0
	s_addc_u32 s1, s19, s1
	s_load_dwordx4 s[0:3], s[0:1], 0x0
	v_mov_b32_e32 v1, 0
	s_waitcnt lgkmcnt(0)
	s_sub_u32 s4, s2, s0
	s_subb_u32 s5, s3, s1
	v_cmp_gt_i64_e32 vcc, s[4:5], v[0:1]
	s_and_saveexec_b64 s[6:7], vcc
	s_cbranch_execz .LBB96_69
; %bb.60:
	s_sub_u32 s6, s0, s30
	s_subb_u32 s7, s1, 0
	s_and_b32 s8, s4, 7
	s_sub_u32 s0, s0, s2
	s_mov_b32 s16, 0
	s_subb_u32 s1, s1, s3
	s_mov_b32 s9, s16
	s_and_b32 s2, s4, -8
	v_cmp_lt_u64_e64 s[0:1], s[0:1], -7
	s_cmp_lg_u64 s[8:9], 0
	v_cndmask_b32_e64 v2, 0, 1, s[0:1]
	s_mov_b32 s3, s5
	s_mov_b64 s[10:11], 0
	s_cselect_b64 s[12:13], -1, 0
	v_cmp_ne_u32_e64 s[0:1], 1, v2
	s_branch .LBB96_62
.LBB96_61:                              ;   in Loop: Header=BB96_62 Depth=1
	v_mov_b32_e32 v7, s16
	s_waitcnt lgkmcnt(1)
	v_add_co_u32_e32 v2, vcc, s30, v2
	v_addc_co_u32_e32 v3, vcc, v3, v7, vcc
	v_lshlrev_b64 v[8:9], 3, v[4:5]
	v_mov_b32_e32 v7, s37
	v_add_co_u32_e32 v8, vcc, s36, v8
	v_addc_co_u32_e32 v9, vcc, v7, v9, vcc
	global_store_dwordx2 v[8:9], v[2:3], off
	v_lshlrev_b64 v[2:3], 2, v[4:5]
	v_mov_b32_e32 v4, s39
	v_add_co_u32_e32 v2, vcc, s38, v2
	v_addc_co_u32_e32 v3, vcc, v4, v3, vcc
	v_add_co_u32_e32 v0, vcc, 0x100, v0
	v_addc_co_u32_e32 v1, vcc, 0, v1, vcc
	v_cmp_le_i64_e32 vcc, s[4:5], v[0:1]
	s_or_b64 s[10:11], vcc, s[10:11]
	s_waitcnt lgkmcnt(0)
	global_store_dword v[2:3], v6, off
	s_andn2_b64 exec, exec, s[10:11]
	s_cbranch_execz .LBB96_69
.LBB96_62:                              ; =>This Loop Header: Depth=1
                                        ;     Child Loop BB96_64 Depth 2
                                        ;     Child Loop BB96_68 Depth 2
	v_lshl_add_u32 v2, v0, 3, 0
	v_lshlrev_b32_e32 v3, 2, v0
	v_sub_u32_e32 v4, v2, v3
	ds_read_b64 v[2:3], v2
	ds_read_b32 v6, v4 offset:4096
	s_and_b64 vcc, exec, s[0:1]
	v_pk_mov_b32 v[4:5], s[6:7], s[6:7] op_sel:[0,1]
	s_mov_b64 s[14:15], 0
	s_cbranch_vccnz .LBB96_66
; %bb.63:                               ;   in Loop: Header=BB96_62 Depth=1
	s_mov_b32 s17, 0
	v_pk_mov_b32 v[4:5], s[6:7], s[6:7] op_sel:[0,1]
.LBB96_64:                              ;   Parent Loop BB96_62 Depth=1
                                        ; =>  This Inner Loop Header: Depth=2
	v_mov_b32_e32 v7, s17
	ds_read2_b64 v[8:11], v7 offset1:1
	ds_read2_b64 v[12:15], v7 offset0:2 offset1:3
	ds_read2_b64 v[16:19], v7 offset0:4 offset1:5
	;; [unrolled: 1-line block ×3, first 2 shown]
	s_add_u32 s14, s14, 8
	s_waitcnt lgkmcnt(3)
	v_cmp_gt_i64_e32 vcc, v[2:3], v[8:9]
	v_cndmask_b32_e64 v7, 0, 1, vcc
	v_cmp_gt_i64_e32 vcc, v[2:3], v[10:11]
	v_cndmask_b32_e64 v8, 0, 1, vcc
	s_waitcnt lgkmcnt(2)
	v_cmp_gt_i64_e32 vcc, v[2:3], v[12:13]
	v_cndmask_b32_e64 v9, 0, 1, vcc
	v_cmp_gt_i64_e32 vcc, v[2:3], v[14:15]
	v_cndmask_b32_e64 v10, 0, 1, vcc
	;; [unrolled: 5-line block ×4, first 2 shown]
	v_add_co_u32_e32 v4, vcc, v4, v7
	v_addc_co_u32_e32 v5, vcc, 0, v5, vcc
	v_add_co_u32_e32 v4, vcc, v4, v8
	v_addc_co_u32_e32 v5, vcc, 0, v5, vcc
	;; [unrolled: 2-line block ×7, first 2 shown]
	s_addc_u32 s15, s15, 0
	s_add_i32 s17, s17, 64
	v_add_co_u32_e32 v4, vcc, v4, v14
	s_cmp_eq_u64 s[2:3], s[14:15]
	v_addc_co_u32_e32 v5, vcc, 0, v5, vcc
	s_cbranch_scc0 .LBB96_64
; %bb.65:                               ;   in Loop: Header=BB96_62 Depth=1
	s_mov_b64 s[14:15], s[2:3]
.LBB96_66:                              ;   in Loop: Header=BB96_62 Depth=1
	s_andn2_b64 vcc, exec, s[12:13]
	s_cbranch_vccnz .LBB96_61
; %bb.67:                               ;   in Loop: Header=BB96_62 Depth=1
	s_lshl_b32 s14, s14, 3
	s_add_i32 s17, s14, 0
	s_mov_b64 s[14:15], s[8:9]
.LBB96_68:                              ;   Parent Loop BB96_62 Depth=1
                                        ; =>  This Inner Loop Header: Depth=2
	v_mov_b32_e32 v7, s17
	ds_read_b64 v[8:9], v7
	s_add_i32 s17, s17, 8
	s_add_u32 s14, s14, -1
	s_addc_u32 s15, s15, -1
	s_cmp_lg_u64 s[14:15], 0
	s_waitcnt lgkmcnt(0)
	v_cmp_gt_i64_e32 vcc, v[2:3], v[8:9]
	v_cndmask_b32_e64 v7, 0, 1, vcc
	v_add_co_u32_e32 v4, vcc, v4, v7
	v_addc_co_u32_e32 v5, vcc, 0, v5, vcc
	s_cbranch_scc1 .LBB96_68
	s_branch .LBB96_61
.LBB96_69:
	s_endpgm
	.section	.rodata,"a",@progbits
	.p2align	6, 0x0
	.amdhsa_kernel _ZN9rocsparseL26csrgemm_fill_block_per_rowILj256ELj32ELj512ELj137ELj64EllfEEvT5_PKS1_S3_NS_24const_host_device_scalarIT6_EEPKT4_S3_PKS5_S9_S3_SB_S6_S9_S3_SB_S9_PS1_PS5_21rocsparse_index_base_SE_SE_SE_bbb
		.amdhsa_group_segment_fixed_size 0
		.amdhsa_private_segment_fixed_size 0
		.amdhsa_kernarg_size 156
		.amdhsa_user_sgpr_count 6
		.amdhsa_user_sgpr_private_segment_buffer 1
		.amdhsa_user_sgpr_dispatch_ptr 0
		.amdhsa_user_sgpr_queue_ptr 0
		.amdhsa_user_sgpr_kernarg_segment_ptr 1
		.amdhsa_user_sgpr_dispatch_id 0
		.amdhsa_user_sgpr_flat_scratch_init 0
		.amdhsa_user_sgpr_kernarg_preload_length 0
		.amdhsa_user_sgpr_kernarg_preload_offset 0
		.amdhsa_user_sgpr_private_segment_size 0
		.amdhsa_uses_dynamic_stack 0
		.amdhsa_system_sgpr_private_segment_wavefront_offset 0
		.amdhsa_system_sgpr_workgroup_id_x 1
		.amdhsa_system_sgpr_workgroup_id_y 0
		.amdhsa_system_sgpr_workgroup_id_z 0
		.amdhsa_system_sgpr_workgroup_info 0
		.amdhsa_system_vgpr_workitem_id 0
		.amdhsa_next_free_vgpr 25
		.amdhsa_next_free_sgpr 57
		.amdhsa_accum_offset 28
		.amdhsa_reserve_vcc 1
		.amdhsa_reserve_flat_scratch 0
		.amdhsa_float_round_mode_32 0
		.amdhsa_float_round_mode_16_64 0
		.amdhsa_float_denorm_mode_32 3
		.amdhsa_float_denorm_mode_16_64 3
		.amdhsa_dx10_clamp 1
		.amdhsa_ieee_mode 1
		.amdhsa_fp16_overflow 0
		.amdhsa_tg_split 0
		.amdhsa_exception_fp_ieee_invalid_op 0
		.amdhsa_exception_fp_denorm_src 0
		.amdhsa_exception_fp_ieee_div_zero 0
		.amdhsa_exception_fp_ieee_overflow 0
		.amdhsa_exception_fp_ieee_underflow 0
		.amdhsa_exception_fp_ieee_inexact 0
		.amdhsa_exception_int_div_zero 0
	.end_amdhsa_kernel
	.section	.text._ZN9rocsparseL26csrgemm_fill_block_per_rowILj256ELj32ELj512ELj137ELj64EllfEEvT5_PKS1_S3_NS_24const_host_device_scalarIT6_EEPKT4_S3_PKS5_S9_S3_SB_S6_S9_S3_SB_S9_PS1_PS5_21rocsparse_index_base_SE_SE_SE_bbb,"axG",@progbits,_ZN9rocsparseL26csrgemm_fill_block_per_rowILj256ELj32ELj512ELj137ELj64EllfEEvT5_PKS1_S3_NS_24const_host_device_scalarIT6_EEPKT4_S3_PKS5_S9_S3_SB_S6_S9_S3_SB_S9_PS1_PS5_21rocsparse_index_base_SE_SE_SE_bbb,comdat
.Lfunc_end96:
	.size	_ZN9rocsparseL26csrgemm_fill_block_per_rowILj256ELj32ELj512ELj137ELj64EllfEEvT5_PKS1_S3_NS_24const_host_device_scalarIT6_EEPKT4_S3_PKS5_S9_S3_SB_S6_S9_S3_SB_S9_PS1_PS5_21rocsparse_index_base_SE_SE_SE_bbb, .Lfunc_end96-_ZN9rocsparseL26csrgemm_fill_block_per_rowILj256ELj32ELj512ELj137ELj64EllfEEvT5_PKS1_S3_NS_24const_host_device_scalarIT6_EEPKT4_S3_PKS5_S9_S3_SB_S6_S9_S3_SB_S9_PS1_PS5_21rocsparse_index_base_SE_SE_SE_bbb
                                        ; -- End function
	.section	.AMDGPU.csdata,"",@progbits
; Kernel info:
; codeLenInByte = 2616
; NumSgprs: 61
; NumVgprs: 25
; NumAgprs: 0
; TotalNumVgprs: 25
; ScratchSize: 0
; MemoryBound: 0
; FloatMode: 240
; IeeeMode: 1
; LDSByteSize: 0 bytes/workgroup (compile time only)
; SGPRBlocks: 7
; VGPRBlocks: 3
; NumSGPRsForWavesPerEU: 61
; NumVGPRsForWavesPerEU: 25
; AccumOffset: 28
; Occupancy: 8
; WaveLimiterHint : 1
; COMPUTE_PGM_RSRC2:SCRATCH_EN: 0
; COMPUTE_PGM_RSRC2:USER_SGPR: 6
; COMPUTE_PGM_RSRC2:TRAP_HANDLER: 0
; COMPUTE_PGM_RSRC2:TGID_X_EN: 1
; COMPUTE_PGM_RSRC2:TGID_Y_EN: 0
; COMPUTE_PGM_RSRC2:TGID_Z_EN: 0
; COMPUTE_PGM_RSRC2:TIDIG_COMP_CNT: 0
; COMPUTE_PGM_RSRC3_GFX90A:ACCUM_OFFSET: 6
; COMPUTE_PGM_RSRC3_GFX90A:TG_SPLIT: 0
	.section	.text._ZN9rocsparseL26csrgemm_fill_block_per_rowILj512ELj32ELj1024ELj137ELj32EllfEEvT5_PKS1_S3_NS_24const_host_device_scalarIT6_EEPKT4_S3_PKS5_S9_S3_SB_S6_S9_S3_SB_S9_PS1_PS5_21rocsparse_index_base_SE_SE_SE_bbb,"axG",@progbits,_ZN9rocsparseL26csrgemm_fill_block_per_rowILj512ELj32ELj1024ELj137ELj32EllfEEvT5_PKS1_S3_NS_24const_host_device_scalarIT6_EEPKT4_S3_PKS5_S9_S3_SB_S6_S9_S3_SB_S9_PS1_PS5_21rocsparse_index_base_SE_SE_SE_bbb,comdat
	.globl	_ZN9rocsparseL26csrgemm_fill_block_per_rowILj512ELj32ELj1024ELj137ELj32EllfEEvT5_PKS1_S3_NS_24const_host_device_scalarIT6_EEPKT4_S3_PKS5_S9_S3_SB_S6_S9_S3_SB_S9_PS1_PS5_21rocsparse_index_base_SE_SE_SE_bbb ; -- Begin function _ZN9rocsparseL26csrgemm_fill_block_per_rowILj512ELj32ELj1024ELj137ELj32EllfEEvT5_PKS1_S3_NS_24const_host_device_scalarIT6_EEPKT4_S3_PKS5_S9_S3_SB_S6_S9_S3_SB_S9_PS1_PS5_21rocsparse_index_base_SE_SE_SE_bbb
	.p2align	8
	.type	_ZN9rocsparseL26csrgemm_fill_block_per_rowILj512ELj32ELj1024ELj137ELj32EllfEEvT5_PKS1_S3_NS_24const_host_device_scalarIT6_EEPKT4_S3_PKS5_S9_S3_SB_S6_S9_S3_SB_S9_PS1_PS5_21rocsparse_index_base_SE_SE_SE_bbb,@function
_ZN9rocsparseL26csrgemm_fill_block_per_rowILj512ELj32ELj1024ELj137ELj32EllfEEvT5_PKS1_S3_NS_24const_host_device_scalarIT6_EEPKT4_S3_PKS5_S9_S3_SB_S6_S9_S3_SB_S9_PS1_PS5_21rocsparse_index_base_SE_SE_SE_bbb: ; @_ZN9rocsparseL26csrgemm_fill_block_per_rowILj512ELj32ELj1024ELj137ELj32EllfEEvT5_PKS1_S3_NS_24const_host_device_scalarIT6_EEPKT4_S3_PKS5_S9_S3_SB_S6_S9_S3_SB_S9_PS1_PS5_21rocsparse_index_base_SE_SE_SE_bbb
; %bb.0:
	s_load_dword s7, s[4:5], 0x98
	s_load_dwordx4 s[44:47], s[4:5], 0x88
	s_load_dwordx2 s[0:1], s[4:5], 0x18
	s_load_dwordx2 s[24:25], s[4:5], 0x50
	s_waitcnt lgkmcnt(0)
	s_bitcmp1_b32 s7, 0
	s_cselect_b64 s[2:3], -1, 0
	s_bitcmp1_b32 s7, 16
	s_cselect_b64 s[26:27], -1, 0
	s_xor_b64 s[8:9], s[2:3], -1
	s_or_b64 s[8:9], s[8:9], s[26:27]
	s_and_b64 vcc, exec, s[8:9]
	s_cbranch_vccnz .LBB97_2
; %bb.1:
	s_load_dword s0, s[0:1], 0x0
	s_waitcnt lgkmcnt(0)
	v_mov_b32_e32 v17, s0
	s_branch .LBB97_3
.LBB97_2:
	v_mov_b32_e32 v1, s0
	v_cndmask_b32_e64 v17, 0, v1, s[2:3]
.LBB97_3:
	s_load_dwordx4 s[48:51], s[4:5], 0x78
	s_load_dwordx8 s[36:43], s[4:5], 0x58
	s_load_dwordx4 s[16:19], s[4:5], 0x40
	s_load_dwordx4 s[20:23], s[4:5], 0x8
	s_load_dwordx8 s[8:15], s[4:5], 0x20
	s_bitcmp1_b32 s7, 8
	s_cselect_b64 s[0:1], -1, 0
	s_xor_b64 s[28:29], s[0:1], -1
	s_or_b64 s[26:27], s[28:29], s[26:27]
	s_and_b64 vcc, exec, s[26:27]
	s_cbranch_vccnz .LBB97_5
; %bb.4:
	s_load_dword s7, s[24:25], 0x0
	s_waitcnt lgkmcnt(0)
	v_mov_b32_e32 v11, s7
	s_branch .LBB97_6
.LBB97_5:
	v_mov_b32_e32 v1, s24
	v_cndmask_b32_e64 v11, 0, v1, s[0:1]
.LBB97_6:
	s_load_dwordx2 s[34:35], s[4:5], 0x0
	v_lshl_add_u32 v1, v0, 2, 0
	v_add_u32_e32 v1, 0x2000, v1
	v_or_b32_e32 v14, 0xfffffe00, v0
	v_lshl_add_u32 v15, v0, 3, 0
	s_mov_b64 s[4:5], 0
	s_waitcnt lgkmcnt(0)
	v_pk_mov_b32 v[2:3], s[34:35], s[34:35] op_sel:[0,1]
	v_mov_b32_e32 v4, 0
	v_mov_b32_e32 v5, v15
	;; [unrolled: 1-line block ×4, first 2 shown]
.LBB97_7:                               ; =>This Inner Loop Header: Depth=1
	v_add_co_u32_e32 v6, vcc, 0x200, v6
	s_xor_b64 s[24:25], vcc, -1
	s_and_b64 s[24:25], exec, s[24:25]
	ds_write_b64 v5, v[2:3]
	ds_write_b32 v7, v4
	v_add_u32_e32 v7, 0x800, v7
	s_or_b64 s[4:5], s[24:25], s[4:5]
	v_add_u32_e32 v5, 0x1000, v5
	s_andn2_b64 exec, exec, s[4:5]
	s_cbranch_execnz .LBB97_7
; %bb.8:
	s_or_b64 exec, exec, s[4:5]
	s_waitcnt lgkmcnt(0)
	s_barrier
	s_load_dwordx2 s[4:5], s[20:21], 0x0
	s_mov_b32 s7, 0
	v_lshrrev_b32_e32 v16, 5, v0
	s_waitcnt lgkmcnt(0)
	s_lshl_b64 s[4:5], s[4:5], 3
	s_add_u32 s20, s22, s4
	s_addc_u32 s21, s23, s5
	s_lshl_b64 s[4:5], s[6:7], 3
	s_add_u32 s4, s20, s4
	s_addc_u32 s5, s21, s5
	s_load_dwordx2 s[52:53], s[4:5], 0x0
	s_and_b64 vcc, exec, s[2:3]
	s_cbranch_vccz .LBB97_28
; %bb.9:
	s_waitcnt lgkmcnt(0)
	s_lshl_b64 s[2:3], s[52:53], 3
	s_add_u32 s2, s8, s2
	s_addc_u32 s3, s9, s3
	s_load_dwordx4 s[20:23], s[2:3], 0x0
	v_subrev_co_u32_e32 v2, vcc, s44, v16
	v_subb_co_u32_e64 v3, s[4:5], 0, 0, vcc
	s_waitcnt lgkmcnt(0)
	s_sub_u32 s2, s22, s44
	v_mov_b32_e32 v4, s21
	v_add_co_u32_e32 v2, vcc, s20, v2
	s_subb_u32 s3, s23, 0
	v_addc_co_u32_e32 v3, vcc, v4, v3, vcc
	v_cmp_gt_i64_e32 vcc, s[2:3], v[2:3]
	s_and_saveexec_b64 s[4:5], vcc
	s_cbranch_execz .LBB97_27
; %bb.10:
	v_and_b32_e32 v4, 31, v0
	v_subrev_co_u32_e32 v18, vcc, s45, v4
	s_mov_b32 s6, 0
	v_subb_co_u32_e64 v19, s[8:9], 0, 0, vcc
	s_mov_b32 s33, s44
	s_mov_b32 s54, s45
	s_mov_b64 s[8:9], 0
	v_mov_b32_e32 v20, s11
	v_mov_b32_e32 v21, s7
	v_mov_b32_e32 v22, s15
	v_mov_b32_e32 v23, s6
	s_movk_i32 s11, 0x89
	s_branch .LBB97_12
.LBB97_11:                              ;   in Loop: Header=BB97_12 Depth=1
	s_or_b64 exec, exec, s[6:7]
	v_add_co_u32_e32 v2, vcc, 16, v2
	v_addc_co_u32_e32 v3, vcc, 0, v3, vcc
	v_cmp_le_i64_e32 vcc, s[2:3], v[2:3]
	s_or_b64 s[8:9], vcc, s[8:9]
	s_andn2_b64 exec, exec, s[8:9]
	s_cbranch_execz .LBB97_27
.LBB97_12:                              ; =>This Loop Header: Depth=1
                                        ;     Child Loop BB97_15 Depth 2
                                        ;       Child Loop BB97_17 Depth 3
	v_lshlrev_b64 v[4:5], 3, v[2:3]
	v_add_co_u32_e32 v4, vcc, s10, v4
	v_addc_co_u32_e32 v5, vcc, v20, v5, vcc
	global_load_dwordx2 v[4:5], v[4:5], off
	s_waitcnt vmcnt(0)
	v_subrev_co_u32_e32 v4, vcc, s33, v4
	v_subb_co_u32_e32 v5, vcc, v5, v21, vcc
	v_lshlrev_b64 v[4:5], 3, v[4:5]
	v_add_co_u32_e32 v4, vcc, s14, v4
	v_addc_co_u32_e32 v5, vcc, v22, v5, vcc
	global_load_dwordx4 v[6:9], v[4:5], off
	s_waitcnt vmcnt(0)
	v_subrev_co_u32_e32 v4, vcc, s54, v8
	v_subb_co_u32_e32 v5, vcc, v9, v23, vcc
	v_add_co_u32_e32 v6, vcc, v6, v18
	v_addc_co_u32_e32 v7, vcc, v7, v19, vcc
	v_cmp_lt_i64_e32 vcc, v[6:7], v[4:5]
	s_and_saveexec_b64 s[6:7], vcc
	s_cbranch_execz .LBB97_11
; %bb.13:                               ;   in Loop: Header=BB97_12 Depth=1
	v_lshlrev_b64 v[8:9], 2, v[2:3]
	v_mov_b32_e32 v10, s13
	v_add_co_u32_e32 v8, vcc, s12, v8
	v_addc_co_u32_e32 v9, vcc, v10, v9, vcc
	global_load_dword v8, v[8:9], off
	s_mov_b64 s[20:21], 0
	s_waitcnt vmcnt(0)
	v_mul_f32_e32 v24, v17, v8
	s_branch .LBB97_15
.LBB97_14:                              ;   in Loop: Header=BB97_15 Depth=2
	s_or_b64 exec, exec, s[22:23]
	v_add_co_u32_e32 v6, vcc, 32, v6
	v_addc_co_u32_e32 v7, vcc, 0, v7, vcc
	v_cmp_ge_i64_e32 vcc, v[6:7], v[4:5]
	s_or_b64 s[20:21], vcc, s[20:21]
	s_andn2_b64 exec, exec, s[20:21]
	s_cbranch_execz .LBB97_11
.LBB97_15:                              ;   Parent Loop BB97_12 Depth=1
                                        ; =>  This Loop Header: Depth=2
                                        ;       Child Loop BB97_17 Depth 3
	v_lshlrev_b64 v[8:9], 3, v[6:7]
	v_mov_b32_e32 v10, s17
	v_add_co_u32_e32 v8, vcc, s16, v8
	v_addc_co_u32_e32 v9, vcc, v10, v9, vcc
	v_lshlrev_b64 v[12:13], 2, v[6:7]
	v_mov_b32_e32 v10, s19
	v_add_co_u32_e32 v12, vcc, s18, v12
	global_load_dwordx2 v[8:9], v[8:9], off
	v_addc_co_u32_e32 v13, vcc, v10, v13, vcc
	global_load_dword v10, v[12:13], off
	s_mov_b64 s[22:23], 0
	s_waitcnt vmcnt(1)
	v_subrev_co_u32_e32 v8, vcc, s54, v8
	v_subb_co_u32_e32 v9, vcc, v9, v23, vcc
	s_waitcnt vmcnt(0)
	v_mul_f32_e32 v25, v24, v10
	v_mul_lo_u32 v10, v8, s11
	v_and_b32_e32 v10, 0x3ff, v10
	s_branch .LBB97_17
.LBB97_16:                              ;   in Loop: Header=BB97_17 Depth=3
	s_or_b64 exec, exec, s[24:25]
	s_xor_b64 s[24:25], s[26:27], -1
	s_and_b64 s[24:25], exec, s[24:25]
	s_or_b64 s[22:23], s[24:25], s[22:23]
	s_andn2_b64 exec, exec, s[22:23]
	s_cbranch_execz .LBB97_14
.LBB97_17:                              ;   Parent Loop BB97_12 Depth=1
                                        ;     Parent Loop BB97_15 Depth=2
                                        ; =>    This Inner Loop Header: Depth=3
	v_lshl_add_u32 v26, v10, 3, 0
	ds_read_b64 v[12:13], v26
                                        ; implicit-def: $sgpr26_sgpr27
	s_waitcnt lgkmcnt(0)
	v_cmp_ne_u64_e32 vcc, v[12:13], v[8:9]
	s_and_saveexec_b64 s[24:25], vcc
	s_xor_b64 s[24:25], exec, s[24:25]
	s_cbranch_execz .LBB97_25
; %bb.18:                               ;   in Loop: Header=BB97_17 Depth=3
	v_cmp_ne_u64_e32 vcc, s[34:35], v[12:13]
                                        ; implicit-def: $sgpr26_sgpr27
	s_and_saveexec_b64 s[28:29], vcc
	s_xor_b64 s[28:29], exec, s[28:29]
; %bb.19:                               ;   in Loop: Header=BB97_17 Depth=3
	v_add_u32_e32 v10, 1, v10
	v_and_b32_e32 v10, 0x3ff, v10
	s_mov_b64 s[26:27], -1
                                        ; implicit-def: $vgpr26
; %bb.20:                               ;   in Loop: Header=BB97_17 Depth=3
	s_andn2_saveexec_b64 s[28:29], s[28:29]
	s_cbranch_execz .LBB97_24
; %bb.21:                               ;   in Loop: Header=BB97_17 Depth=3
	v_pk_mov_b32 v[12:13], s[34:35], s[34:35] op_sel:[0,1]
	ds_cmpst_rtn_b64 v[12:13], v26, v[12:13], v[8:9]
	s_mov_b64 s[30:31], -1
	s_waitcnt lgkmcnt(0)
	v_cmp_eq_u64_e32 vcc, s[34:35], v[12:13]
	s_and_saveexec_b64 s[44:45], vcc
	s_cbranch_execz .LBB97_23
; %bb.22:                               ;   in Loop: Header=BB97_17 Depth=3
	v_lshlrev_b32_e32 v12, 2, v10
	v_sub_u32_e32 v12, v26, v12
	ds_add_f32 v12, v25 offset:8192
	s_xor_b64 s[30:31], exec, -1
.LBB97_23:                              ;   in Loop: Header=BB97_17 Depth=3
	s_or_b64 exec, exec, s[44:45]
	s_andn2_b64 s[26:27], s[26:27], exec
	s_and_b64 s[30:31], s[30:31], exec
	s_or_b64 s[26:27], s[26:27], s[30:31]
.LBB97_24:                              ;   in Loop: Header=BB97_17 Depth=3
	s_or_b64 exec, exec, s[28:29]
	s_and_b64 s[26:27], s[26:27], exec
                                        ; implicit-def: $vgpr26
.LBB97_25:                              ;   in Loop: Header=BB97_17 Depth=3
	s_andn2_saveexec_b64 s[24:25], s[24:25]
	s_cbranch_execz .LBB97_16
; %bb.26:                               ;   in Loop: Header=BB97_17 Depth=3
	v_lshlrev_b32_e32 v12, 2, v10
	v_sub_u32_e32 v12, v26, v12
	ds_add_f32 v12, v25 offset:8192
	s_andn2_b64 s[26:27], s[26:27], exec
	s_branch .LBB97_16
.LBB97_27:
	s_or_b64 exec, exec, s[4:5]
.LBB97_28:
	s_andn2_b64 vcc, exec, s[0:1]
	s_cbranch_vccnz .LBB97_45
; %bb.29:
	s_waitcnt lgkmcnt(0)
	s_lshl_b64 s[0:1], s[52:53], 3
	s_add_u32 s0, s36, s0
	s_addc_u32 s1, s37, s1
	s_load_dwordx4 s[8:11], s[0:1], 0x0
	v_subrev_co_u32_e32 v2, vcc, s47, v0
	v_subb_co_u32_e64 v3, s[2:3], 0, 0, vcc
	s_waitcnt lgkmcnt(0)
	s_sub_u32 s0, s10, s47
	v_mov_b32_e32 v4, s9
	v_add_co_u32_e32 v2, vcc, s8, v2
	s_subb_u32 s1, s11, 0
	v_addc_co_u32_e32 v3, vcc, v4, v3, vcc
	s_mov_b32 s6, 0
	v_cmp_gt_i64_e32 vcc, s[0:1], v[2:3]
	s_and_saveexec_b64 s[2:3], vcc
	s_cbranch_execz .LBB97_44
; %bb.30:
	s_mov_b32 s18, s47
	s_mov_b64 s[4:5], 0
	v_mov_b32_e32 v7, s39
	v_mov_b32_e32 v10, s6
	;; [unrolled: 1-line block ×3, first 2 shown]
	s_movk_i32 s19, 0x89
	s_branch .LBB97_32
.LBB97_31:                              ;   in Loop: Header=BB97_32 Depth=1
	s_or_b64 exec, exec, s[6:7]
	v_add_co_u32_e32 v2, vcc, 0x200, v2
	v_addc_co_u32_e32 v3, vcc, 0, v3, vcc
	v_cmp_le_i64_e32 vcc, s[0:1], v[2:3]
	s_or_b64 s[4:5], vcc, s[4:5]
	s_andn2_b64 exec, exec, s[4:5]
	s_cbranch_execz .LBB97_44
.LBB97_32:                              ; =>This Loop Header: Depth=1
                                        ;     Child Loop BB97_34 Depth 2
	v_lshlrev_b64 v[4:5], 3, v[2:3]
	v_add_co_u32_e32 v4, vcc, s38, v4
	v_addc_co_u32_e32 v5, vcc, v7, v5, vcc
	v_lshlrev_b64 v[8:9], 2, v[2:3]
	v_add_co_u32_e32 v8, vcc, s40, v8
	global_load_dwordx2 v[4:5], v[4:5], off
	v_addc_co_u32_e32 v9, vcc, v12, v9, vcc
	global_load_dword v6, v[8:9], off
	s_mov_b64 s[6:7], 0
	s_waitcnt vmcnt(1)
	v_subrev_co_u32_e32 v4, vcc, s18, v4
	v_subb_co_u32_e32 v5, vcc, v5, v10, vcc
	s_waitcnt vmcnt(0)
	v_mul_f32_e32 v13, v11, v6
	v_mul_lo_u32 v6, v4, s19
	v_and_b32_e32 v6, 0x3ff, v6
	s_branch .LBB97_34
.LBB97_33:                              ;   in Loop: Header=BB97_34 Depth=2
	s_or_b64 exec, exec, s[8:9]
	s_xor_b64 s[8:9], s[10:11], -1
	s_and_b64 s[8:9], exec, s[8:9]
	s_or_b64 s[6:7], s[8:9], s[6:7]
	s_andn2_b64 exec, exec, s[6:7]
	s_cbranch_execz .LBB97_31
.LBB97_34:                              ;   Parent Loop BB97_32 Depth=1
                                        ; =>  This Inner Loop Header: Depth=2
	v_lshl_add_u32 v17, v6, 3, 0
	ds_read_b64 v[8:9], v17
                                        ; implicit-def: $sgpr10_sgpr11
	s_waitcnt lgkmcnt(0)
	v_cmp_ne_u64_e32 vcc, v[8:9], v[4:5]
	s_and_saveexec_b64 s[8:9], vcc
	s_xor_b64 s[8:9], exec, s[8:9]
	s_cbranch_execz .LBB97_42
; %bb.35:                               ;   in Loop: Header=BB97_34 Depth=2
	v_cmp_ne_u64_e32 vcc, s[34:35], v[8:9]
                                        ; implicit-def: $sgpr10_sgpr11
	s_and_saveexec_b64 s[12:13], vcc
	s_xor_b64 s[12:13], exec, s[12:13]
; %bb.36:                               ;   in Loop: Header=BB97_34 Depth=2
	v_add_u32_e32 v6, 1, v6
	v_and_b32_e32 v6, 0x3ff, v6
	s_mov_b64 s[10:11], -1
                                        ; implicit-def: $vgpr17
; %bb.37:                               ;   in Loop: Header=BB97_34 Depth=2
	s_andn2_saveexec_b64 s[12:13], s[12:13]
	s_cbranch_execz .LBB97_41
; %bb.38:                               ;   in Loop: Header=BB97_34 Depth=2
	v_pk_mov_b32 v[8:9], s[34:35], s[34:35] op_sel:[0,1]
	ds_cmpst_rtn_b64 v[8:9], v17, v[8:9], v[4:5]
	s_mov_b64 s[14:15], -1
	s_waitcnt lgkmcnt(0)
	v_cmp_eq_u64_e32 vcc, s[34:35], v[8:9]
	s_and_saveexec_b64 s[16:17], vcc
	s_cbranch_execz .LBB97_40
; %bb.39:                               ;   in Loop: Header=BB97_34 Depth=2
	v_lshlrev_b32_e32 v8, 2, v6
	v_sub_u32_e32 v8, v17, v8
	ds_add_f32 v8, v13 offset:8192
	s_xor_b64 s[14:15], exec, -1
.LBB97_40:                              ;   in Loop: Header=BB97_34 Depth=2
	s_or_b64 exec, exec, s[16:17]
	s_andn2_b64 s[10:11], s[10:11], exec
	s_and_b64 s[14:15], s[14:15], exec
	s_or_b64 s[10:11], s[10:11], s[14:15]
.LBB97_41:                              ;   in Loop: Header=BB97_34 Depth=2
	s_or_b64 exec, exec, s[12:13]
	s_and_b64 s[10:11], s[10:11], exec
                                        ; implicit-def: $vgpr17
.LBB97_42:                              ;   in Loop: Header=BB97_34 Depth=2
	s_andn2_saveexec_b64 s[8:9], s[8:9]
	s_cbranch_execz .LBB97_33
; %bb.43:                               ;   in Loop: Header=BB97_34 Depth=2
	v_lshlrev_b32_e32 v8, 2, v6
	v_sub_u32_e32 v8, v17, v8
	ds_add_f32 v8, v13 offset:8192
	s_andn2_b64 s[10:11], s[10:11], exec
	s_branch .LBB97_33
.LBB97_44:
	s_or_b64 exec, exec, s[2:3]
.LBB97_45:
	v_mbcnt_lo_u32_b32 v2, -1, 0
	v_mbcnt_hi_u32_b32 v2, -1, v2
	v_sub_u32_e32 v2, 63, v2
	s_movk_i32 s0, 0x1ff
	s_movk_i32 s6, 0x5f
	;; [unrolled: 1-line block ×14, first 2 shown]
	v_mov_b32_e32 v3, 0
	v_lshrrev_b64 v[4:5], v2, -1
	v_lshl_add_u32 v12, v16, 3, 0
	v_cmp_eq_u32_e64 s[0:1], s0, v0
	v_cmp_lt_u32_e64 s[2:3], 31, v0
	v_cmp_lt_u32_e64 s[4:5], 63, v0
	;; [unrolled: 1-line block ×15, first 2 shown]
	s_mov_b64 s[36:37], 0
	v_pk_mov_b32 v[6:7], 0, 0
	s_waitcnt lgkmcnt(0)
	s_barrier
	s_branch .LBB97_47
.LBB97_46:                              ;   in Loop: Header=BB97_47 Depth=1
	s_or_b64 exec, exec, s[38:39]
	s_waitcnt lgkmcnt(0)
	s_barrier
	ds_read_b64 v[8:9], v3 offset:12408
	v_add_u32_e32 v1, 0x800, v1
	v_add_u32_e32 v15, 0x1000, v15
	s_waitcnt lgkmcnt(0)
	v_add_co_u32_e32 v6, vcc, v8, v6
	v_addc_co_u32_e32 v7, vcc, v9, v7, vcc
	v_add_co_u32_e32 v14, vcc, 0x200, v14
	s_xor_b64 s[38:39], vcc, -1
	s_and_b64 s[38:39], exec, s[38:39]
	s_or_b64 s[36:37], s[38:39], s[36:37]
	s_andn2_b64 exec, exec, s[36:37]
	s_cbranch_execz .LBB97_81
.LBB97_47:                              ; =>This Inner Loop Header: Depth=1
	ds_read_b64 v[8:9], v15
	ds_read_b32 v13, v1
	s_waitcnt lgkmcnt(0)
	s_barrier
	v_cmp_gt_i64_e32 vcc, s[34:35], v[8:9]
	v_and_b32_e32 v11, vcc_lo, v4
	s_bcnt1_i32_b64 s33, vcc
	v_and_b32_e32 v10, vcc_hi, v5
	v_bcnt_u32_b32 v11, v11, 0
	v_mov_b32_e32 v2, s33
	v_bcnt_u32_b32 v10, v10, v11
	ds_write_b64 v12, v[2:3] offset:12288
	s_waitcnt lgkmcnt(0)
	s_barrier
	s_and_saveexec_b64 s[38:39], s[2:3]
	s_cbranch_execnz .LBB97_64
; %bb.48:                               ;   in Loop: Header=BB97_47 Depth=1
	s_or_b64 exec, exec, s[38:39]
	s_and_saveexec_b64 s[38:39], s[4:5]
	s_cbranch_execnz .LBB97_65
.LBB97_49:                              ;   in Loop: Header=BB97_47 Depth=1
	s_or_b64 exec, exec, s[38:39]
	s_and_saveexec_b64 s[38:39], s[6:7]
	s_cbranch_execnz .LBB97_66
.LBB97_50:                              ;   in Loop: Header=BB97_47 Depth=1
	s_or_b64 exec, exec, s[38:39]
	s_and_saveexec_b64 s[38:39], s[8:9]
	s_cbranch_execnz .LBB97_67
.LBB97_51:                              ;   in Loop: Header=BB97_47 Depth=1
	s_or_b64 exec, exec, s[38:39]
	s_and_saveexec_b64 s[38:39], s[10:11]
	s_cbranch_execnz .LBB97_68
.LBB97_52:                              ;   in Loop: Header=BB97_47 Depth=1
	s_or_b64 exec, exec, s[38:39]
	s_and_saveexec_b64 s[38:39], s[12:13]
	s_cbranch_execnz .LBB97_69
.LBB97_53:                              ;   in Loop: Header=BB97_47 Depth=1
	s_or_b64 exec, exec, s[38:39]
	s_and_saveexec_b64 s[38:39], s[14:15]
	s_cbranch_execnz .LBB97_70
.LBB97_54:                              ;   in Loop: Header=BB97_47 Depth=1
	s_or_b64 exec, exec, s[38:39]
	s_and_saveexec_b64 s[38:39], s[16:17]
	s_cbranch_execnz .LBB97_71
.LBB97_55:                              ;   in Loop: Header=BB97_47 Depth=1
	s_or_b64 exec, exec, s[38:39]
	s_and_saveexec_b64 s[38:39], s[18:19]
	s_cbranch_execnz .LBB97_72
.LBB97_56:                              ;   in Loop: Header=BB97_47 Depth=1
	s_or_b64 exec, exec, s[38:39]
	s_and_saveexec_b64 s[38:39], s[20:21]
	s_cbranch_execnz .LBB97_73
.LBB97_57:                              ;   in Loop: Header=BB97_47 Depth=1
	s_or_b64 exec, exec, s[38:39]
	s_and_saveexec_b64 s[38:39], s[22:23]
	s_cbranch_execnz .LBB97_74
.LBB97_58:                              ;   in Loop: Header=BB97_47 Depth=1
	s_or_b64 exec, exec, s[38:39]
	s_and_saveexec_b64 s[38:39], s[24:25]
	s_cbranch_execnz .LBB97_75
.LBB97_59:                              ;   in Loop: Header=BB97_47 Depth=1
	s_or_b64 exec, exec, s[38:39]
	s_and_saveexec_b64 s[38:39], s[26:27]
	s_cbranch_execnz .LBB97_76
.LBB97_60:                              ;   in Loop: Header=BB97_47 Depth=1
	s_or_b64 exec, exec, s[38:39]
	s_and_saveexec_b64 s[38:39], s[28:29]
	s_cbranch_execnz .LBB97_77
.LBB97_61:                              ;   in Loop: Header=BB97_47 Depth=1
	s_or_b64 exec, exec, s[38:39]
	s_and_saveexec_b64 s[38:39], s[30:31]
	s_cbranch_execnz .LBB97_78
.LBB97_62:                              ;   in Loop: Header=BB97_47 Depth=1
	s_or_b64 exec, exec, s[38:39]
	v_ashrrev_i32_e32 v11, 31, v10
	s_and_saveexec_b64 s[38:39], vcc
	s_cbranch_execnz .LBB97_79
.LBB97_63:                              ;   in Loop: Header=BB97_47 Depth=1
	s_or_b64 exec, exec, s[38:39]
	s_and_saveexec_b64 s[38:39], s[0:1]
	s_cbranch_execz .LBB97_46
	s_branch .LBB97_80
.LBB97_64:                              ;   in Loop: Header=BB97_47 Depth=1
	ds_read_b32 v2, v3 offset:12288
	s_waitcnt lgkmcnt(0)
	v_add_u32_e32 v10, v2, v10
	s_or_b64 exec, exec, s[38:39]
	s_and_saveexec_b64 s[38:39], s[4:5]
	s_cbranch_execz .LBB97_49
.LBB97_65:                              ;   in Loop: Header=BB97_47 Depth=1
	ds_read_b32 v2, v3 offset:12296
	s_waitcnt lgkmcnt(0)
	v_add_u32_e32 v10, v10, v2
	s_or_b64 exec, exec, s[38:39]
	s_and_saveexec_b64 s[38:39], s[6:7]
	s_cbranch_execz .LBB97_50
.LBB97_66:                              ;   in Loop: Header=BB97_47 Depth=1
	ds_read_b32 v2, v3 offset:12304
	s_waitcnt lgkmcnt(0)
	v_add_u32_e32 v10, v10, v2
	s_or_b64 exec, exec, s[38:39]
	s_and_saveexec_b64 s[38:39], s[8:9]
	s_cbranch_execz .LBB97_51
.LBB97_67:                              ;   in Loop: Header=BB97_47 Depth=1
	ds_read_b32 v2, v3 offset:12312
	s_waitcnt lgkmcnt(0)
	v_add_u32_e32 v10, v10, v2
	s_or_b64 exec, exec, s[38:39]
	s_and_saveexec_b64 s[38:39], s[10:11]
	s_cbranch_execz .LBB97_52
.LBB97_68:                              ;   in Loop: Header=BB97_47 Depth=1
	ds_read_b32 v2, v3 offset:12320
	s_waitcnt lgkmcnt(0)
	v_add_u32_e32 v10, v10, v2
	s_or_b64 exec, exec, s[38:39]
	s_and_saveexec_b64 s[38:39], s[12:13]
	s_cbranch_execz .LBB97_53
.LBB97_69:                              ;   in Loop: Header=BB97_47 Depth=1
	ds_read_b32 v2, v3 offset:12328
	s_waitcnt lgkmcnt(0)
	v_add_u32_e32 v10, v10, v2
	s_or_b64 exec, exec, s[38:39]
	s_and_saveexec_b64 s[38:39], s[14:15]
	s_cbranch_execz .LBB97_54
.LBB97_70:                              ;   in Loop: Header=BB97_47 Depth=1
	ds_read_b32 v2, v3 offset:12336
	s_waitcnt lgkmcnt(0)
	v_add_u32_e32 v10, v10, v2
	s_or_b64 exec, exec, s[38:39]
	s_and_saveexec_b64 s[38:39], s[16:17]
	s_cbranch_execz .LBB97_55
.LBB97_71:                              ;   in Loop: Header=BB97_47 Depth=1
	ds_read_b32 v2, v3 offset:12344
	s_waitcnt lgkmcnt(0)
	v_add_u32_e32 v10, v10, v2
	s_or_b64 exec, exec, s[38:39]
	s_and_saveexec_b64 s[38:39], s[18:19]
	s_cbranch_execz .LBB97_56
.LBB97_72:                              ;   in Loop: Header=BB97_47 Depth=1
	ds_read_b32 v2, v3 offset:12352
	s_waitcnt lgkmcnt(0)
	v_add_u32_e32 v10, v10, v2
	s_or_b64 exec, exec, s[38:39]
	s_and_saveexec_b64 s[38:39], s[20:21]
	s_cbranch_execz .LBB97_57
.LBB97_73:                              ;   in Loop: Header=BB97_47 Depth=1
	ds_read_b32 v2, v3 offset:12360
	s_waitcnt lgkmcnt(0)
	v_add_u32_e32 v10, v10, v2
	s_or_b64 exec, exec, s[38:39]
	s_and_saveexec_b64 s[38:39], s[22:23]
	s_cbranch_execz .LBB97_58
.LBB97_74:                              ;   in Loop: Header=BB97_47 Depth=1
	ds_read_b32 v2, v3 offset:12368
	s_waitcnt lgkmcnt(0)
	v_add_u32_e32 v10, v10, v2
	s_or_b64 exec, exec, s[38:39]
	s_and_saveexec_b64 s[38:39], s[24:25]
	s_cbranch_execz .LBB97_59
.LBB97_75:                              ;   in Loop: Header=BB97_47 Depth=1
	ds_read_b32 v2, v3 offset:12376
	s_waitcnt lgkmcnt(0)
	v_add_u32_e32 v10, v10, v2
	s_or_b64 exec, exec, s[38:39]
	s_and_saveexec_b64 s[38:39], s[26:27]
	s_cbranch_execz .LBB97_60
.LBB97_76:                              ;   in Loop: Header=BB97_47 Depth=1
	ds_read_b32 v2, v3 offset:12384
	s_waitcnt lgkmcnt(0)
	v_add_u32_e32 v10, v10, v2
	s_or_b64 exec, exec, s[38:39]
	s_and_saveexec_b64 s[38:39], s[28:29]
	s_cbranch_execz .LBB97_61
.LBB97_77:                              ;   in Loop: Header=BB97_47 Depth=1
	ds_read_b32 v2, v3 offset:12392
	s_waitcnt lgkmcnt(0)
	v_add_u32_e32 v10, v10, v2
	s_or_b64 exec, exec, s[38:39]
	s_and_saveexec_b64 s[38:39], s[30:31]
	s_cbranch_execz .LBB97_62
.LBB97_78:                              ;   in Loop: Header=BB97_47 Depth=1
	ds_read_b32 v2, v3 offset:12400
	s_waitcnt lgkmcnt(0)
	v_add_u32_e32 v10, v10, v2
	s_or_b64 exec, exec, s[38:39]
	v_ashrrev_i32_e32 v11, 31, v10
	s_and_saveexec_b64 s[38:39], vcc
	s_cbranch_execz .LBB97_63
.LBB97_79:                              ;   in Loop: Header=BB97_47 Depth=1
	v_add3_u32 v2, v6, -1, v10
	v_lshl_add_u32 v16, v2, 3, 0
	v_lshl_add_u32 v2, v2, 2, 0
	ds_write_b64 v16, v[8:9]
	ds_write_b32 v2, v13 offset:8192
	s_or_b64 exec, exec, s[38:39]
	s_and_saveexec_b64 s[38:39], s[0:1]
	s_cbranch_execz .LBB97_46
.LBB97_80:                              ;   in Loop: Header=BB97_47 Depth=1
	ds_write_b64 v3, v[10:11] offset:12408
	s_branch .LBB97_46
.LBB97_81:
	s_or_b64 exec, exec, s[36:37]
	s_lshl_b64 s[0:1], s[52:53], 3
	s_add_u32 s0, s42, s0
	s_addc_u32 s1, s43, s1
	s_load_dwordx4 s[0:3], s[0:1], 0x0
	v_mov_b32_e32 v1, 0
	s_waitcnt lgkmcnt(0)
	s_sub_u32 s4, s2, s0
	s_subb_u32 s5, s3, s1
	v_cmp_gt_i64_e32 vcc, s[4:5], v[0:1]
	s_and_saveexec_b64 s[6:7], vcc
	s_cbranch_execz .LBB97_91
; %bb.82:
	s_sub_u32 s6, s0, s46
	s_subb_u32 s7, s1, 0
	s_and_b32 s8, s4, 7
	s_sub_u32 s0, s0, s2
	s_mov_b32 s16, 0
	s_subb_u32 s1, s1, s3
	s_mov_b32 s9, s16
	s_and_b32 s2, s4, -8
	v_cmp_lt_u64_e64 s[0:1], s[0:1], -7
	s_cmp_lg_u64 s[8:9], 0
	v_cndmask_b32_e64 v2, 0, 1, s[0:1]
	s_mov_b32 s3, s5
	s_mov_b64 s[10:11], 0
	s_cselect_b64 s[12:13], -1, 0
	v_cmp_ne_u32_e64 s[0:1], 1, v2
	s_branch .LBB97_84
.LBB97_83:                              ;   in Loop: Header=BB97_84 Depth=1
	v_mov_b32_e32 v7, s16
	s_waitcnt lgkmcnt(1)
	v_add_co_u32_e32 v2, vcc, s46, v2
	v_addc_co_u32_e32 v3, vcc, v3, v7, vcc
	v_lshlrev_b64 v[8:9], 3, v[4:5]
	v_mov_b32_e32 v7, s49
	v_add_co_u32_e32 v8, vcc, s48, v8
	v_addc_co_u32_e32 v9, vcc, v7, v9, vcc
	global_store_dwordx2 v[8:9], v[2:3], off
	v_lshlrev_b64 v[2:3], 2, v[4:5]
	v_mov_b32_e32 v4, s51
	v_add_co_u32_e32 v2, vcc, s50, v2
	v_addc_co_u32_e32 v3, vcc, v4, v3, vcc
	v_add_co_u32_e32 v0, vcc, 0x200, v0
	v_addc_co_u32_e32 v1, vcc, 0, v1, vcc
	v_cmp_le_i64_e32 vcc, s[4:5], v[0:1]
	s_or_b64 s[10:11], vcc, s[10:11]
	s_waitcnt lgkmcnt(0)
	global_store_dword v[2:3], v6, off
	s_andn2_b64 exec, exec, s[10:11]
	s_cbranch_execz .LBB97_91
.LBB97_84:                              ; =>This Loop Header: Depth=1
                                        ;     Child Loop BB97_86 Depth 2
                                        ;     Child Loop BB97_90 Depth 2
	v_lshl_add_u32 v2, v0, 3, 0
	v_lshlrev_b32_e32 v3, 2, v0
	v_sub_u32_e32 v4, v2, v3
	ds_read_b64 v[2:3], v2
	ds_read_b32 v6, v4 offset:8192
	s_and_b64 vcc, exec, s[0:1]
	v_pk_mov_b32 v[4:5], s[6:7], s[6:7] op_sel:[0,1]
	s_mov_b64 s[14:15], 0
	s_cbranch_vccnz .LBB97_88
; %bb.85:                               ;   in Loop: Header=BB97_84 Depth=1
	s_mov_b32 s17, 0
	v_pk_mov_b32 v[4:5], s[6:7], s[6:7] op_sel:[0,1]
.LBB97_86:                              ;   Parent Loop BB97_84 Depth=1
                                        ; =>  This Inner Loop Header: Depth=2
	v_mov_b32_e32 v7, s17
	ds_read2_b64 v[8:11], v7 offset1:1
	ds_read2_b64 v[12:15], v7 offset0:2 offset1:3
	ds_read2_b64 v[16:19], v7 offset0:4 offset1:5
	;; [unrolled: 1-line block ×3, first 2 shown]
	s_add_u32 s14, s14, 8
	s_waitcnt lgkmcnt(3)
	v_cmp_gt_i64_e32 vcc, v[2:3], v[8:9]
	v_cndmask_b32_e64 v7, 0, 1, vcc
	v_cmp_gt_i64_e32 vcc, v[2:3], v[10:11]
	v_cndmask_b32_e64 v8, 0, 1, vcc
	s_waitcnt lgkmcnt(2)
	v_cmp_gt_i64_e32 vcc, v[2:3], v[12:13]
	v_cndmask_b32_e64 v9, 0, 1, vcc
	v_cmp_gt_i64_e32 vcc, v[2:3], v[14:15]
	v_cndmask_b32_e64 v10, 0, 1, vcc
	;; [unrolled: 5-line block ×4, first 2 shown]
	v_add_co_u32_e32 v4, vcc, v4, v7
	v_addc_co_u32_e32 v5, vcc, 0, v5, vcc
	v_add_co_u32_e32 v4, vcc, v4, v8
	v_addc_co_u32_e32 v5, vcc, 0, v5, vcc
	;; [unrolled: 2-line block ×7, first 2 shown]
	s_addc_u32 s15, s15, 0
	s_add_i32 s17, s17, 64
	v_add_co_u32_e32 v4, vcc, v4, v14
	s_cmp_eq_u64 s[2:3], s[14:15]
	v_addc_co_u32_e32 v5, vcc, 0, v5, vcc
	s_cbranch_scc0 .LBB97_86
; %bb.87:                               ;   in Loop: Header=BB97_84 Depth=1
	s_mov_b64 s[14:15], s[2:3]
.LBB97_88:                              ;   in Loop: Header=BB97_84 Depth=1
	s_andn2_b64 vcc, exec, s[12:13]
	s_cbranch_vccnz .LBB97_83
; %bb.89:                               ;   in Loop: Header=BB97_84 Depth=1
	s_lshl_b32 s14, s14, 3
	s_add_i32 s17, s14, 0
	s_mov_b64 s[14:15], s[8:9]
.LBB97_90:                              ;   Parent Loop BB97_84 Depth=1
                                        ; =>  This Inner Loop Header: Depth=2
	v_mov_b32_e32 v7, s17
	ds_read_b64 v[8:9], v7
	s_add_i32 s17, s17, 8
	s_add_u32 s14, s14, -1
	s_addc_u32 s15, s15, -1
	s_cmp_lg_u64 s[14:15], 0
	s_waitcnt lgkmcnt(0)
	v_cmp_gt_i64_e32 vcc, v[2:3], v[8:9]
	v_cndmask_b32_e64 v7, 0, 1, vcc
	v_add_co_u32_e32 v4, vcc, v4, v7
	v_addc_co_u32_e32 v5, vcc, 0, v5, vcc
	s_cbranch_scc1 .LBB97_90
	s_branch .LBB97_83
.LBB97_91:
	s_endpgm
	.section	.rodata,"a",@progbits
	.p2align	6, 0x0
	.amdhsa_kernel _ZN9rocsparseL26csrgemm_fill_block_per_rowILj512ELj32ELj1024ELj137ELj32EllfEEvT5_PKS1_S3_NS_24const_host_device_scalarIT6_EEPKT4_S3_PKS5_S9_S3_SB_S6_S9_S3_SB_S9_PS1_PS5_21rocsparse_index_base_SE_SE_SE_bbb
		.amdhsa_group_segment_fixed_size 0
		.amdhsa_private_segment_fixed_size 0
		.amdhsa_kernarg_size 156
		.amdhsa_user_sgpr_count 6
		.amdhsa_user_sgpr_private_segment_buffer 1
		.amdhsa_user_sgpr_dispatch_ptr 0
		.amdhsa_user_sgpr_queue_ptr 0
		.amdhsa_user_sgpr_kernarg_segment_ptr 1
		.amdhsa_user_sgpr_dispatch_id 0
		.amdhsa_user_sgpr_flat_scratch_init 0
		.amdhsa_user_sgpr_kernarg_preload_length 0
		.amdhsa_user_sgpr_kernarg_preload_offset 0
		.amdhsa_user_sgpr_private_segment_size 0
		.amdhsa_uses_dynamic_stack 0
		.amdhsa_system_sgpr_private_segment_wavefront_offset 0
		.amdhsa_system_sgpr_workgroup_id_x 1
		.amdhsa_system_sgpr_workgroup_id_y 0
		.amdhsa_system_sgpr_workgroup_id_z 0
		.amdhsa_system_sgpr_workgroup_info 0
		.amdhsa_system_vgpr_workitem_id 0
		.amdhsa_next_free_vgpr 27
		.amdhsa_next_free_sgpr 55
		.amdhsa_accum_offset 28
		.amdhsa_reserve_vcc 1
		.amdhsa_reserve_flat_scratch 0
		.amdhsa_float_round_mode_32 0
		.amdhsa_float_round_mode_16_64 0
		.amdhsa_float_denorm_mode_32 3
		.amdhsa_float_denorm_mode_16_64 3
		.amdhsa_dx10_clamp 1
		.amdhsa_ieee_mode 1
		.amdhsa_fp16_overflow 0
		.amdhsa_tg_split 0
		.amdhsa_exception_fp_ieee_invalid_op 0
		.amdhsa_exception_fp_denorm_src 0
		.amdhsa_exception_fp_ieee_div_zero 0
		.amdhsa_exception_fp_ieee_overflow 0
		.amdhsa_exception_fp_ieee_underflow 0
		.amdhsa_exception_fp_ieee_inexact 0
		.amdhsa_exception_int_div_zero 0
	.end_amdhsa_kernel
	.section	.text._ZN9rocsparseL26csrgemm_fill_block_per_rowILj512ELj32ELj1024ELj137ELj32EllfEEvT5_PKS1_S3_NS_24const_host_device_scalarIT6_EEPKT4_S3_PKS5_S9_S3_SB_S6_S9_S3_SB_S9_PS1_PS5_21rocsparse_index_base_SE_SE_SE_bbb,"axG",@progbits,_ZN9rocsparseL26csrgemm_fill_block_per_rowILj512ELj32ELj1024ELj137ELj32EllfEEvT5_PKS1_S3_NS_24const_host_device_scalarIT6_EEPKT4_S3_PKS5_S9_S3_SB_S6_S9_S3_SB_S9_PS1_PS5_21rocsparse_index_base_SE_SE_SE_bbb,comdat
.Lfunc_end97:
	.size	_ZN9rocsparseL26csrgemm_fill_block_per_rowILj512ELj32ELj1024ELj137ELj32EllfEEvT5_PKS1_S3_NS_24const_host_device_scalarIT6_EEPKT4_S3_PKS5_S9_S3_SB_S6_S9_S3_SB_S9_PS1_PS5_21rocsparse_index_base_SE_SE_SE_bbb, .Lfunc_end97-_ZN9rocsparseL26csrgemm_fill_block_per_rowILj512ELj32ELj1024ELj137ELj32EllfEEvT5_PKS1_S3_NS_24const_host_device_scalarIT6_EEPKT4_S3_PKS5_S9_S3_SB_S6_S9_S3_SB_S9_PS1_PS5_21rocsparse_index_base_SE_SE_SE_bbb
                                        ; -- End function
	.section	.AMDGPU.csdata,"",@progbits
; Kernel info:
; codeLenInByte = 3192
; NumSgprs: 59
; NumVgprs: 27
; NumAgprs: 0
; TotalNumVgprs: 27
; ScratchSize: 0
; MemoryBound: 0
; FloatMode: 240
; IeeeMode: 1
; LDSByteSize: 0 bytes/workgroup (compile time only)
; SGPRBlocks: 7
; VGPRBlocks: 3
; NumSGPRsForWavesPerEU: 59
; NumVGPRsForWavesPerEU: 27
; AccumOffset: 28
; Occupancy: 8
; WaveLimiterHint : 1
; COMPUTE_PGM_RSRC2:SCRATCH_EN: 0
; COMPUTE_PGM_RSRC2:USER_SGPR: 6
; COMPUTE_PGM_RSRC2:TRAP_HANDLER: 0
; COMPUTE_PGM_RSRC2:TGID_X_EN: 1
; COMPUTE_PGM_RSRC2:TGID_Y_EN: 0
; COMPUTE_PGM_RSRC2:TGID_Z_EN: 0
; COMPUTE_PGM_RSRC2:TIDIG_COMP_CNT: 0
; COMPUTE_PGM_RSRC3_GFX90A:ACCUM_OFFSET: 6
; COMPUTE_PGM_RSRC3_GFX90A:TG_SPLIT: 0
	.section	.text._ZN9rocsparseL26csrgemm_fill_block_per_rowILj512ELj32ELj1024ELj137ELj64EllfEEvT5_PKS1_S3_NS_24const_host_device_scalarIT6_EEPKT4_S3_PKS5_S9_S3_SB_S6_S9_S3_SB_S9_PS1_PS5_21rocsparse_index_base_SE_SE_SE_bbb,"axG",@progbits,_ZN9rocsparseL26csrgemm_fill_block_per_rowILj512ELj32ELj1024ELj137ELj64EllfEEvT5_PKS1_S3_NS_24const_host_device_scalarIT6_EEPKT4_S3_PKS5_S9_S3_SB_S6_S9_S3_SB_S9_PS1_PS5_21rocsparse_index_base_SE_SE_SE_bbb,comdat
	.globl	_ZN9rocsparseL26csrgemm_fill_block_per_rowILj512ELj32ELj1024ELj137ELj64EllfEEvT5_PKS1_S3_NS_24const_host_device_scalarIT6_EEPKT4_S3_PKS5_S9_S3_SB_S6_S9_S3_SB_S9_PS1_PS5_21rocsparse_index_base_SE_SE_SE_bbb ; -- Begin function _ZN9rocsparseL26csrgemm_fill_block_per_rowILj512ELj32ELj1024ELj137ELj64EllfEEvT5_PKS1_S3_NS_24const_host_device_scalarIT6_EEPKT4_S3_PKS5_S9_S3_SB_S6_S9_S3_SB_S9_PS1_PS5_21rocsparse_index_base_SE_SE_SE_bbb
	.p2align	8
	.type	_ZN9rocsparseL26csrgemm_fill_block_per_rowILj512ELj32ELj1024ELj137ELj64EllfEEvT5_PKS1_S3_NS_24const_host_device_scalarIT6_EEPKT4_S3_PKS5_S9_S3_SB_S6_S9_S3_SB_S9_PS1_PS5_21rocsparse_index_base_SE_SE_SE_bbb,@function
_ZN9rocsparseL26csrgemm_fill_block_per_rowILj512ELj32ELj1024ELj137ELj64EllfEEvT5_PKS1_S3_NS_24const_host_device_scalarIT6_EEPKT4_S3_PKS5_S9_S3_SB_S6_S9_S3_SB_S9_PS1_PS5_21rocsparse_index_base_SE_SE_SE_bbb: ; @_ZN9rocsparseL26csrgemm_fill_block_per_rowILj512ELj32ELj1024ELj137ELj64EllfEEvT5_PKS1_S3_NS_24const_host_device_scalarIT6_EEPKT4_S3_PKS5_S9_S3_SB_S6_S9_S3_SB_S9_PS1_PS5_21rocsparse_index_base_SE_SE_SE_bbb
; %bb.0:
	s_load_dword s7, s[4:5], 0x98
	s_load_dwordx4 s[28:31], s[4:5], 0x88
	s_load_dwordx2 s[0:1], s[4:5], 0x18
	s_load_dwordx2 s[34:35], s[4:5], 0x50
	s_waitcnt lgkmcnt(0)
	s_bitcmp1_b32 s7, 0
	s_cselect_b64 s[2:3], -1, 0
	s_bitcmp1_b32 s7, 16
	s_cselect_b64 s[44:45], -1, 0
	s_xor_b64 s[8:9], s[2:3], -1
	s_or_b64 s[8:9], s[8:9], s[44:45]
	s_and_b64 vcc, exec, s[8:9]
	s_cbranch_vccnz .LBB98_2
; %bb.1:
	s_load_dword s0, s[0:1], 0x0
	s_waitcnt lgkmcnt(0)
	v_mov_b32_e32 v16, s0
	s_branch .LBB98_3
.LBB98_2:
	v_mov_b32_e32 v1, s0
	v_cndmask_b32_e64 v16, 0, v1, s[2:3]
.LBB98_3:
	s_load_dwordx4 s[36:39], s[4:5], 0x78
	s_load_dwordx8 s[12:19], s[4:5], 0x58
	s_load_dwordx4 s[8:11], s[4:5], 0x40
	s_load_dwordx4 s[40:43], s[4:5], 0x8
	s_load_dwordx8 s[20:27], s[4:5], 0x20
	s_bitcmp1_b32 s7, 8
	s_cselect_b64 s[0:1], -1, 0
	s_xor_b64 s[46:47], s[0:1], -1
	s_or_b64 s[44:45], s[46:47], s[44:45]
	s_and_b64 vcc, exec, s[44:45]
	s_cbranch_vccnz .LBB98_5
; %bb.4:
	s_load_dword s7, s[34:35], 0x0
	s_waitcnt lgkmcnt(0)
	v_mov_b32_e32 v11, s7
	s_branch .LBB98_6
.LBB98_5:
	v_mov_b32_e32 v1, s34
	v_cndmask_b32_e64 v11, 0, v1, s[0:1]
.LBB98_6:
	s_load_dwordx2 s[34:35], s[4:5], 0x0
	v_lshl_add_u32 v1, v0, 2, 0
	v_add_u32_e32 v1, 0x2000, v1
	v_or_b32_e32 v14, 0xfffffe00, v0
	v_lshl_add_u32 v15, v0, 3, 0
	s_mov_b64 s[4:5], 0
	s_waitcnt lgkmcnt(0)
	v_pk_mov_b32 v[2:3], s[34:35], s[34:35] op_sel:[0,1]
	v_mov_b32_e32 v4, 0
	v_mov_b32_e32 v5, v15
	;; [unrolled: 1-line block ×4, first 2 shown]
.LBB98_7:                               ; =>This Inner Loop Header: Depth=1
	v_add_co_u32_e32 v6, vcc, 0x200, v6
	s_xor_b64 s[44:45], vcc, -1
	s_and_b64 s[44:45], exec, s[44:45]
	ds_write_b64 v5, v[2:3]
	ds_write_b32 v7, v4
	v_add_u32_e32 v7, 0x800, v7
	s_or_b64 s[4:5], s[44:45], s[4:5]
	v_add_u32_e32 v5, 0x1000, v5
	s_andn2_b64 exec, exec, s[4:5]
	s_cbranch_execnz .LBB98_7
; %bb.8:
	s_or_b64 exec, exec, s[4:5]
	s_waitcnt lgkmcnt(0)
	s_barrier
	s_load_dwordx2 s[4:5], s[40:41], 0x0
	s_mov_b32 s7, 0
	s_waitcnt lgkmcnt(0)
	s_lshl_b64 s[4:5], s[4:5], 3
	s_add_u32 s33, s42, s4
	s_addc_u32 s40, s43, s5
	s_lshl_b64 s[4:5], s[6:7], 3
	s_add_u32 s4, s33, s4
	s_addc_u32 s5, s40, s5
	s_load_dwordx2 s[40:41], s[4:5], 0x0
	s_and_b64 vcc, exec, s[2:3]
	s_cbranch_vccz .LBB98_28
; %bb.9:
	s_waitcnt lgkmcnt(0)
	s_lshl_b64 s[2:3], s[40:41], 3
	s_add_u32 s2, s20, s2
	s_addc_u32 s3, s21, s3
	s_load_dwordx4 s[44:47], s[2:3], 0x0
	v_lshrrev_b32_e32 v2, 5, v0
	v_subrev_co_u32_e32 v2, vcc, s28, v2
	v_subb_co_u32_e64 v3, s[4:5], 0, 0, vcc
	s_waitcnt lgkmcnt(0)
	s_sub_u32 s2, s46, s28
	v_mov_b32_e32 v4, s45
	v_add_co_u32_e32 v2, vcc, s44, v2
	s_subb_u32 s3, s47, 0
	v_addc_co_u32_e32 v3, vcc, v4, v3, vcc
	v_cmp_gt_i64_e32 vcc, s[2:3], v[2:3]
	s_and_saveexec_b64 s[4:5], vcc
	s_cbranch_execz .LBB98_27
; %bb.10:
	v_and_b32_e32 v4, 31, v0
	v_subrev_co_u32_e32 v17, vcc, s29, v4
	s_mov_b32 s6, 0
	v_subb_co_u32_e64 v18, s[20:21], 0, 0, vcc
	s_mov_b32 s33, s28
	s_mov_b32 s54, s29
	s_mov_b64 s[20:21], 0
	v_mov_b32_e32 v19, s23
	v_mov_b32_e32 v20, s7
	v_mov_b32_e32 v21, s27
	v_mov_b32_e32 v22, s6
	s_movk_i32 s23, 0x89
	s_branch .LBB98_12
.LBB98_11:                              ;   in Loop: Header=BB98_12 Depth=1
	s_or_b64 exec, exec, s[6:7]
	v_add_co_u32_e32 v2, vcc, 16, v2
	v_addc_co_u32_e32 v3, vcc, 0, v3, vcc
	v_cmp_le_i64_e32 vcc, s[2:3], v[2:3]
	s_or_b64 s[20:21], vcc, s[20:21]
	s_andn2_b64 exec, exec, s[20:21]
	s_cbranch_execz .LBB98_27
.LBB98_12:                              ; =>This Loop Header: Depth=1
                                        ;     Child Loop BB98_15 Depth 2
                                        ;       Child Loop BB98_17 Depth 3
	v_lshlrev_b64 v[4:5], 3, v[2:3]
	v_add_co_u32_e32 v4, vcc, s22, v4
	v_addc_co_u32_e32 v5, vcc, v19, v5, vcc
	global_load_dwordx2 v[4:5], v[4:5], off
	s_waitcnt vmcnt(0)
	v_subrev_co_u32_e32 v4, vcc, s33, v4
	v_subb_co_u32_e32 v5, vcc, v5, v20, vcc
	v_lshlrev_b64 v[4:5], 3, v[4:5]
	v_add_co_u32_e32 v4, vcc, s26, v4
	v_addc_co_u32_e32 v5, vcc, v21, v5, vcc
	global_load_dwordx4 v[6:9], v[4:5], off
	s_waitcnt vmcnt(0)
	v_subrev_co_u32_e32 v4, vcc, s54, v8
	v_subb_co_u32_e32 v5, vcc, v9, v22, vcc
	v_add_co_u32_e32 v6, vcc, v6, v17
	v_addc_co_u32_e32 v7, vcc, v7, v18, vcc
	v_cmp_lt_i64_e32 vcc, v[6:7], v[4:5]
	s_and_saveexec_b64 s[6:7], vcc
	s_cbranch_execz .LBB98_11
; %bb.13:                               ;   in Loop: Header=BB98_12 Depth=1
	v_lshlrev_b64 v[8:9], 2, v[2:3]
	v_mov_b32_e32 v10, s25
	v_add_co_u32_e32 v8, vcc, s24, v8
	v_addc_co_u32_e32 v9, vcc, v10, v9, vcc
	global_load_dword v8, v[8:9], off
	s_mov_b64 s[28:29], 0
	s_waitcnt vmcnt(0)
	v_mul_f32_e32 v23, v16, v8
	s_branch .LBB98_15
.LBB98_14:                              ;   in Loop: Header=BB98_15 Depth=2
	s_or_b64 exec, exec, s[42:43]
	v_add_co_u32_e32 v6, vcc, 32, v6
	v_addc_co_u32_e32 v7, vcc, 0, v7, vcc
	v_cmp_ge_i64_e32 vcc, v[6:7], v[4:5]
	s_or_b64 s[28:29], vcc, s[28:29]
	s_andn2_b64 exec, exec, s[28:29]
	s_cbranch_execz .LBB98_11
.LBB98_15:                              ;   Parent Loop BB98_12 Depth=1
                                        ; =>  This Loop Header: Depth=2
                                        ;       Child Loop BB98_17 Depth 3
	v_lshlrev_b64 v[8:9], 3, v[6:7]
	v_mov_b32_e32 v10, s9
	v_add_co_u32_e32 v8, vcc, s8, v8
	v_addc_co_u32_e32 v9, vcc, v10, v9, vcc
	v_lshlrev_b64 v[12:13], 2, v[6:7]
	v_mov_b32_e32 v10, s11
	v_add_co_u32_e32 v12, vcc, s10, v12
	global_load_dwordx2 v[8:9], v[8:9], off
	v_addc_co_u32_e32 v13, vcc, v10, v13, vcc
	global_load_dword v10, v[12:13], off
	s_mov_b64 s[42:43], 0
	s_waitcnt vmcnt(1)
	v_subrev_co_u32_e32 v8, vcc, s54, v8
	v_subb_co_u32_e32 v9, vcc, v9, v22, vcc
	s_waitcnt vmcnt(0)
	v_mul_f32_e32 v24, v23, v10
	v_mul_lo_u32 v10, v8, s23
	v_and_b32_e32 v10, 0x3ff, v10
	s_branch .LBB98_17
.LBB98_16:                              ;   in Loop: Header=BB98_17 Depth=3
	s_or_b64 exec, exec, s[44:45]
	s_xor_b64 s[44:45], s[46:47], -1
	s_and_b64 s[44:45], exec, s[44:45]
	s_or_b64 s[42:43], s[44:45], s[42:43]
	s_andn2_b64 exec, exec, s[42:43]
	s_cbranch_execz .LBB98_14
.LBB98_17:                              ;   Parent Loop BB98_12 Depth=1
                                        ;     Parent Loop BB98_15 Depth=2
                                        ; =>    This Inner Loop Header: Depth=3
	v_lshl_add_u32 v25, v10, 3, 0
	ds_read_b64 v[12:13], v25
                                        ; implicit-def: $sgpr46_sgpr47
	s_waitcnt lgkmcnt(0)
	v_cmp_ne_u64_e32 vcc, v[12:13], v[8:9]
	s_and_saveexec_b64 s[44:45], vcc
	s_xor_b64 s[44:45], exec, s[44:45]
	s_cbranch_execz .LBB98_25
; %bb.18:                               ;   in Loop: Header=BB98_17 Depth=3
	v_cmp_ne_u64_e32 vcc, s[34:35], v[12:13]
                                        ; implicit-def: $sgpr46_sgpr47
	s_and_saveexec_b64 s[48:49], vcc
	s_xor_b64 s[48:49], exec, s[48:49]
; %bb.19:                               ;   in Loop: Header=BB98_17 Depth=3
	v_add_u32_e32 v10, 1, v10
	v_and_b32_e32 v10, 0x3ff, v10
	s_mov_b64 s[46:47], -1
                                        ; implicit-def: $vgpr25
; %bb.20:                               ;   in Loop: Header=BB98_17 Depth=3
	s_andn2_saveexec_b64 s[48:49], s[48:49]
	s_cbranch_execz .LBB98_24
; %bb.21:                               ;   in Loop: Header=BB98_17 Depth=3
	v_pk_mov_b32 v[12:13], s[34:35], s[34:35] op_sel:[0,1]
	ds_cmpst_rtn_b64 v[12:13], v25, v[12:13], v[8:9]
	s_mov_b64 s[50:51], -1
	s_waitcnt lgkmcnt(0)
	v_cmp_eq_u64_e32 vcc, s[34:35], v[12:13]
	s_and_saveexec_b64 s[52:53], vcc
	s_cbranch_execz .LBB98_23
; %bb.22:                               ;   in Loop: Header=BB98_17 Depth=3
	v_lshlrev_b32_e32 v12, 2, v10
	v_sub_u32_e32 v12, v25, v12
	ds_add_f32 v12, v24 offset:8192
	s_xor_b64 s[50:51], exec, -1
.LBB98_23:                              ;   in Loop: Header=BB98_17 Depth=3
	s_or_b64 exec, exec, s[52:53]
	s_andn2_b64 s[46:47], s[46:47], exec
	s_and_b64 s[50:51], s[50:51], exec
	s_or_b64 s[46:47], s[46:47], s[50:51]
.LBB98_24:                              ;   in Loop: Header=BB98_17 Depth=3
	s_or_b64 exec, exec, s[48:49]
	s_and_b64 s[46:47], s[46:47], exec
                                        ; implicit-def: $vgpr25
.LBB98_25:                              ;   in Loop: Header=BB98_17 Depth=3
	s_andn2_saveexec_b64 s[44:45], s[44:45]
	s_cbranch_execz .LBB98_16
; %bb.26:                               ;   in Loop: Header=BB98_17 Depth=3
	v_lshlrev_b32_e32 v12, 2, v10
	v_sub_u32_e32 v12, v25, v12
	ds_add_f32 v12, v24 offset:8192
	s_andn2_b64 s[46:47], s[46:47], exec
	s_branch .LBB98_16
.LBB98_27:
	s_or_b64 exec, exec, s[4:5]
.LBB98_28:
	s_andn2_b64 vcc, exec, s[0:1]
	s_cbranch_vccnz .LBB98_45
; %bb.29:
	s_waitcnt lgkmcnt(0)
	s_lshl_b64 s[0:1], s[40:41], 3
	s_add_u32 s0, s12, s0
	s_addc_u32 s1, s13, s1
	s_load_dwordx4 s[8:11], s[0:1], 0x0
	v_subrev_co_u32_e32 v2, vcc, s31, v0
	v_subb_co_u32_e64 v3, s[2:3], 0, 0, vcc
	s_waitcnt lgkmcnt(0)
	s_sub_u32 s0, s10, s31
	v_mov_b32_e32 v4, s9
	v_add_co_u32_e32 v2, vcc, s8, v2
	s_subb_u32 s1, s11, 0
	v_addc_co_u32_e32 v3, vcc, v4, v3, vcc
	s_mov_b32 s6, 0
	v_cmp_gt_i64_e32 vcc, s[0:1], v[2:3]
	s_and_saveexec_b64 s[2:3], vcc
	s_cbranch_execz .LBB98_44
; %bb.30:
	s_mov_b32 s24, s31
	s_mov_b64 s[4:5], 0
	v_mov_b32_e32 v7, s15
	v_mov_b32_e32 v10, s6
	v_mov_b32_e32 v12, s17
	s_movk_i32 s15, 0x89
	s_branch .LBB98_32
.LBB98_31:                              ;   in Loop: Header=BB98_32 Depth=1
	s_or_b64 exec, exec, s[6:7]
	v_add_co_u32_e32 v2, vcc, 0x200, v2
	v_addc_co_u32_e32 v3, vcc, 0, v3, vcc
	v_cmp_le_i64_e32 vcc, s[0:1], v[2:3]
	s_or_b64 s[4:5], vcc, s[4:5]
	s_andn2_b64 exec, exec, s[4:5]
	s_cbranch_execz .LBB98_44
.LBB98_32:                              ; =>This Loop Header: Depth=1
                                        ;     Child Loop BB98_34 Depth 2
	v_lshlrev_b64 v[4:5], 3, v[2:3]
	v_add_co_u32_e32 v4, vcc, s14, v4
	v_addc_co_u32_e32 v5, vcc, v7, v5, vcc
	v_lshlrev_b64 v[8:9], 2, v[2:3]
	v_add_co_u32_e32 v8, vcc, s16, v8
	global_load_dwordx2 v[4:5], v[4:5], off
	v_addc_co_u32_e32 v9, vcc, v12, v9, vcc
	global_load_dword v6, v[8:9], off
	s_mov_b64 s[6:7], 0
	s_waitcnt vmcnt(1)
	v_subrev_co_u32_e32 v4, vcc, s24, v4
	v_subb_co_u32_e32 v5, vcc, v5, v10, vcc
	s_waitcnt vmcnt(0)
	v_mul_f32_e32 v13, v11, v6
	v_mul_lo_u32 v6, v4, s15
	v_and_b32_e32 v6, 0x3ff, v6
	s_branch .LBB98_34
.LBB98_33:                              ;   in Loop: Header=BB98_34 Depth=2
	s_or_b64 exec, exec, s[8:9]
	s_xor_b64 s[8:9], s[10:11], -1
	s_and_b64 s[8:9], exec, s[8:9]
	s_or_b64 s[6:7], s[8:9], s[6:7]
	s_andn2_b64 exec, exec, s[6:7]
	s_cbranch_execz .LBB98_31
.LBB98_34:                              ;   Parent Loop BB98_32 Depth=1
                                        ; =>  This Inner Loop Header: Depth=2
	v_lshl_add_u32 v16, v6, 3, 0
	ds_read_b64 v[8:9], v16
                                        ; implicit-def: $sgpr10_sgpr11
	s_waitcnt lgkmcnt(0)
	v_cmp_ne_u64_e32 vcc, v[8:9], v[4:5]
	s_and_saveexec_b64 s[8:9], vcc
	s_xor_b64 s[8:9], exec, s[8:9]
	s_cbranch_execz .LBB98_42
; %bb.35:                               ;   in Loop: Header=BB98_34 Depth=2
	v_cmp_ne_u64_e32 vcc, s[34:35], v[8:9]
                                        ; implicit-def: $sgpr10_sgpr11
	s_and_saveexec_b64 s[12:13], vcc
	s_xor_b64 s[12:13], exec, s[12:13]
; %bb.36:                               ;   in Loop: Header=BB98_34 Depth=2
	v_add_u32_e32 v6, 1, v6
	v_and_b32_e32 v6, 0x3ff, v6
	s_mov_b64 s[10:11], -1
                                        ; implicit-def: $vgpr16
; %bb.37:                               ;   in Loop: Header=BB98_34 Depth=2
	s_andn2_saveexec_b64 s[12:13], s[12:13]
	s_cbranch_execz .LBB98_41
; %bb.38:                               ;   in Loop: Header=BB98_34 Depth=2
	v_pk_mov_b32 v[8:9], s[34:35], s[34:35] op_sel:[0,1]
	ds_cmpst_rtn_b64 v[8:9], v16, v[8:9], v[4:5]
	s_mov_b64 s[20:21], -1
	s_waitcnt lgkmcnt(0)
	v_cmp_eq_u64_e32 vcc, s[34:35], v[8:9]
	s_and_saveexec_b64 s[22:23], vcc
	s_cbranch_execz .LBB98_40
; %bb.39:                               ;   in Loop: Header=BB98_34 Depth=2
	v_lshlrev_b32_e32 v8, 2, v6
	v_sub_u32_e32 v8, v16, v8
	ds_add_f32 v8, v13 offset:8192
	s_xor_b64 s[20:21], exec, -1
.LBB98_40:                              ;   in Loop: Header=BB98_34 Depth=2
	s_or_b64 exec, exec, s[22:23]
	s_andn2_b64 s[10:11], s[10:11], exec
	s_and_b64 s[20:21], s[20:21], exec
	s_or_b64 s[10:11], s[10:11], s[20:21]
.LBB98_41:                              ;   in Loop: Header=BB98_34 Depth=2
	s_or_b64 exec, exec, s[12:13]
	s_and_b64 s[10:11], s[10:11], exec
                                        ; implicit-def: $vgpr16
.LBB98_42:                              ;   in Loop: Header=BB98_34 Depth=2
	s_andn2_saveexec_b64 s[8:9], s[8:9]
	s_cbranch_execz .LBB98_33
; %bb.43:                               ;   in Loop: Header=BB98_34 Depth=2
	v_lshlrev_b32_e32 v8, 2, v6
	v_sub_u32_e32 v8, v16, v8
	ds_add_f32 v8, v13 offset:8192
	s_andn2_b64 s[10:11], s[10:11], exec
	s_branch .LBB98_33
.LBB98_44:
	s_or_b64 exec, exec, s[2:3]
.LBB98_45:
	v_mbcnt_lo_u32_b32 v2, -1, 0
	v_mbcnt_hi_u32_b32 v2, -1, v2
	v_sub_u32_e32 v2, 63, v2
	v_lshrrev_b64 v[4:5], v2, -1
	v_lshrrev_b32_e32 v2, 3, v0
	v_and_b32_e32 v2, 56, v2
	s_movk_i32 s0, 0x1ff
	s_movk_i32 s4, 0x7f
	;; [unrolled: 1-line block ×7, first 2 shown]
	v_mov_b32_e32 v3, 0
	v_add_u32_e32 v12, 0, v2
	v_cmp_eq_u32_e64 s[0:1], s0, v0
	v_cmp_lt_u32_e64 s[2:3], 63, v0
	v_cmp_lt_u32_e64 s[4:5], s4, v0
	;; [unrolled: 1-line block ×7, first 2 shown]
	s_mov_b64 s[16:17], 0
	v_pk_mov_b32 v[6:7], 0, 0
	s_waitcnt lgkmcnt(0)
	s_barrier
	s_branch .LBB98_47
.LBB98_46:                              ;   in Loop: Header=BB98_47 Depth=1
	s_or_b64 exec, exec, s[20:21]
	s_waitcnt lgkmcnt(0)
	s_barrier
	ds_read_b64 v[8:9], v3 offset:12344
	v_add_u32_e32 v1, 0x800, v1
	v_add_u32_e32 v15, 0x1000, v15
	s_waitcnt lgkmcnt(0)
	v_add_co_u32_e32 v6, vcc, v8, v6
	v_addc_co_u32_e32 v7, vcc, v9, v7, vcc
	v_add_co_u32_e32 v14, vcc, 0x200, v14
	s_xor_b64 s[20:21], vcc, -1
	s_and_b64 s[20:21], exec, s[20:21]
	s_or_b64 s[16:17], s[20:21], s[16:17]
	s_andn2_b64 exec, exec, s[16:17]
	s_cbranch_execz .LBB98_65
.LBB98_47:                              ; =>This Inner Loop Header: Depth=1
	ds_read_b64 v[8:9], v15
	ds_read_b32 v13, v1
	s_waitcnt lgkmcnt(0)
	s_barrier
	v_cmp_gt_i64_e32 vcc, s[34:35], v[8:9]
	v_and_b32_e32 v11, vcc_lo, v4
	s_bcnt1_i32_b64 s20, vcc
	v_and_b32_e32 v10, vcc_hi, v5
	v_bcnt_u32_b32 v11, v11, 0
	v_mov_b32_e32 v2, s20
	v_bcnt_u32_b32 v10, v10, v11
	ds_write_b64 v12, v[2:3] offset:12288
	s_waitcnt lgkmcnt(0)
	s_barrier
	s_and_saveexec_b64 s[20:21], s[2:3]
	s_cbranch_execnz .LBB98_56
; %bb.48:                               ;   in Loop: Header=BB98_47 Depth=1
	s_or_b64 exec, exec, s[20:21]
	s_and_saveexec_b64 s[20:21], s[4:5]
	s_cbranch_execnz .LBB98_57
.LBB98_49:                              ;   in Loop: Header=BB98_47 Depth=1
	s_or_b64 exec, exec, s[20:21]
	s_and_saveexec_b64 s[20:21], s[6:7]
	s_cbranch_execnz .LBB98_58
.LBB98_50:                              ;   in Loop: Header=BB98_47 Depth=1
	s_or_b64 exec, exec, s[20:21]
	s_and_saveexec_b64 s[20:21], s[8:9]
	s_cbranch_execnz .LBB98_59
.LBB98_51:                              ;   in Loop: Header=BB98_47 Depth=1
	s_or_b64 exec, exec, s[20:21]
	s_and_saveexec_b64 s[20:21], s[10:11]
	s_cbranch_execnz .LBB98_60
.LBB98_52:                              ;   in Loop: Header=BB98_47 Depth=1
	s_or_b64 exec, exec, s[20:21]
	s_and_saveexec_b64 s[20:21], s[12:13]
	s_cbranch_execnz .LBB98_61
.LBB98_53:                              ;   in Loop: Header=BB98_47 Depth=1
	s_or_b64 exec, exec, s[20:21]
	s_and_saveexec_b64 s[20:21], s[14:15]
	s_cbranch_execnz .LBB98_62
.LBB98_54:                              ;   in Loop: Header=BB98_47 Depth=1
	s_or_b64 exec, exec, s[20:21]
	v_ashrrev_i32_e32 v11, 31, v10
	s_and_saveexec_b64 s[20:21], vcc
	s_cbranch_execnz .LBB98_63
.LBB98_55:                              ;   in Loop: Header=BB98_47 Depth=1
	s_or_b64 exec, exec, s[20:21]
	s_and_saveexec_b64 s[20:21], s[0:1]
	s_cbranch_execz .LBB98_46
	s_branch .LBB98_64
.LBB98_56:                              ;   in Loop: Header=BB98_47 Depth=1
	ds_read_b32 v2, v3 offset:12288
	s_waitcnt lgkmcnt(0)
	v_add_u32_e32 v10, v2, v10
	s_or_b64 exec, exec, s[20:21]
	s_and_saveexec_b64 s[20:21], s[4:5]
	s_cbranch_execz .LBB98_49
.LBB98_57:                              ;   in Loop: Header=BB98_47 Depth=1
	ds_read_b32 v2, v3 offset:12296
	s_waitcnt lgkmcnt(0)
	v_add_u32_e32 v10, v10, v2
	s_or_b64 exec, exec, s[20:21]
	s_and_saveexec_b64 s[20:21], s[6:7]
	s_cbranch_execz .LBB98_50
.LBB98_58:                              ;   in Loop: Header=BB98_47 Depth=1
	ds_read_b32 v2, v3 offset:12304
	s_waitcnt lgkmcnt(0)
	v_add_u32_e32 v10, v10, v2
	s_or_b64 exec, exec, s[20:21]
	s_and_saveexec_b64 s[20:21], s[8:9]
	s_cbranch_execz .LBB98_51
.LBB98_59:                              ;   in Loop: Header=BB98_47 Depth=1
	ds_read_b32 v2, v3 offset:12312
	s_waitcnt lgkmcnt(0)
	v_add_u32_e32 v10, v10, v2
	s_or_b64 exec, exec, s[20:21]
	s_and_saveexec_b64 s[20:21], s[10:11]
	s_cbranch_execz .LBB98_52
.LBB98_60:                              ;   in Loop: Header=BB98_47 Depth=1
	ds_read_b32 v2, v3 offset:12320
	s_waitcnt lgkmcnt(0)
	v_add_u32_e32 v10, v10, v2
	s_or_b64 exec, exec, s[20:21]
	s_and_saveexec_b64 s[20:21], s[12:13]
	s_cbranch_execz .LBB98_53
.LBB98_61:                              ;   in Loop: Header=BB98_47 Depth=1
	ds_read_b32 v2, v3 offset:12328
	s_waitcnt lgkmcnt(0)
	v_add_u32_e32 v10, v10, v2
	s_or_b64 exec, exec, s[20:21]
	s_and_saveexec_b64 s[20:21], s[14:15]
	s_cbranch_execz .LBB98_54
.LBB98_62:                              ;   in Loop: Header=BB98_47 Depth=1
	ds_read_b32 v2, v3 offset:12336
	s_waitcnt lgkmcnt(0)
	v_add_u32_e32 v10, v10, v2
	s_or_b64 exec, exec, s[20:21]
	v_ashrrev_i32_e32 v11, 31, v10
	s_and_saveexec_b64 s[20:21], vcc
	s_cbranch_execz .LBB98_55
.LBB98_63:                              ;   in Loop: Header=BB98_47 Depth=1
	v_add3_u32 v2, v6, -1, v10
	v_lshl_add_u32 v16, v2, 3, 0
	v_lshl_add_u32 v2, v2, 2, 0
	ds_write_b64 v16, v[8:9]
	ds_write_b32 v2, v13 offset:8192
	s_or_b64 exec, exec, s[20:21]
	s_and_saveexec_b64 s[20:21], s[0:1]
	s_cbranch_execz .LBB98_46
.LBB98_64:                              ;   in Loop: Header=BB98_47 Depth=1
	ds_write_b64 v3, v[10:11] offset:12344
	s_branch .LBB98_46
.LBB98_65:
	s_or_b64 exec, exec, s[16:17]
	s_lshl_b64 s[0:1], s[40:41], 3
	s_add_u32 s0, s18, s0
	s_addc_u32 s1, s19, s1
	s_load_dwordx4 s[0:3], s[0:1], 0x0
	v_mov_b32_e32 v1, 0
	s_waitcnt lgkmcnt(0)
	s_sub_u32 s4, s2, s0
	s_subb_u32 s5, s3, s1
	v_cmp_gt_i64_e32 vcc, s[4:5], v[0:1]
	s_and_saveexec_b64 s[6:7], vcc
	s_cbranch_execz .LBB98_75
; %bb.66:
	s_sub_u32 s6, s0, s30
	s_subb_u32 s7, s1, 0
	s_and_b32 s8, s4, 7
	s_sub_u32 s0, s0, s2
	s_mov_b32 s16, 0
	s_subb_u32 s1, s1, s3
	s_mov_b32 s9, s16
	s_and_b32 s2, s4, -8
	v_cmp_lt_u64_e64 s[0:1], s[0:1], -7
	s_cmp_lg_u64 s[8:9], 0
	v_cndmask_b32_e64 v2, 0, 1, s[0:1]
	s_mov_b32 s3, s5
	s_mov_b64 s[10:11], 0
	s_cselect_b64 s[12:13], -1, 0
	v_cmp_ne_u32_e64 s[0:1], 1, v2
	s_branch .LBB98_68
.LBB98_67:                              ;   in Loop: Header=BB98_68 Depth=1
	v_mov_b32_e32 v7, s16
	s_waitcnt lgkmcnt(1)
	v_add_co_u32_e32 v2, vcc, s30, v2
	v_addc_co_u32_e32 v3, vcc, v3, v7, vcc
	v_lshlrev_b64 v[8:9], 3, v[4:5]
	v_mov_b32_e32 v7, s37
	v_add_co_u32_e32 v8, vcc, s36, v8
	v_addc_co_u32_e32 v9, vcc, v7, v9, vcc
	global_store_dwordx2 v[8:9], v[2:3], off
	v_lshlrev_b64 v[2:3], 2, v[4:5]
	v_mov_b32_e32 v4, s39
	v_add_co_u32_e32 v2, vcc, s38, v2
	v_addc_co_u32_e32 v3, vcc, v4, v3, vcc
	v_add_co_u32_e32 v0, vcc, 0x200, v0
	v_addc_co_u32_e32 v1, vcc, 0, v1, vcc
	v_cmp_le_i64_e32 vcc, s[4:5], v[0:1]
	s_or_b64 s[10:11], vcc, s[10:11]
	s_waitcnt lgkmcnt(0)
	global_store_dword v[2:3], v6, off
	s_andn2_b64 exec, exec, s[10:11]
	s_cbranch_execz .LBB98_75
.LBB98_68:                              ; =>This Loop Header: Depth=1
                                        ;     Child Loop BB98_70 Depth 2
                                        ;     Child Loop BB98_74 Depth 2
	v_lshl_add_u32 v2, v0, 3, 0
	v_lshlrev_b32_e32 v3, 2, v0
	v_sub_u32_e32 v4, v2, v3
	ds_read_b64 v[2:3], v2
	ds_read_b32 v6, v4 offset:8192
	s_and_b64 vcc, exec, s[0:1]
	v_pk_mov_b32 v[4:5], s[6:7], s[6:7] op_sel:[0,1]
	s_mov_b64 s[14:15], 0
	s_cbranch_vccnz .LBB98_72
; %bb.69:                               ;   in Loop: Header=BB98_68 Depth=1
	s_mov_b32 s17, 0
	v_pk_mov_b32 v[4:5], s[6:7], s[6:7] op_sel:[0,1]
.LBB98_70:                              ;   Parent Loop BB98_68 Depth=1
                                        ; =>  This Inner Loop Header: Depth=2
	v_mov_b32_e32 v7, s17
	ds_read2_b64 v[8:11], v7 offset1:1
	ds_read2_b64 v[12:15], v7 offset0:2 offset1:3
	ds_read2_b64 v[16:19], v7 offset0:4 offset1:5
	;; [unrolled: 1-line block ×3, first 2 shown]
	s_add_u32 s14, s14, 8
	s_waitcnt lgkmcnt(3)
	v_cmp_gt_i64_e32 vcc, v[2:3], v[8:9]
	v_cndmask_b32_e64 v7, 0, 1, vcc
	v_cmp_gt_i64_e32 vcc, v[2:3], v[10:11]
	v_cndmask_b32_e64 v8, 0, 1, vcc
	s_waitcnt lgkmcnt(2)
	v_cmp_gt_i64_e32 vcc, v[2:3], v[12:13]
	v_cndmask_b32_e64 v9, 0, 1, vcc
	v_cmp_gt_i64_e32 vcc, v[2:3], v[14:15]
	v_cndmask_b32_e64 v10, 0, 1, vcc
	;; [unrolled: 5-line block ×4, first 2 shown]
	v_add_co_u32_e32 v4, vcc, v4, v7
	v_addc_co_u32_e32 v5, vcc, 0, v5, vcc
	v_add_co_u32_e32 v4, vcc, v4, v8
	v_addc_co_u32_e32 v5, vcc, 0, v5, vcc
	;; [unrolled: 2-line block ×7, first 2 shown]
	s_addc_u32 s15, s15, 0
	s_add_i32 s17, s17, 64
	v_add_co_u32_e32 v4, vcc, v4, v14
	s_cmp_eq_u64 s[2:3], s[14:15]
	v_addc_co_u32_e32 v5, vcc, 0, v5, vcc
	s_cbranch_scc0 .LBB98_70
; %bb.71:                               ;   in Loop: Header=BB98_68 Depth=1
	s_mov_b64 s[14:15], s[2:3]
.LBB98_72:                              ;   in Loop: Header=BB98_68 Depth=1
	s_andn2_b64 vcc, exec, s[12:13]
	s_cbranch_vccnz .LBB98_67
; %bb.73:                               ;   in Loop: Header=BB98_68 Depth=1
	s_lshl_b32 s14, s14, 3
	s_add_i32 s17, s14, 0
	s_mov_b64 s[14:15], s[8:9]
.LBB98_74:                              ;   Parent Loop BB98_68 Depth=1
                                        ; =>  This Inner Loop Header: Depth=2
	v_mov_b32_e32 v7, s17
	ds_read_b64 v[8:9], v7
	s_add_i32 s17, s17, 8
	s_add_u32 s14, s14, -1
	s_addc_u32 s15, s15, -1
	s_cmp_lg_u64 s[14:15], 0
	s_waitcnt lgkmcnt(0)
	v_cmp_gt_i64_e32 vcc, v[2:3], v[8:9]
	v_cndmask_b32_e64 v7, 0, 1, vcc
	v_add_co_u32_e32 v4, vcc, v4, v7
	v_addc_co_u32_e32 v5, vcc, 0, v5, vcc
	s_cbranch_scc1 .LBB98_74
	s_branch .LBB98_67
.LBB98_75:
	s_endpgm
	.section	.rodata,"a",@progbits
	.p2align	6, 0x0
	.amdhsa_kernel _ZN9rocsparseL26csrgemm_fill_block_per_rowILj512ELj32ELj1024ELj137ELj64EllfEEvT5_PKS1_S3_NS_24const_host_device_scalarIT6_EEPKT4_S3_PKS5_S9_S3_SB_S6_S9_S3_SB_S9_PS1_PS5_21rocsparse_index_base_SE_SE_SE_bbb
		.amdhsa_group_segment_fixed_size 0
		.amdhsa_private_segment_fixed_size 0
		.amdhsa_kernarg_size 156
		.amdhsa_user_sgpr_count 6
		.amdhsa_user_sgpr_private_segment_buffer 1
		.amdhsa_user_sgpr_dispatch_ptr 0
		.amdhsa_user_sgpr_queue_ptr 0
		.amdhsa_user_sgpr_kernarg_segment_ptr 1
		.amdhsa_user_sgpr_dispatch_id 0
		.amdhsa_user_sgpr_flat_scratch_init 0
		.amdhsa_user_sgpr_kernarg_preload_length 0
		.amdhsa_user_sgpr_kernarg_preload_offset 0
		.amdhsa_user_sgpr_private_segment_size 0
		.amdhsa_uses_dynamic_stack 0
		.amdhsa_system_sgpr_private_segment_wavefront_offset 0
		.amdhsa_system_sgpr_workgroup_id_x 1
		.amdhsa_system_sgpr_workgroup_id_y 0
		.amdhsa_system_sgpr_workgroup_id_z 0
		.amdhsa_system_sgpr_workgroup_info 0
		.amdhsa_system_vgpr_workitem_id 0
		.amdhsa_next_free_vgpr 26
		.amdhsa_next_free_sgpr 55
		.amdhsa_accum_offset 28
		.amdhsa_reserve_vcc 1
		.amdhsa_reserve_flat_scratch 0
		.amdhsa_float_round_mode_32 0
		.amdhsa_float_round_mode_16_64 0
		.amdhsa_float_denorm_mode_32 3
		.amdhsa_float_denorm_mode_16_64 3
		.amdhsa_dx10_clamp 1
		.amdhsa_ieee_mode 1
		.amdhsa_fp16_overflow 0
		.amdhsa_tg_split 0
		.amdhsa_exception_fp_ieee_invalid_op 0
		.amdhsa_exception_fp_denorm_src 0
		.amdhsa_exception_fp_ieee_div_zero 0
		.amdhsa_exception_fp_ieee_overflow 0
		.amdhsa_exception_fp_ieee_underflow 0
		.amdhsa_exception_fp_ieee_inexact 0
		.amdhsa_exception_int_div_zero 0
	.end_amdhsa_kernel
	.section	.text._ZN9rocsparseL26csrgemm_fill_block_per_rowILj512ELj32ELj1024ELj137ELj64EllfEEvT5_PKS1_S3_NS_24const_host_device_scalarIT6_EEPKT4_S3_PKS5_S9_S3_SB_S6_S9_S3_SB_S9_PS1_PS5_21rocsparse_index_base_SE_SE_SE_bbb,"axG",@progbits,_ZN9rocsparseL26csrgemm_fill_block_per_rowILj512ELj32ELj1024ELj137ELj64EllfEEvT5_PKS1_S3_NS_24const_host_device_scalarIT6_EEPKT4_S3_PKS5_S9_S3_SB_S6_S9_S3_SB_S9_PS1_PS5_21rocsparse_index_base_SE_SE_SE_bbb,comdat
.Lfunc_end98:
	.size	_ZN9rocsparseL26csrgemm_fill_block_per_rowILj512ELj32ELj1024ELj137ELj64EllfEEvT5_PKS1_S3_NS_24const_host_device_scalarIT6_EEPKT4_S3_PKS5_S9_S3_SB_S6_S9_S3_SB_S9_PS1_PS5_21rocsparse_index_base_SE_SE_SE_bbb, .Lfunc_end98-_ZN9rocsparseL26csrgemm_fill_block_per_rowILj512ELj32ELj1024ELj137ELj64EllfEEvT5_PKS1_S3_NS_24const_host_device_scalarIT6_EEPKT4_S3_PKS5_S9_S3_SB_S6_S9_S3_SB_S9_PS1_PS5_21rocsparse_index_base_SE_SE_SE_bbb
                                        ; -- End function
	.section	.AMDGPU.csdata,"",@progbits
; Kernel info:
; codeLenInByte = 2784
; NumSgprs: 59
; NumVgprs: 26
; NumAgprs: 0
; TotalNumVgprs: 26
; ScratchSize: 0
; MemoryBound: 0
; FloatMode: 240
; IeeeMode: 1
; LDSByteSize: 0 bytes/workgroup (compile time only)
; SGPRBlocks: 7
; VGPRBlocks: 3
; NumSGPRsForWavesPerEU: 59
; NumVGPRsForWavesPerEU: 26
; AccumOffset: 28
; Occupancy: 8
; WaveLimiterHint : 1
; COMPUTE_PGM_RSRC2:SCRATCH_EN: 0
; COMPUTE_PGM_RSRC2:USER_SGPR: 6
; COMPUTE_PGM_RSRC2:TRAP_HANDLER: 0
; COMPUTE_PGM_RSRC2:TGID_X_EN: 1
; COMPUTE_PGM_RSRC2:TGID_Y_EN: 0
; COMPUTE_PGM_RSRC2:TGID_Z_EN: 0
; COMPUTE_PGM_RSRC2:TIDIG_COMP_CNT: 0
; COMPUTE_PGM_RSRC3_GFX90A:ACCUM_OFFSET: 6
; COMPUTE_PGM_RSRC3_GFX90A:TG_SPLIT: 0
	.section	.text._ZN9rocsparseL26csrgemm_fill_block_per_rowILj1024ELj32ELj2048ELj137ELj32EllfEEvT5_PKS1_S3_NS_24const_host_device_scalarIT6_EEPKT4_S3_PKS5_S9_S3_SB_S6_S9_S3_SB_S9_PS1_PS5_21rocsparse_index_base_SE_SE_SE_bbb,"axG",@progbits,_ZN9rocsparseL26csrgemm_fill_block_per_rowILj1024ELj32ELj2048ELj137ELj32EllfEEvT5_PKS1_S3_NS_24const_host_device_scalarIT6_EEPKT4_S3_PKS5_S9_S3_SB_S6_S9_S3_SB_S9_PS1_PS5_21rocsparse_index_base_SE_SE_SE_bbb,comdat
	.globl	_ZN9rocsparseL26csrgemm_fill_block_per_rowILj1024ELj32ELj2048ELj137ELj32EllfEEvT5_PKS1_S3_NS_24const_host_device_scalarIT6_EEPKT4_S3_PKS5_S9_S3_SB_S6_S9_S3_SB_S9_PS1_PS5_21rocsparse_index_base_SE_SE_SE_bbb ; -- Begin function _ZN9rocsparseL26csrgemm_fill_block_per_rowILj1024ELj32ELj2048ELj137ELj32EllfEEvT5_PKS1_S3_NS_24const_host_device_scalarIT6_EEPKT4_S3_PKS5_S9_S3_SB_S6_S9_S3_SB_S9_PS1_PS5_21rocsparse_index_base_SE_SE_SE_bbb
	.p2align	8
	.type	_ZN9rocsparseL26csrgemm_fill_block_per_rowILj1024ELj32ELj2048ELj137ELj32EllfEEvT5_PKS1_S3_NS_24const_host_device_scalarIT6_EEPKT4_S3_PKS5_S9_S3_SB_S6_S9_S3_SB_S9_PS1_PS5_21rocsparse_index_base_SE_SE_SE_bbb,@function
_ZN9rocsparseL26csrgemm_fill_block_per_rowILj1024ELj32ELj2048ELj137ELj32EllfEEvT5_PKS1_S3_NS_24const_host_device_scalarIT6_EEPKT4_S3_PKS5_S9_S3_SB_S6_S9_S3_SB_S9_PS1_PS5_21rocsparse_index_base_SE_SE_SE_bbb: ; @_ZN9rocsparseL26csrgemm_fill_block_per_rowILj1024ELj32ELj2048ELj137ELj32EllfEEvT5_PKS1_S3_NS_24const_host_device_scalarIT6_EEPKT4_S3_PKS5_S9_S3_SB_S6_S9_S3_SB_S9_PS1_PS5_21rocsparse_index_base_SE_SE_SE_bbb
; %bb.0:
	s_load_dword s7, s[4:5], 0x98
	s_load_dwordx4 s[68:71], s[4:5], 0x88
	s_load_dwordx2 s[0:1], s[4:5], 0x18
	s_load_dwordx2 s[24:25], s[4:5], 0x50
	s_waitcnt lgkmcnt(0)
	s_bitcmp1_b32 s7, 0
	s_cselect_b64 s[2:3], -1, 0
	s_bitcmp1_b32 s7, 16
	s_cselect_b64 s[26:27], -1, 0
	s_xor_b64 s[8:9], s[2:3], -1
	s_or_b64 s[8:9], s[8:9], s[26:27]
	s_and_b64 vcc, exec, s[8:9]
	s_cbranch_vccnz .LBB99_2
; %bb.1:
	s_load_dword s0, s[0:1], 0x0
	s_waitcnt lgkmcnt(0)
	v_mov_b32_e32 v17, s0
	s_branch .LBB99_3
.LBB99_2:
	v_mov_b32_e32 v1, s0
	v_cndmask_b32_e64 v17, 0, v1, s[2:3]
.LBB99_3:
	s_load_dwordx4 s[72:75], s[4:5], 0x78
	s_load_dwordx8 s[60:67], s[4:5], 0x58
	s_load_dwordx4 s[16:19], s[4:5], 0x40
	s_load_dwordx4 s[20:23], s[4:5], 0x8
	s_load_dwordx8 s[8:15], s[4:5], 0x20
	s_bitcmp1_b32 s7, 8
	s_cselect_b64 s[0:1], -1, 0
	s_xor_b64 s[28:29], s[0:1], -1
	s_or_b64 s[26:27], s[28:29], s[26:27]
	s_and_b64 vcc, exec, s[26:27]
	s_cbranch_vccnz .LBB99_5
; %bb.4:
	s_load_dword s7, s[24:25], 0x0
	s_waitcnt lgkmcnt(0)
	v_mov_b32_e32 v11, s7
	s_branch .LBB99_6
.LBB99_5:
	v_mov_b32_e32 v1, s24
	v_cndmask_b32_e64 v11, 0, v1, s[0:1]
.LBB99_6:
	s_load_dwordx2 s[76:77], s[4:5], 0x0
	v_lshl_add_u32 v1, v0, 2, 0
	v_add_u32_e32 v1, 0x4000, v1
	v_or_b32_e32 v14, 0xfffffc00, v0
	v_lshl_add_u32 v15, v0, 3, 0
	s_mov_b64 s[4:5], 0
	s_waitcnt lgkmcnt(0)
	v_pk_mov_b32 v[2:3], s[76:77], s[76:77] op_sel:[0,1]
	v_mov_b32_e32 v4, 0
	v_mov_b32_e32 v5, v15
	;; [unrolled: 1-line block ×4, first 2 shown]
.LBB99_7:                               ; =>This Inner Loop Header: Depth=1
	v_add_co_u32_e32 v6, vcc, 0x400, v6
	s_xor_b64 s[24:25], vcc, -1
	s_and_b64 s[24:25], exec, s[24:25]
	ds_write_b64 v5, v[2:3]
	ds_write_b32 v7, v4
	v_add_u32_e32 v7, 0x1000, v7
	s_or_b64 s[4:5], s[24:25], s[4:5]
	v_add_u32_e32 v5, 0x2000, v5
	s_andn2_b64 exec, exec, s[4:5]
	s_cbranch_execnz .LBB99_7
; %bb.8:
	s_or_b64 exec, exec, s[4:5]
	s_waitcnt lgkmcnt(0)
	s_barrier
	s_load_dwordx2 s[4:5], s[20:21], 0x0
	s_mov_b32 s7, 0
	v_lshrrev_b32_e32 v16, 5, v0
	s_waitcnt lgkmcnt(0)
	s_lshl_b64 s[4:5], s[4:5], 3
	s_add_u32 s20, s22, s4
	s_addc_u32 s21, s23, s5
	s_lshl_b64 s[4:5], s[6:7], 3
	s_add_u32 s4, s20, s4
	s_addc_u32 s5, s21, s5
	s_load_dwordx2 s[78:79], s[4:5], 0x0
	s_and_b64 vcc, exec, s[2:3]
	s_cbranch_vccz .LBB99_28
; %bb.9:
	s_waitcnt lgkmcnt(0)
	s_lshl_b64 s[2:3], s[78:79], 3
	s_add_u32 s2, s8, s2
	s_addc_u32 s3, s9, s3
	s_load_dwordx4 s[20:23], s[2:3], 0x0
	v_subrev_co_u32_e32 v2, vcc, s68, v16
	v_subb_co_u32_e64 v3, s[4:5], 0, 0, vcc
	s_waitcnt lgkmcnt(0)
	s_sub_u32 s2, s22, s68
	v_mov_b32_e32 v4, s21
	v_add_co_u32_e32 v2, vcc, s20, v2
	s_subb_u32 s3, s23, 0
	v_addc_co_u32_e32 v3, vcc, v4, v3, vcc
	v_cmp_gt_i64_e32 vcc, s[2:3], v[2:3]
	s_and_saveexec_b64 s[4:5], vcc
	s_cbranch_execz .LBB99_27
; %bb.10:
	v_and_b32_e32 v4, 31, v0
	v_subrev_co_u32_e32 v18, vcc, s69, v4
	s_mov_b32 s6, 0
	v_subb_co_u32_e64 v19, s[8:9], 0, 0, vcc
	s_mov_b32 s33, s68
	s_mov_b32 s36, s69
	s_mov_b64 s[8:9], 0
	v_mov_b32_e32 v20, s11
	v_mov_b32_e32 v21, s7
	;; [unrolled: 1-line block ×4, first 2 shown]
	s_movk_i32 s11, 0x89
	s_branch .LBB99_12
.LBB99_11:                              ;   in Loop: Header=BB99_12 Depth=1
	s_or_b64 exec, exec, s[6:7]
	v_add_co_u32_e32 v2, vcc, 32, v2
	v_addc_co_u32_e32 v3, vcc, 0, v3, vcc
	v_cmp_le_i64_e32 vcc, s[2:3], v[2:3]
	s_or_b64 s[8:9], vcc, s[8:9]
	s_andn2_b64 exec, exec, s[8:9]
	s_cbranch_execz .LBB99_27
.LBB99_12:                              ; =>This Loop Header: Depth=1
                                        ;     Child Loop BB99_15 Depth 2
                                        ;       Child Loop BB99_17 Depth 3
	v_lshlrev_b64 v[4:5], 3, v[2:3]
	v_add_co_u32_e32 v4, vcc, s10, v4
	v_addc_co_u32_e32 v5, vcc, v20, v5, vcc
	global_load_dwordx2 v[4:5], v[4:5], off
	s_waitcnt vmcnt(0)
	v_subrev_co_u32_e32 v4, vcc, s33, v4
	v_subb_co_u32_e32 v5, vcc, v5, v21, vcc
	v_lshlrev_b64 v[4:5], 3, v[4:5]
	v_add_co_u32_e32 v4, vcc, s14, v4
	v_addc_co_u32_e32 v5, vcc, v22, v5, vcc
	global_load_dwordx4 v[6:9], v[4:5], off
	s_waitcnt vmcnt(0)
	v_subrev_co_u32_e32 v4, vcc, s36, v8
	v_subb_co_u32_e32 v5, vcc, v9, v23, vcc
	v_add_co_u32_e32 v6, vcc, v6, v18
	v_addc_co_u32_e32 v7, vcc, v7, v19, vcc
	v_cmp_lt_i64_e32 vcc, v[6:7], v[4:5]
	s_and_saveexec_b64 s[6:7], vcc
	s_cbranch_execz .LBB99_11
; %bb.13:                               ;   in Loop: Header=BB99_12 Depth=1
	v_lshlrev_b64 v[8:9], 2, v[2:3]
	v_mov_b32_e32 v10, s13
	v_add_co_u32_e32 v8, vcc, s12, v8
	v_addc_co_u32_e32 v9, vcc, v10, v9, vcc
	global_load_dword v8, v[8:9], off
	s_mov_b64 s[20:21], 0
	s_waitcnt vmcnt(0)
	v_mul_f32_e32 v24, v17, v8
	s_branch .LBB99_15
.LBB99_14:                              ;   in Loop: Header=BB99_15 Depth=2
	s_or_b64 exec, exec, s[22:23]
	v_add_co_u32_e32 v6, vcc, 32, v6
	v_addc_co_u32_e32 v7, vcc, 0, v7, vcc
	v_cmp_ge_i64_e32 vcc, v[6:7], v[4:5]
	s_or_b64 s[20:21], vcc, s[20:21]
	s_andn2_b64 exec, exec, s[20:21]
	s_cbranch_execz .LBB99_11
.LBB99_15:                              ;   Parent Loop BB99_12 Depth=1
                                        ; =>  This Loop Header: Depth=2
                                        ;       Child Loop BB99_17 Depth 3
	v_lshlrev_b64 v[8:9], 3, v[6:7]
	v_mov_b32_e32 v10, s17
	v_add_co_u32_e32 v8, vcc, s16, v8
	v_addc_co_u32_e32 v9, vcc, v10, v9, vcc
	v_lshlrev_b64 v[12:13], 2, v[6:7]
	v_mov_b32_e32 v10, s19
	v_add_co_u32_e32 v12, vcc, s18, v12
	global_load_dwordx2 v[8:9], v[8:9], off
	v_addc_co_u32_e32 v13, vcc, v10, v13, vcc
	global_load_dword v10, v[12:13], off
	s_mov_b64 s[22:23], 0
	s_waitcnt vmcnt(1)
	v_subrev_co_u32_e32 v8, vcc, s36, v8
	v_subb_co_u32_e32 v9, vcc, v9, v23, vcc
	s_waitcnt vmcnt(0)
	v_mul_f32_e32 v25, v24, v10
	v_mul_lo_u32 v10, v8, s11
	v_and_b32_e32 v10, 0x7ff, v10
	s_branch .LBB99_17
.LBB99_16:                              ;   in Loop: Header=BB99_17 Depth=3
	s_or_b64 exec, exec, s[24:25]
	s_xor_b64 s[24:25], s[26:27], -1
	s_and_b64 s[24:25], exec, s[24:25]
	s_or_b64 s[22:23], s[24:25], s[22:23]
	s_andn2_b64 exec, exec, s[22:23]
	s_cbranch_execz .LBB99_14
.LBB99_17:                              ;   Parent Loop BB99_12 Depth=1
                                        ;     Parent Loop BB99_15 Depth=2
                                        ; =>    This Inner Loop Header: Depth=3
	v_lshl_add_u32 v26, v10, 3, 0
	ds_read_b64 v[12:13], v26
                                        ; implicit-def: $sgpr26_sgpr27
	s_waitcnt lgkmcnt(0)
	v_cmp_ne_u64_e32 vcc, v[12:13], v[8:9]
	s_and_saveexec_b64 s[24:25], vcc
	s_xor_b64 s[24:25], exec, s[24:25]
	s_cbranch_execz .LBB99_25
; %bb.18:                               ;   in Loop: Header=BB99_17 Depth=3
	v_cmp_ne_u64_e32 vcc, s[76:77], v[12:13]
                                        ; implicit-def: $sgpr26_sgpr27
	s_and_saveexec_b64 s[28:29], vcc
	s_xor_b64 s[28:29], exec, s[28:29]
; %bb.19:                               ;   in Loop: Header=BB99_17 Depth=3
	v_add_u32_e32 v10, 1, v10
	v_and_b32_e32 v10, 0x7ff, v10
	s_mov_b64 s[26:27], -1
                                        ; implicit-def: $vgpr26
; %bb.20:                               ;   in Loop: Header=BB99_17 Depth=3
	s_andn2_saveexec_b64 s[28:29], s[28:29]
	s_cbranch_execz .LBB99_24
; %bb.21:                               ;   in Loop: Header=BB99_17 Depth=3
	v_pk_mov_b32 v[12:13], s[76:77], s[76:77] op_sel:[0,1]
	ds_cmpst_rtn_b64 v[12:13], v26, v[12:13], v[8:9]
	s_mov_b64 s[30:31], -1
	s_waitcnt lgkmcnt(0)
	v_cmp_eq_u64_e32 vcc, s[76:77], v[12:13]
	s_and_saveexec_b64 s[34:35], vcc
	s_cbranch_execz .LBB99_23
; %bb.22:                               ;   in Loop: Header=BB99_17 Depth=3
	v_lshlrev_b32_e32 v12, 2, v10
	v_sub_u32_e32 v12, v26, v12
	ds_add_f32 v12, v25 offset:16384
	s_xor_b64 s[30:31], exec, -1
.LBB99_23:                              ;   in Loop: Header=BB99_17 Depth=3
	s_or_b64 exec, exec, s[34:35]
	s_andn2_b64 s[26:27], s[26:27], exec
	s_and_b64 s[30:31], s[30:31], exec
	s_or_b64 s[26:27], s[26:27], s[30:31]
.LBB99_24:                              ;   in Loop: Header=BB99_17 Depth=3
	s_or_b64 exec, exec, s[28:29]
	s_and_b64 s[26:27], s[26:27], exec
                                        ; implicit-def: $vgpr26
.LBB99_25:                              ;   in Loop: Header=BB99_17 Depth=3
	s_andn2_saveexec_b64 s[24:25], s[24:25]
	s_cbranch_execz .LBB99_16
; %bb.26:                               ;   in Loop: Header=BB99_17 Depth=3
	v_lshlrev_b32_e32 v12, 2, v10
	v_sub_u32_e32 v12, v26, v12
	ds_add_f32 v12, v25 offset:16384
	s_andn2_b64 s[26:27], s[26:27], exec
	s_branch .LBB99_16
.LBB99_27:
	s_or_b64 exec, exec, s[4:5]
.LBB99_28:
	s_andn2_b64 vcc, exec, s[0:1]
	s_cbranch_vccnz .LBB99_45
; %bb.29:
	s_waitcnt lgkmcnt(0)
	s_lshl_b64 s[0:1], s[78:79], 3
	s_add_u32 s0, s60, s0
	s_addc_u32 s1, s61, s1
	s_load_dwordx4 s[8:11], s[0:1], 0x0
	v_subrev_co_u32_e32 v2, vcc, s71, v0
	v_subb_co_u32_e64 v3, s[2:3], 0, 0, vcc
	s_waitcnt lgkmcnt(0)
	s_sub_u32 s0, s10, s71
	v_mov_b32_e32 v4, s9
	v_add_co_u32_e32 v2, vcc, s8, v2
	s_subb_u32 s1, s11, 0
	v_addc_co_u32_e32 v3, vcc, v4, v3, vcc
	s_mov_b32 s6, 0
	v_cmp_gt_i64_e32 vcc, s[0:1], v[2:3]
	s_and_saveexec_b64 s[2:3], vcc
	s_cbranch_execz .LBB99_44
; %bb.30:
	s_mov_b32 s18, s71
	s_mov_b64 s[4:5], 0
	v_mov_b32_e32 v7, s63
	v_mov_b32_e32 v10, s6
	;; [unrolled: 1-line block ×3, first 2 shown]
	s_movk_i32 s19, 0x89
	s_branch .LBB99_32
.LBB99_31:                              ;   in Loop: Header=BB99_32 Depth=1
	s_or_b64 exec, exec, s[6:7]
	v_add_co_u32_e32 v2, vcc, 0x400, v2
	v_addc_co_u32_e32 v3, vcc, 0, v3, vcc
	v_cmp_le_i64_e32 vcc, s[0:1], v[2:3]
	s_or_b64 s[4:5], vcc, s[4:5]
	s_andn2_b64 exec, exec, s[4:5]
	s_cbranch_execz .LBB99_44
.LBB99_32:                              ; =>This Loop Header: Depth=1
                                        ;     Child Loop BB99_34 Depth 2
	v_lshlrev_b64 v[4:5], 3, v[2:3]
	v_add_co_u32_e32 v4, vcc, s62, v4
	v_addc_co_u32_e32 v5, vcc, v7, v5, vcc
	v_lshlrev_b64 v[8:9], 2, v[2:3]
	v_add_co_u32_e32 v8, vcc, s64, v8
	global_load_dwordx2 v[4:5], v[4:5], off
	v_addc_co_u32_e32 v9, vcc, v12, v9, vcc
	global_load_dword v6, v[8:9], off
	s_mov_b64 s[6:7], 0
	s_waitcnt vmcnt(1)
	v_subrev_co_u32_e32 v4, vcc, s18, v4
	v_subb_co_u32_e32 v5, vcc, v5, v10, vcc
	s_waitcnt vmcnt(0)
	v_mul_f32_e32 v13, v11, v6
	v_mul_lo_u32 v6, v4, s19
	v_and_b32_e32 v6, 0x7ff, v6
	s_branch .LBB99_34
.LBB99_33:                              ;   in Loop: Header=BB99_34 Depth=2
	s_or_b64 exec, exec, s[8:9]
	s_xor_b64 s[8:9], s[10:11], -1
	s_and_b64 s[8:9], exec, s[8:9]
	s_or_b64 s[6:7], s[8:9], s[6:7]
	s_andn2_b64 exec, exec, s[6:7]
	s_cbranch_execz .LBB99_31
.LBB99_34:                              ;   Parent Loop BB99_32 Depth=1
                                        ; =>  This Inner Loop Header: Depth=2
	v_lshl_add_u32 v17, v6, 3, 0
	ds_read_b64 v[8:9], v17
                                        ; implicit-def: $sgpr10_sgpr11
	s_waitcnt lgkmcnt(0)
	v_cmp_ne_u64_e32 vcc, v[8:9], v[4:5]
	s_and_saveexec_b64 s[8:9], vcc
	s_xor_b64 s[8:9], exec, s[8:9]
	s_cbranch_execz .LBB99_42
; %bb.35:                               ;   in Loop: Header=BB99_34 Depth=2
	v_cmp_ne_u64_e32 vcc, s[76:77], v[8:9]
                                        ; implicit-def: $sgpr10_sgpr11
	s_and_saveexec_b64 s[12:13], vcc
	s_xor_b64 s[12:13], exec, s[12:13]
; %bb.36:                               ;   in Loop: Header=BB99_34 Depth=2
	v_add_u32_e32 v6, 1, v6
	v_and_b32_e32 v6, 0x7ff, v6
	s_mov_b64 s[10:11], -1
                                        ; implicit-def: $vgpr17
; %bb.37:                               ;   in Loop: Header=BB99_34 Depth=2
	s_andn2_saveexec_b64 s[12:13], s[12:13]
	s_cbranch_execz .LBB99_41
; %bb.38:                               ;   in Loop: Header=BB99_34 Depth=2
	v_pk_mov_b32 v[8:9], s[76:77], s[76:77] op_sel:[0,1]
	ds_cmpst_rtn_b64 v[8:9], v17, v[8:9], v[4:5]
	s_mov_b64 s[14:15], -1
	s_waitcnt lgkmcnt(0)
	v_cmp_eq_u64_e32 vcc, s[76:77], v[8:9]
	s_and_saveexec_b64 s[16:17], vcc
	s_cbranch_execz .LBB99_40
; %bb.39:                               ;   in Loop: Header=BB99_34 Depth=2
	v_lshlrev_b32_e32 v8, 2, v6
	v_sub_u32_e32 v8, v17, v8
	ds_add_f32 v8, v13 offset:16384
	s_xor_b64 s[14:15], exec, -1
.LBB99_40:                              ;   in Loop: Header=BB99_34 Depth=2
	s_or_b64 exec, exec, s[16:17]
	s_andn2_b64 s[10:11], s[10:11], exec
	s_and_b64 s[14:15], s[14:15], exec
	s_or_b64 s[10:11], s[10:11], s[14:15]
.LBB99_41:                              ;   in Loop: Header=BB99_34 Depth=2
	s_or_b64 exec, exec, s[12:13]
	s_and_b64 s[10:11], s[10:11], exec
                                        ; implicit-def: $vgpr17
.LBB99_42:                              ;   in Loop: Header=BB99_34 Depth=2
	s_andn2_saveexec_b64 s[8:9], s[8:9]
	s_cbranch_execz .LBB99_33
; %bb.43:                               ;   in Loop: Header=BB99_34 Depth=2
	v_lshlrev_b32_e32 v8, 2, v6
	v_sub_u32_e32 v8, v17, v8
	ds_add_f32 v8, v13 offset:16384
	s_andn2_b64 s[10:11], s[10:11], exec
	s_branch .LBB99_33
.LBB99_44:
	s_or_b64 exec, exec, s[2:3]
.LBB99_45:
	s_movk_i32 s33, 0x1ff
	v_cmp_lt_u32_e64 s[34:35], s33, v0
	s_movk_i32 s33, 0x21f
	v_cmp_lt_u32_e64 s[36:37], s33, v0
	;; [unrolled: 2-line block ×12, first 2 shown]
	s_movk_i32 s33, 0x37f
	v_mbcnt_lo_u32_b32 v2, -1, 0
	v_cmp_lt_u32_e64 s[58:59], s33, v0
	s_movk_i32 s33, 0x39f
	v_mbcnt_hi_u32_b32 v2, -1, v2
	v_cmp_lt_u32_e64 s[60:61], s33, v0
	s_movk_i32 s33, 0x3bf
	v_sub_u32_e32 v2, 63, v2
	s_movk_i32 s0, 0x3ff
	s_movk_i32 s6, 0x5f
	s_movk_i32 s8, 0x7f
	s_movk_i32 s10, 0x9f
	s_movk_i32 s12, 0xbf
	s_movk_i32 s14, 0xdf
	s_movk_i32 s16, 0xff
	s_movk_i32 s18, 0x11f
	s_movk_i32 s20, 0x13f
	s_movk_i32 s22, 0x15f
	s_movk_i32 s24, 0x17f
	s_movk_i32 s26, 0x19f
	s_movk_i32 s28, 0x1bf
	s_movk_i32 s30, 0x1df
	v_cmp_lt_u32_e64 s[62:63], s33, v0
	s_movk_i32 s33, 0x3df
	v_mov_b32_e32 v3, 0
	v_lshrrev_b64 v[4:5], v2, -1
	v_lshl_add_u32 v12, v16, 3, 0
	v_cmp_eq_u32_e64 s[0:1], s0, v0
	v_cmp_lt_u32_e64 s[2:3], 31, v0
	v_cmp_lt_u32_e64 s[4:5], 63, v0
	;; [unrolled: 1-line block ×16, first 2 shown]
	s_mov_b64 s[68:69], 0
	v_pk_mov_b32 v[6:7], 0, 0
	s_waitcnt lgkmcnt(0)
	s_barrier
	s_branch .LBB99_47
.LBB99_46:                              ;   in Loop: Header=BB99_47 Depth=1
	s_or_b64 exec, exec, s[80:81]
	s_waitcnt lgkmcnt(0)
	s_barrier
	ds_read_b64 v[8:9], v3 offset:24824
	v_add_u32_e32 v1, 0x1000, v1
	v_add_u32_e32 v15, 0x2000, v15
	s_waitcnt lgkmcnt(0)
	v_add_co_u32_e32 v6, vcc, v8, v6
	v_addc_co_u32_e32 v7, vcc, v9, v7, vcc
	v_add_co_u32_e32 v14, vcc, 0x400, v14
	s_xor_b64 s[80:81], vcc, -1
	s_and_b64 s[80:81], exec, s[80:81]
	s_or_b64 s[68:69], s[80:81], s[68:69]
	s_andn2_b64 exec, exec, s[68:69]
	s_cbranch_execz .LBB99_113
.LBB99_47:                              ; =>This Inner Loop Header: Depth=1
	ds_read_b64 v[8:9], v15
	ds_read_b32 v13, v1
	s_waitcnt lgkmcnt(0)
	s_barrier
	v_cmp_gt_i64_e32 vcc, s[76:77], v[8:9]
	v_and_b32_e32 v11, vcc_lo, v4
	s_bcnt1_i32_b64 s33, vcc
	v_and_b32_e32 v10, vcc_hi, v5
	v_bcnt_u32_b32 v11, v11, 0
	v_mov_b32_e32 v2, s33
	v_bcnt_u32_b32 v10, v10, v11
	ds_write_b64 v12, v[2:3] offset:24576
	s_waitcnt lgkmcnt(0)
	s_barrier
	s_and_saveexec_b64 s[80:81], s[2:3]
	s_cbranch_execnz .LBB99_80
; %bb.48:                               ;   in Loop: Header=BB99_47 Depth=1
	s_or_b64 exec, exec, s[80:81]
	s_and_saveexec_b64 s[80:81], s[4:5]
	s_cbranch_execnz .LBB99_81
.LBB99_49:                              ;   in Loop: Header=BB99_47 Depth=1
	s_or_b64 exec, exec, s[80:81]
	s_and_saveexec_b64 s[80:81], s[6:7]
	s_cbranch_execnz .LBB99_82
.LBB99_50:                              ;   in Loop: Header=BB99_47 Depth=1
	s_or_b64 exec, exec, s[80:81]
	s_and_saveexec_b64 s[80:81], s[8:9]
	s_cbranch_execnz .LBB99_83
.LBB99_51:                              ;   in Loop: Header=BB99_47 Depth=1
	s_or_b64 exec, exec, s[80:81]
	s_and_saveexec_b64 s[80:81], s[10:11]
	s_cbranch_execnz .LBB99_84
.LBB99_52:                              ;   in Loop: Header=BB99_47 Depth=1
	s_or_b64 exec, exec, s[80:81]
	s_and_saveexec_b64 s[80:81], s[12:13]
	s_cbranch_execnz .LBB99_85
.LBB99_53:                              ;   in Loop: Header=BB99_47 Depth=1
	s_or_b64 exec, exec, s[80:81]
	s_and_saveexec_b64 s[80:81], s[14:15]
	s_cbranch_execnz .LBB99_86
.LBB99_54:                              ;   in Loop: Header=BB99_47 Depth=1
	s_or_b64 exec, exec, s[80:81]
	s_and_saveexec_b64 s[80:81], s[16:17]
	s_cbranch_execnz .LBB99_87
.LBB99_55:                              ;   in Loop: Header=BB99_47 Depth=1
	s_or_b64 exec, exec, s[80:81]
	s_and_saveexec_b64 s[80:81], s[18:19]
	s_cbranch_execnz .LBB99_88
.LBB99_56:                              ;   in Loop: Header=BB99_47 Depth=1
	s_or_b64 exec, exec, s[80:81]
	s_and_saveexec_b64 s[80:81], s[20:21]
	s_cbranch_execnz .LBB99_89
.LBB99_57:                              ;   in Loop: Header=BB99_47 Depth=1
	s_or_b64 exec, exec, s[80:81]
	s_and_saveexec_b64 s[80:81], s[22:23]
	s_cbranch_execnz .LBB99_90
.LBB99_58:                              ;   in Loop: Header=BB99_47 Depth=1
	s_or_b64 exec, exec, s[80:81]
	s_and_saveexec_b64 s[80:81], s[24:25]
	s_cbranch_execnz .LBB99_91
.LBB99_59:                              ;   in Loop: Header=BB99_47 Depth=1
	s_or_b64 exec, exec, s[80:81]
	s_and_saveexec_b64 s[80:81], s[26:27]
	s_cbranch_execnz .LBB99_92
.LBB99_60:                              ;   in Loop: Header=BB99_47 Depth=1
	s_or_b64 exec, exec, s[80:81]
	s_and_saveexec_b64 s[80:81], s[28:29]
	s_cbranch_execnz .LBB99_93
.LBB99_61:                              ;   in Loop: Header=BB99_47 Depth=1
	s_or_b64 exec, exec, s[80:81]
	s_and_saveexec_b64 s[80:81], s[30:31]
	s_cbranch_execnz .LBB99_94
.LBB99_62:                              ;   in Loop: Header=BB99_47 Depth=1
	s_or_b64 exec, exec, s[80:81]
	s_and_saveexec_b64 s[80:81], s[34:35]
	s_cbranch_execnz .LBB99_95
.LBB99_63:                              ;   in Loop: Header=BB99_47 Depth=1
	s_or_b64 exec, exec, s[80:81]
	s_and_saveexec_b64 s[80:81], s[36:37]
	s_cbranch_execnz .LBB99_96
.LBB99_64:                              ;   in Loop: Header=BB99_47 Depth=1
	s_or_b64 exec, exec, s[80:81]
	s_and_saveexec_b64 s[80:81], s[38:39]
	s_cbranch_execnz .LBB99_97
.LBB99_65:                              ;   in Loop: Header=BB99_47 Depth=1
	s_or_b64 exec, exec, s[80:81]
	s_and_saveexec_b64 s[80:81], s[40:41]
	s_cbranch_execnz .LBB99_98
.LBB99_66:                              ;   in Loop: Header=BB99_47 Depth=1
	s_or_b64 exec, exec, s[80:81]
	s_and_saveexec_b64 s[80:81], s[42:43]
	s_cbranch_execnz .LBB99_99
.LBB99_67:                              ;   in Loop: Header=BB99_47 Depth=1
	s_or_b64 exec, exec, s[80:81]
	s_and_saveexec_b64 s[80:81], s[44:45]
	s_cbranch_execnz .LBB99_100
.LBB99_68:                              ;   in Loop: Header=BB99_47 Depth=1
	s_or_b64 exec, exec, s[80:81]
	s_and_saveexec_b64 s[80:81], s[46:47]
	s_cbranch_execnz .LBB99_101
.LBB99_69:                              ;   in Loop: Header=BB99_47 Depth=1
	s_or_b64 exec, exec, s[80:81]
	s_and_saveexec_b64 s[80:81], s[48:49]
	s_cbranch_execnz .LBB99_102
.LBB99_70:                              ;   in Loop: Header=BB99_47 Depth=1
	s_or_b64 exec, exec, s[80:81]
	s_and_saveexec_b64 s[80:81], s[50:51]
	s_cbranch_execnz .LBB99_103
.LBB99_71:                              ;   in Loop: Header=BB99_47 Depth=1
	s_or_b64 exec, exec, s[80:81]
	s_and_saveexec_b64 s[80:81], s[52:53]
	s_cbranch_execnz .LBB99_104
.LBB99_72:                              ;   in Loop: Header=BB99_47 Depth=1
	s_or_b64 exec, exec, s[80:81]
	s_and_saveexec_b64 s[80:81], s[54:55]
	s_cbranch_execnz .LBB99_105
.LBB99_73:                              ;   in Loop: Header=BB99_47 Depth=1
	s_or_b64 exec, exec, s[80:81]
	s_and_saveexec_b64 s[80:81], s[56:57]
	s_cbranch_execnz .LBB99_106
.LBB99_74:                              ;   in Loop: Header=BB99_47 Depth=1
	s_or_b64 exec, exec, s[80:81]
	s_and_saveexec_b64 s[80:81], s[58:59]
	s_cbranch_execnz .LBB99_107
.LBB99_75:                              ;   in Loop: Header=BB99_47 Depth=1
	s_or_b64 exec, exec, s[80:81]
	s_and_saveexec_b64 s[80:81], s[60:61]
	s_cbranch_execnz .LBB99_108
.LBB99_76:                              ;   in Loop: Header=BB99_47 Depth=1
	s_or_b64 exec, exec, s[80:81]
	s_and_saveexec_b64 s[80:81], s[62:63]
	s_cbranch_execnz .LBB99_109
.LBB99_77:                              ;   in Loop: Header=BB99_47 Depth=1
	s_or_b64 exec, exec, s[80:81]
	s_and_saveexec_b64 s[80:81], s[64:65]
	s_cbranch_execnz .LBB99_110
.LBB99_78:                              ;   in Loop: Header=BB99_47 Depth=1
	s_or_b64 exec, exec, s[80:81]
	v_ashrrev_i32_e32 v11, 31, v10
	s_and_saveexec_b64 s[80:81], vcc
	s_cbranch_execnz .LBB99_111
.LBB99_79:                              ;   in Loop: Header=BB99_47 Depth=1
	s_or_b64 exec, exec, s[80:81]
	s_and_saveexec_b64 s[80:81], s[0:1]
	s_cbranch_execz .LBB99_46
	s_branch .LBB99_112
.LBB99_80:                              ;   in Loop: Header=BB99_47 Depth=1
	ds_read_b32 v2, v3 offset:24576
	s_waitcnt lgkmcnt(0)
	v_add_u32_e32 v10, v2, v10
	s_or_b64 exec, exec, s[80:81]
	s_and_saveexec_b64 s[80:81], s[4:5]
	s_cbranch_execz .LBB99_49
.LBB99_81:                              ;   in Loop: Header=BB99_47 Depth=1
	ds_read_b32 v2, v3 offset:24584
	s_waitcnt lgkmcnt(0)
	v_add_u32_e32 v10, v10, v2
	s_or_b64 exec, exec, s[80:81]
	s_and_saveexec_b64 s[80:81], s[6:7]
	s_cbranch_execz .LBB99_50
.LBB99_82:                              ;   in Loop: Header=BB99_47 Depth=1
	ds_read_b32 v2, v3 offset:24592
	s_waitcnt lgkmcnt(0)
	v_add_u32_e32 v10, v10, v2
	s_or_b64 exec, exec, s[80:81]
	s_and_saveexec_b64 s[80:81], s[8:9]
	s_cbranch_execz .LBB99_51
.LBB99_83:                              ;   in Loop: Header=BB99_47 Depth=1
	ds_read_b32 v2, v3 offset:24600
	s_waitcnt lgkmcnt(0)
	v_add_u32_e32 v10, v10, v2
	s_or_b64 exec, exec, s[80:81]
	s_and_saveexec_b64 s[80:81], s[10:11]
	s_cbranch_execz .LBB99_52
.LBB99_84:                              ;   in Loop: Header=BB99_47 Depth=1
	ds_read_b32 v2, v3 offset:24608
	s_waitcnt lgkmcnt(0)
	v_add_u32_e32 v10, v10, v2
	s_or_b64 exec, exec, s[80:81]
	s_and_saveexec_b64 s[80:81], s[12:13]
	s_cbranch_execz .LBB99_53
.LBB99_85:                              ;   in Loop: Header=BB99_47 Depth=1
	ds_read_b32 v2, v3 offset:24616
	s_waitcnt lgkmcnt(0)
	v_add_u32_e32 v10, v10, v2
	s_or_b64 exec, exec, s[80:81]
	s_and_saveexec_b64 s[80:81], s[14:15]
	s_cbranch_execz .LBB99_54
.LBB99_86:                              ;   in Loop: Header=BB99_47 Depth=1
	ds_read_b32 v2, v3 offset:24624
	s_waitcnt lgkmcnt(0)
	v_add_u32_e32 v10, v10, v2
	s_or_b64 exec, exec, s[80:81]
	s_and_saveexec_b64 s[80:81], s[16:17]
	s_cbranch_execz .LBB99_55
.LBB99_87:                              ;   in Loop: Header=BB99_47 Depth=1
	ds_read_b32 v2, v3 offset:24632
	s_waitcnt lgkmcnt(0)
	v_add_u32_e32 v10, v10, v2
	s_or_b64 exec, exec, s[80:81]
	s_and_saveexec_b64 s[80:81], s[18:19]
	s_cbranch_execz .LBB99_56
.LBB99_88:                              ;   in Loop: Header=BB99_47 Depth=1
	ds_read_b32 v2, v3 offset:24640
	s_waitcnt lgkmcnt(0)
	v_add_u32_e32 v10, v10, v2
	s_or_b64 exec, exec, s[80:81]
	s_and_saveexec_b64 s[80:81], s[20:21]
	s_cbranch_execz .LBB99_57
.LBB99_89:                              ;   in Loop: Header=BB99_47 Depth=1
	ds_read_b32 v2, v3 offset:24648
	s_waitcnt lgkmcnt(0)
	v_add_u32_e32 v10, v10, v2
	s_or_b64 exec, exec, s[80:81]
	s_and_saveexec_b64 s[80:81], s[22:23]
	s_cbranch_execz .LBB99_58
.LBB99_90:                              ;   in Loop: Header=BB99_47 Depth=1
	ds_read_b32 v2, v3 offset:24656
	s_waitcnt lgkmcnt(0)
	v_add_u32_e32 v10, v10, v2
	s_or_b64 exec, exec, s[80:81]
	s_and_saveexec_b64 s[80:81], s[24:25]
	s_cbranch_execz .LBB99_59
.LBB99_91:                              ;   in Loop: Header=BB99_47 Depth=1
	ds_read_b32 v2, v3 offset:24664
	s_waitcnt lgkmcnt(0)
	v_add_u32_e32 v10, v10, v2
	s_or_b64 exec, exec, s[80:81]
	s_and_saveexec_b64 s[80:81], s[26:27]
	s_cbranch_execz .LBB99_60
.LBB99_92:                              ;   in Loop: Header=BB99_47 Depth=1
	ds_read_b32 v2, v3 offset:24672
	s_waitcnt lgkmcnt(0)
	v_add_u32_e32 v10, v10, v2
	s_or_b64 exec, exec, s[80:81]
	s_and_saveexec_b64 s[80:81], s[28:29]
	s_cbranch_execz .LBB99_61
.LBB99_93:                              ;   in Loop: Header=BB99_47 Depth=1
	ds_read_b32 v2, v3 offset:24680
	s_waitcnt lgkmcnt(0)
	v_add_u32_e32 v10, v10, v2
	s_or_b64 exec, exec, s[80:81]
	s_and_saveexec_b64 s[80:81], s[30:31]
	s_cbranch_execz .LBB99_62
.LBB99_94:                              ;   in Loop: Header=BB99_47 Depth=1
	ds_read_b32 v2, v3 offset:24688
	s_waitcnt lgkmcnt(0)
	v_add_u32_e32 v10, v10, v2
	s_or_b64 exec, exec, s[80:81]
	s_and_saveexec_b64 s[80:81], s[34:35]
	s_cbranch_execz .LBB99_63
.LBB99_95:                              ;   in Loop: Header=BB99_47 Depth=1
	ds_read_b32 v2, v3 offset:24696
	s_waitcnt lgkmcnt(0)
	v_add_u32_e32 v10, v10, v2
	s_or_b64 exec, exec, s[80:81]
	s_and_saveexec_b64 s[80:81], s[36:37]
	s_cbranch_execz .LBB99_64
.LBB99_96:                              ;   in Loop: Header=BB99_47 Depth=1
	ds_read_b32 v2, v3 offset:24704
	s_waitcnt lgkmcnt(0)
	v_add_u32_e32 v10, v10, v2
	s_or_b64 exec, exec, s[80:81]
	s_and_saveexec_b64 s[80:81], s[38:39]
	s_cbranch_execz .LBB99_65
.LBB99_97:                              ;   in Loop: Header=BB99_47 Depth=1
	ds_read_b32 v2, v3 offset:24712
	s_waitcnt lgkmcnt(0)
	v_add_u32_e32 v10, v10, v2
	s_or_b64 exec, exec, s[80:81]
	s_and_saveexec_b64 s[80:81], s[40:41]
	s_cbranch_execz .LBB99_66
.LBB99_98:                              ;   in Loop: Header=BB99_47 Depth=1
	ds_read_b32 v2, v3 offset:24720
	s_waitcnt lgkmcnt(0)
	v_add_u32_e32 v10, v10, v2
	s_or_b64 exec, exec, s[80:81]
	s_and_saveexec_b64 s[80:81], s[42:43]
	s_cbranch_execz .LBB99_67
.LBB99_99:                              ;   in Loop: Header=BB99_47 Depth=1
	ds_read_b32 v2, v3 offset:24728
	s_waitcnt lgkmcnt(0)
	v_add_u32_e32 v10, v10, v2
	s_or_b64 exec, exec, s[80:81]
	s_and_saveexec_b64 s[80:81], s[44:45]
	s_cbranch_execz .LBB99_68
.LBB99_100:                             ;   in Loop: Header=BB99_47 Depth=1
	ds_read_b32 v2, v3 offset:24736
	s_waitcnt lgkmcnt(0)
	v_add_u32_e32 v10, v10, v2
	s_or_b64 exec, exec, s[80:81]
	s_and_saveexec_b64 s[80:81], s[46:47]
	s_cbranch_execz .LBB99_69
.LBB99_101:                             ;   in Loop: Header=BB99_47 Depth=1
	ds_read_b32 v2, v3 offset:24744
	s_waitcnt lgkmcnt(0)
	v_add_u32_e32 v10, v10, v2
	s_or_b64 exec, exec, s[80:81]
	s_and_saveexec_b64 s[80:81], s[48:49]
	s_cbranch_execz .LBB99_70
.LBB99_102:                             ;   in Loop: Header=BB99_47 Depth=1
	ds_read_b32 v2, v3 offset:24752
	s_waitcnt lgkmcnt(0)
	v_add_u32_e32 v10, v10, v2
	s_or_b64 exec, exec, s[80:81]
	s_and_saveexec_b64 s[80:81], s[50:51]
	s_cbranch_execz .LBB99_71
.LBB99_103:                             ;   in Loop: Header=BB99_47 Depth=1
	ds_read_b32 v2, v3 offset:24760
	s_waitcnt lgkmcnt(0)
	v_add_u32_e32 v10, v10, v2
	s_or_b64 exec, exec, s[80:81]
	s_and_saveexec_b64 s[80:81], s[52:53]
	s_cbranch_execz .LBB99_72
.LBB99_104:                             ;   in Loop: Header=BB99_47 Depth=1
	ds_read_b32 v2, v3 offset:24768
	s_waitcnt lgkmcnt(0)
	v_add_u32_e32 v10, v10, v2
	s_or_b64 exec, exec, s[80:81]
	s_and_saveexec_b64 s[80:81], s[54:55]
	s_cbranch_execz .LBB99_73
.LBB99_105:                             ;   in Loop: Header=BB99_47 Depth=1
	ds_read_b32 v2, v3 offset:24776
	s_waitcnt lgkmcnt(0)
	v_add_u32_e32 v10, v10, v2
	s_or_b64 exec, exec, s[80:81]
	s_and_saveexec_b64 s[80:81], s[56:57]
	s_cbranch_execz .LBB99_74
.LBB99_106:                             ;   in Loop: Header=BB99_47 Depth=1
	ds_read_b32 v2, v3 offset:24784
	s_waitcnt lgkmcnt(0)
	v_add_u32_e32 v10, v10, v2
	s_or_b64 exec, exec, s[80:81]
	s_and_saveexec_b64 s[80:81], s[58:59]
	s_cbranch_execz .LBB99_75
.LBB99_107:                             ;   in Loop: Header=BB99_47 Depth=1
	ds_read_b32 v2, v3 offset:24792
	s_waitcnt lgkmcnt(0)
	v_add_u32_e32 v10, v10, v2
	s_or_b64 exec, exec, s[80:81]
	s_and_saveexec_b64 s[80:81], s[60:61]
	s_cbranch_execz .LBB99_76
.LBB99_108:                             ;   in Loop: Header=BB99_47 Depth=1
	ds_read_b32 v2, v3 offset:24800
	s_waitcnt lgkmcnt(0)
	v_add_u32_e32 v10, v10, v2
	s_or_b64 exec, exec, s[80:81]
	s_and_saveexec_b64 s[80:81], s[62:63]
	s_cbranch_execz .LBB99_77
.LBB99_109:                             ;   in Loop: Header=BB99_47 Depth=1
	ds_read_b32 v2, v3 offset:24808
	s_waitcnt lgkmcnt(0)
	v_add_u32_e32 v10, v10, v2
	s_or_b64 exec, exec, s[80:81]
	s_and_saveexec_b64 s[80:81], s[64:65]
	s_cbranch_execz .LBB99_78
.LBB99_110:                             ;   in Loop: Header=BB99_47 Depth=1
	ds_read_b32 v2, v3 offset:24816
	s_waitcnt lgkmcnt(0)
	v_add_u32_e32 v10, v10, v2
	s_or_b64 exec, exec, s[80:81]
	v_ashrrev_i32_e32 v11, 31, v10
	s_and_saveexec_b64 s[80:81], vcc
	s_cbranch_execz .LBB99_79
.LBB99_111:                             ;   in Loop: Header=BB99_47 Depth=1
	v_add3_u32 v2, v6, -1, v10
	v_lshl_add_u32 v16, v2, 3, 0
	v_lshl_add_u32 v2, v2, 2, 0
	ds_write_b64 v16, v[8:9]
	ds_write_b32 v2, v13 offset:16384
	s_or_b64 exec, exec, s[80:81]
	s_and_saveexec_b64 s[80:81], s[0:1]
	s_cbranch_execz .LBB99_46
.LBB99_112:                             ;   in Loop: Header=BB99_47 Depth=1
	ds_write_b64 v3, v[10:11] offset:24824
	s_branch .LBB99_46
.LBB99_113:
	s_or_b64 exec, exec, s[68:69]
	s_lshl_b64 s[0:1], s[78:79], 3
	s_add_u32 s0, s66, s0
	s_addc_u32 s1, s67, s1
	s_load_dwordx4 s[0:3], s[0:1], 0x0
	v_mov_b32_e32 v1, 0
	s_waitcnt lgkmcnt(0)
	s_sub_u32 s4, s2, s0
	s_subb_u32 s5, s3, s1
	v_cmp_gt_i64_e32 vcc, s[4:5], v[0:1]
	s_and_saveexec_b64 s[6:7], vcc
	s_cbranch_execz .LBB99_123
; %bb.114:
	s_sub_u32 s6, s0, s70
	s_subb_u32 s7, s1, 0
	s_and_b32 s8, s4, 7
	s_sub_u32 s0, s0, s2
	s_mov_b32 s16, 0
	s_subb_u32 s1, s1, s3
	s_mov_b32 s9, s16
	s_and_b32 s2, s4, -8
	v_cmp_lt_u64_e64 s[0:1], s[0:1], -7
	s_cmp_lg_u64 s[8:9], 0
	v_cndmask_b32_e64 v2, 0, 1, s[0:1]
	s_mov_b32 s3, s5
	s_mov_b64 s[10:11], 0
	s_cselect_b64 s[12:13], -1, 0
	v_cmp_ne_u32_e64 s[0:1], 1, v2
	s_branch .LBB99_116
.LBB99_115:                             ;   in Loop: Header=BB99_116 Depth=1
	v_mov_b32_e32 v7, s16
	s_waitcnt lgkmcnt(1)
	v_add_co_u32_e32 v2, vcc, s70, v2
	v_addc_co_u32_e32 v3, vcc, v3, v7, vcc
	v_lshlrev_b64 v[8:9], 3, v[4:5]
	v_mov_b32_e32 v7, s73
	v_add_co_u32_e32 v8, vcc, s72, v8
	v_addc_co_u32_e32 v9, vcc, v7, v9, vcc
	global_store_dwordx2 v[8:9], v[2:3], off
	v_lshlrev_b64 v[2:3], 2, v[4:5]
	v_mov_b32_e32 v4, s75
	v_add_co_u32_e32 v2, vcc, s74, v2
	v_addc_co_u32_e32 v3, vcc, v4, v3, vcc
	v_add_co_u32_e32 v0, vcc, 0x400, v0
	v_addc_co_u32_e32 v1, vcc, 0, v1, vcc
	v_cmp_le_i64_e32 vcc, s[4:5], v[0:1]
	s_or_b64 s[10:11], vcc, s[10:11]
	s_waitcnt lgkmcnt(0)
	global_store_dword v[2:3], v6, off
	s_andn2_b64 exec, exec, s[10:11]
	s_cbranch_execz .LBB99_123
.LBB99_116:                             ; =>This Loop Header: Depth=1
                                        ;     Child Loop BB99_118 Depth 2
                                        ;     Child Loop BB99_122 Depth 2
	v_lshl_add_u32 v2, v0, 3, 0
	v_lshlrev_b32_e32 v3, 2, v0
	v_sub_u32_e32 v4, v2, v3
	ds_read_b64 v[2:3], v2
	ds_read_b32 v6, v4 offset:16384
	s_and_b64 vcc, exec, s[0:1]
	v_pk_mov_b32 v[4:5], s[6:7], s[6:7] op_sel:[0,1]
	s_mov_b64 s[14:15], 0
	s_cbranch_vccnz .LBB99_120
; %bb.117:                              ;   in Loop: Header=BB99_116 Depth=1
	s_mov_b32 s17, 0
	v_pk_mov_b32 v[4:5], s[6:7], s[6:7] op_sel:[0,1]
.LBB99_118:                             ;   Parent Loop BB99_116 Depth=1
                                        ; =>  This Inner Loop Header: Depth=2
	v_mov_b32_e32 v7, s17
	ds_read2_b64 v[8:11], v7 offset1:1
	ds_read2_b64 v[12:15], v7 offset0:2 offset1:3
	ds_read2_b64 v[16:19], v7 offset0:4 offset1:5
	;; [unrolled: 1-line block ×3, first 2 shown]
	s_add_u32 s14, s14, 8
	s_waitcnt lgkmcnt(3)
	v_cmp_gt_i64_e32 vcc, v[2:3], v[8:9]
	v_cndmask_b32_e64 v7, 0, 1, vcc
	v_cmp_gt_i64_e32 vcc, v[2:3], v[10:11]
	v_cndmask_b32_e64 v8, 0, 1, vcc
	s_waitcnt lgkmcnt(2)
	v_cmp_gt_i64_e32 vcc, v[2:3], v[12:13]
	v_cndmask_b32_e64 v9, 0, 1, vcc
	v_cmp_gt_i64_e32 vcc, v[2:3], v[14:15]
	v_cndmask_b32_e64 v10, 0, 1, vcc
	;; [unrolled: 5-line block ×4, first 2 shown]
	v_add_co_u32_e32 v4, vcc, v4, v7
	v_addc_co_u32_e32 v5, vcc, 0, v5, vcc
	v_add_co_u32_e32 v4, vcc, v4, v8
	v_addc_co_u32_e32 v5, vcc, 0, v5, vcc
	;; [unrolled: 2-line block ×7, first 2 shown]
	s_addc_u32 s15, s15, 0
	s_add_i32 s17, s17, 64
	v_add_co_u32_e32 v4, vcc, v4, v14
	s_cmp_eq_u64 s[2:3], s[14:15]
	v_addc_co_u32_e32 v5, vcc, 0, v5, vcc
	s_cbranch_scc0 .LBB99_118
; %bb.119:                              ;   in Loop: Header=BB99_116 Depth=1
	s_mov_b64 s[14:15], s[2:3]
.LBB99_120:                             ;   in Loop: Header=BB99_116 Depth=1
	s_andn2_b64 vcc, exec, s[12:13]
	s_cbranch_vccnz .LBB99_115
; %bb.121:                              ;   in Loop: Header=BB99_116 Depth=1
	s_lshl_b32 s14, s14, 3
	s_add_i32 s17, s14, 0
	s_mov_b64 s[14:15], s[8:9]
.LBB99_122:                             ;   Parent Loop BB99_116 Depth=1
                                        ; =>  This Inner Loop Header: Depth=2
	v_mov_b32_e32 v7, s17
	ds_read_b64 v[8:9], v7
	s_add_i32 s17, s17, 8
	s_add_u32 s14, s14, -1
	s_addc_u32 s15, s15, -1
	s_cmp_lg_u64 s[14:15], 0
	s_waitcnt lgkmcnt(0)
	v_cmp_gt_i64_e32 vcc, v[2:3], v[8:9]
	v_cndmask_b32_e64 v7, 0, 1, vcc
	v_add_co_u32_e32 v4, vcc, v4, v7
	v_addc_co_u32_e32 v5, vcc, 0, v5, vcc
	s_cbranch_scc1 .LBB99_122
	s_branch .LBB99_115
.LBB99_123:
	s_endpgm
	.section	.rodata,"a",@progbits
	.p2align	6, 0x0
	.amdhsa_kernel _ZN9rocsparseL26csrgemm_fill_block_per_rowILj1024ELj32ELj2048ELj137ELj32EllfEEvT5_PKS1_S3_NS_24const_host_device_scalarIT6_EEPKT4_S3_PKS5_S9_S3_SB_S6_S9_S3_SB_S9_PS1_PS5_21rocsparse_index_base_SE_SE_SE_bbb
		.amdhsa_group_segment_fixed_size 0
		.amdhsa_private_segment_fixed_size 0
		.amdhsa_kernarg_size 156
		.amdhsa_user_sgpr_count 6
		.amdhsa_user_sgpr_private_segment_buffer 1
		.amdhsa_user_sgpr_dispatch_ptr 0
		.amdhsa_user_sgpr_queue_ptr 0
		.amdhsa_user_sgpr_kernarg_segment_ptr 1
		.amdhsa_user_sgpr_dispatch_id 0
		.amdhsa_user_sgpr_flat_scratch_init 0
		.amdhsa_user_sgpr_kernarg_preload_length 0
		.amdhsa_user_sgpr_kernarg_preload_offset 0
		.amdhsa_user_sgpr_private_segment_size 0
		.amdhsa_uses_dynamic_stack 0
		.amdhsa_system_sgpr_private_segment_wavefront_offset 0
		.amdhsa_system_sgpr_workgroup_id_x 1
		.amdhsa_system_sgpr_workgroup_id_y 0
		.amdhsa_system_sgpr_workgroup_id_z 0
		.amdhsa_system_sgpr_workgroup_info 0
		.amdhsa_system_vgpr_workitem_id 0
		.amdhsa_next_free_vgpr 27
		.amdhsa_next_free_sgpr 82
		.amdhsa_accum_offset 28
		.amdhsa_reserve_vcc 1
		.amdhsa_reserve_flat_scratch 0
		.amdhsa_float_round_mode_32 0
		.amdhsa_float_round_mode_16_64 0
		.amdhsa_float_denorm_mode_32 3
		.amdhsa_float_denorm_mode_16_64 3
		.amdhsa_dx10_clamp 1
		.amdhsa_ieee_mode 1
		.amdhsa_fp16_overflow 0
		.amdhsa_tg_split 0
		.amdhsa_exception_fp_ieee_invalid_op 0
		.amdhsa_exception_fp_denorm_src 0
		.amdhsa_exception_fp_ieee_div_zero 0
		.amdhsa_exception_fp_ieee_overflow 0
		.amdhsa_exception_fp_ieee_underflow 0
		.amdhsa_exception_fp_ieee_inexact 0
		.amdhsa_exception_int_div_zero 0
	.end_amdhsa_kernel
	.section	.text._ZN9rocsparseL26csrgemm_fill_block_per_rowILj1024ELj32ELj2048ELj137ELj32EllfEEvT5_PKS1_S3_NS_24const_host_device_scalarIT6_EEPKT4_S3_PKS5_S9_S3_SB_S6_S9_S3_SB_S9_PS1_PS5_21rocsparse_index_base_SE_SE_SE_bbb,"axG",@progbits,_ZN9rocsparseL26csrgemm_fill_block_per_rowILj1024ELj32ELj2048ELj137ELj32EllfEEvT5_PKS1_S3_NS_24const_host_device_scalarIT6_EEPKT4_S3_PKS5_S9_S3_SB_S6_S9_S3_SB_S9_PS1_PS5_21rocsparse_index_base_SE_SE_SE_bbb,comdat
.Lfunc_end99:
	.size	_ZN9rocsparseL26csrgemm_fill_block_per_rowILj1024ELj32ELj2048ELj137ELj32EllfEEvT5_PKS1_S3_NS_24const_host_device_scalarIT6_EEPKT4_S3_PKS5_S9_S3_SB_S6_S9_S3_SB_S9_PS1_PS5_21rocsparse_index_base_SE_SE_SE_bbb, .Lfunc_end99-_ZN9rocsparseL26csrgemm_fill_block_per_rowILj1024ELj32ELj2048ELj137ELj32EllfEEvT5_PKS1_S3_NS_24const_host_device_scalarIT6_EEPKT4_S3_PKS5_S9_S3_SB_S6_S9_S3_SB_S9_PS1_PS5_21rocsparse_index_base_SE_SE_SE_bbb
                                        ; -- End function
	.section	.AMDGPU.csdata,"",@progbits
; Kernel info:
; codeLenInByte = 4024
; NumSgprs: 86
; NumVgprs: 27
; NumAgprs: 0
; TotalNumVgprs: 27
; ScratchSize: 0
; MemoryBound: 0
; FloatMode: 240
; IeeeMode: 1
; LDSByteSize: 0 bytes/workgroup (compile time only)
; SGPRBlocks: 10
; VGPRBlocks: 3
; NumSGPRsForWavesPerEU: 86
; NumVGPRsForWavesPerEU: 27
; AccumOffset: 28
; Occupancy: 8
; WaveLimiterHint : 1
; COMPUTE_PGM_RSRC2:SCRATCH_EN: 0
; COMPUTE_PGM_RSRC2:USER_SGPR: 6
; COMPUTE_PGM_RSRC2:TRAP_HANDLER: 0
; COMPUTE_PGM_RSRC2:TGID_X_EN: 1
; COMPUTE_PGM_RSRC2:TGID_Y_EN: 0
; COMPUTE_PGM_RSRC2:TGID_Z_EN: 0
; COMPUTE_PGM_RSRC2:TIDIG_COMP_CNT: 0
; COMPUTE_PGM_RSRC3_GFX90A:ACCUM_OFFSET: 6
; COMPUTE_PGM_RSRC3_GFX90A:TG_SPLIT: 0
	.section	.text._ZN9rocsparseL26csrgemm_fill_block_per_rowILj1024ELj32ELj2048ELj137ELj64EllfEEvT5_PKS1_S3_NS_24const_host_device_scalarIT6_EEPKT4_S3_PKS5_S9_S3_SB_S6_S9_S3_SB_S9_PS1_PS5_21rocsparse_index_base_SE_SE_SE_bbb,"axG",@progbits,_ZN9rocsparseL26csrgemm_fill_block_per_rowILj1024ELj32ELj2048ELj137ELj64EllfEEvT5_PKS1_S3_NS_24const_host_device_scalarIT6_EEPKT4_S3_PKS5_S9_S3_SB_S6_S9_S3_SB_S9_PS1_PS5_21rocsparse_index_base_SE_SE_SE_bbb,comdat
	.globl	_ZN9rocsparseL26csrgemm_fill_block_per_rowILj1024ELj32ELj2048ELj137ELj64EllfEEvT5_PKS1_S3_NS_24const_host_device_scalarIT6_EEPKT4_S3_PKS5_S9_S3_SB_S6_S9_S3_SB_S9_PS1_PS5_21rocsparse_index_base_SE_SE_SE_bbb ; -- Begin function _ZN9rocsparseL26csrgemm_fill_block_per_rowILj1024ELj32ELj2048ELj137ELj64EllfEEvT5_PKS1_S3_NS_24const_host_device_scalarIT6_EEPKT4_S3_PKS5_S9_S3_SB_S6_S9_S3_SB_S9_PS1_PS5_21rocsparse_index_base_SE_SE_SE_bbb
	.p2align	8
	.type	_ZN9rocsparseL26csrgemm_fill_block_per_rowILj1024ELj32ELj2048ELj137ELj64EllfEEvT5_PKS1_S3_NS_24const_host_device_scalarIT6_EEPKT4_S3_PKS5_S9_S3_SB_S6_S9_S3_SB_S9_PS1_PS5_21rocsparse_index_base_SE_SE_SE_bbb,@function
_ZN9rocsparseL26csrgemm_fill_block_per_rowILj1024ELj32ELj2048ELj137ELj64EllfEEvT5_PKS1_S3_NS_24const_host_device_scalarIT6_EEPKT4_S3_PKS5_S9_S3_SB_S6_S9_S3_SB_S9_PS1_PS5_21rocsparse_index_base_SE_SE_SE_bbb: ; @_ZN9rocsparseL26csrgemm_fill_block_per_rowILj1024ELj32ELj2048ELj137ELj64EllfEEvT5_PKS1_S3_NS_24const_host_device_scalarIT6_EEPKT4_S3_PKS5_S9_S3_SB_S6_S9_S3_SB_S9_PS1_PS5_21rocsparse_index_base_SE_SE_SE_bbb
; %bb.0:
	s_load_dword s7, s[4:5], 0x98
	s_load_dwordx4 s[44:47], s[4:5], 0x88
	s_load_dwordx2 s[0:1], s[4:5], 0x18
	s_load_dwordx2 s[24:25], s[4:5], 0x50
	s_waitcnt lgkmcnt(0)
	s_bitcmp1_b32 s7, 0
	s_cselect_b64 s[2:3], -1, 0
	s_bitcmp1_b32 s7, 16
	s_cselect_b64 s[26:27], -1, 0
	s_xor_b64 s[8:9], s[2:3], -1
	s_or_b64 s[8:9], s[8:9], s[26:27]
	s_and_b64 vcc, exec, s[8:9]
	s_cbranch_vccnz .LBB100_2
; %bb.1:
	s_load_dword s0, s[0:1], 0x0
	s_waitcnt lgkmcnt(0)
	v_mov_b32_e32 v16, s0
	s_branch .LBB100_3
.LBB100_2:
	v_mov_b32_e32 v1, s0
	v_cndmask_b32_e64 v16, 0, v1, s[2:3]
.LBB100_3:
	s_load_dwordx4 s[48:51], s[4:5], 0x78
	s_load_dwordx8 s[36:43], s[4:5], 0x58
	s_load_dwordx4 s[16:19], s[4:5], 0x40
	s_load_dwordx4 s[20:23], s[4:5], 0x8
	s_load_dwordx8 s[8:15], s[4:5], 0x20
	s_bitcmp1_b32 s7, 8
	s_cselect_b64 s[0:1], -1, 0
	s_xor_b64 s[28:29], s[0:1], -1
	s_or_b64 s[26:27], s[28:29], s[26:27]
	s_and_b64 vcc, exec, s[26:27]
	s_cbranch_vccnz .LBB100_5
; %bb.4:
	s_load_dword s7, s[24:25], 0x0
	s_waitcnt lgkmcnt(0)
	v_mov_b32_e32 v11, s7
	s_branch .LBB100_6
.LBB100_5:
	v_mov_b32_e32 v1, s24
	v_cndmask_b32_e64 v11, 0, v1, s[0:1]
.LBB100_6:
	s_load_dwordx2 s[34:35], s[4:5], 0x0
	v_lshl_add_u32 v1, v0, 2, 0
	v_add_u32_e32 v1, 0x4000, v1
	v_or_b32_e32 v14, 0xfffffc00, v0
	v_lshl_add_u32 v15, v0, 3, 0
	s_mov_b64 s[4:5], 0
	s_waitcnt lgkmcnt(0)
	v_pk_mov_b32 v[2:3], s[34:35], s[34:35] op_sel:[0,1]
	v_mov_b32_e32 v4, 0
	v_mov_b32_e32 v5, v15
	;; [unrolled: 1-line block ×4, first 2 shown]
.LBB100_7:                              ; =>This Inner Loop Header: Depth=1
	v_add_co_u32_e32 v6, vcc, 0x400, v6
	s_xor_b64 s[24:25], vcc, -1
	s_and_b64 s[24:25], exec, s[24:25]
	ds_write_b64 v5, v[2:3]
	ds_write_b32 v7, v4
	v_add_u32_e32 v7, 0x1000, v7
	s_or_b64 s[4:5], s[24:25], s[4:5]
	v_add_u32_e32 v5, 0x2000, v5
	s_andn2_b64 exec, exec, s[4:5]
	s_cbranch_execnz .LBB100_7
; %bb.8:
	s_or_b64 exec, exec, s[4:5]
	s_waitcnt lgkmcnt(0)
	s_barrier
	s_load_dwordx2 s[4:5], s[20:21], 0x0
	s_mov_b32 s7, 0
	s_waitcnt lgkmcnt(0)
	s_lshl_b64 s[4:5], s[4:5], 3
	s_add_u32 s20, s22, s4
	s_addc_u32 s21, s23, s5
	s_lshl_b64 s[4:5], s[6:7], 3
	s_add_u32 s4, s20, s4
	s_addc_u32 s5, s21, s5
	s_load_dwordx2 s[52:53], s[4:5], 0x0
	s_and_b64 vcc, exec, s[2:3]
	s_cbranch_vccz .LBB100_28
; %bb.9:
	s_waitcnt lgkmcnt(0)
	s_lshl_b64 s[2:3], s[52:53], 3
	s_add_u32 s2, s8, s2
	s_addc_u32 s3, s9, s3
	s_load_dwordx4 s[20:23], s[2:3], 0x0
	v_lshrrev_b32_e32 v2, 5, v0
	v_subrev_co_u32_e32 v2, vcc, s44, v2
	v_subb_co_u32_e64 v3, s[4:5], 0, 0, vcc
	s_waitcnt lgkmcnt(0)
	s_sub_u32 s2, s22, s44
	v_mov_b32_e32 v4, s21
	v_add_co_u32_e32 v2, vcc, s20, v2
	s_subb_u32 s3, s23, 0
	v_addc_co_u32_e32 v3, vcc, v4, v3, vcc
	v_cmp_gt_i64_e32 vcc, s[2:3], v[2:3]
	s_and_saveexec_b64 s[4:5], vcc
	s_cbranch_execz .LBB100_27
; %bb.10:
	v_and_b32_e32 v4, 31, v0
	v_subrev_co_u32_e32 v17, vcc, s45, v4
	s_mov_b32 s6, 0
	v_subb_co_u32_e64 v18, s[8:9], 0, 0, vcc
	s_mov_b32 s33, s44
	s_mov_b32 s54, s45
	s_mov_b64 s[8:9], 0
	v_mov_b32_e32 v19, s11
	v_mov_b32_e32 v20, s7
	;; [unrolled: 1-line block ×4, first 2 shown]
	s_movk_i32 s11, 0x89
	s_branch .LBB100_12
.LBB100_11:                             ;   in Loop: Header=BB100_12 Depth=1
	s_or_b64 exec, exec, s[6:7]
	v_add_co_u32_e32 v2, vcc, 32, v2
	v_addc_co_u32_e32 v3, vcc, 0, v3, vcc
	v_cmp_le_i64_e32 vcc, s[2:3], v[2:3]
	s_or_b64 s[8:9], vcc, s[8:9]
	s_andn2_b64 exec, exec, s[8:9]
	s_cbranch_execz .LBB100_27
.LBB100_12:                             ; =>This Loop Header: Depth=1
                                        ;     Child Loop BB100_15 Depth 2
                                        ;       Child Loop BB100_17 Depth 3
	v_lshlrev_b64 v[4:5], 3, v[2:3]
	v_add_co_u32_e32 v4, vcc, s10, v4
	v_addc_co_u32_e32 v5, vcc, v19, v5, vcc
	global_load_dwordx2 v[4:5], v[4:5], off
	s_waitcnt vmcnt(0)
	v_subrev_co_u32_e32 v4, vcc, s33, v4
	v_subb_co_u32_e32 v5, vcc, v5, v20, vcc
	v_lshlrev_b64 v[4:5], 3, v[4:5]
	v_add_co_u32_e32 v4, vcc, s14, v4
	v_addc_co_u32_e32 v5, vcc, v21, v5, vcc
	global_load_dwordx4 v[6:9], v[4:5], off
	s_waitcnt vmcnt(0)
	v_subrev_co_u32_e32 v4, vcc, s54, v8
	v_subb_co_u32_e32 v5, vcc, v9, v22, vcc
	v_add_co_u32_e32 v6, vcc, v6, v17
	v_addc_co_u32_e32 v7, vcc, v7, v18, vcc
	v_cmp_lt_i64_e32 vcc, v[6:7], v[4:5]
	s_and_saveexec_b64 s[6:7], vcc
	s_cbranch_execz .LBB100_11
; %bb.13:                               ;   in Loop: Header=BB100_12 Depth=1
	v_lshlrev_b64 v[8:9], 2, v[2:3]
	v_mov_b32_e32 v10, s13
	v_add_co_u32_e32 v8, vcc, s12, v8
	v_addc_co_u32_e32 v9, vcc, v10, v9, vcc
	global_load_dword v8, v[8:9], off
	s_mov_b64 s[20:21], 0
	s_waitcnt vmcnt(0)
	v_mul_f32_e32 v23, v16, v8
	s_branch .LBB100_15
.LBB100_14:                             ;   in Loop: Header=BB100_15 Depth=2
	s_or_b64 exec, exec, s[22:23]
	v_add_co_u32_e32 v6, vcc, 32, v6
	v_addc_co_u32_e32 v7, vcc, 0, v7, vcc
	v_cmp_ge_i64_e32 vcc, v[6:7], v[4:5]
	s_or_b64 s[20:21], vcc, s[20:21]
	s_andn2_b64 exec, exec, s[20:21]
	s_cbranch_execz .LBB100_11
.LBB100_15:                             ;   Parent Loop BB100_12 Depth=1
                                        ; =>  This Loop Header: Depth=2
                                        ;       Child Loop BB100_17 Depth 3
	v_lshlrev_b64 v[8:9], 3, v[6:7]
	v_mov_b32_e32 v10, s17
	v_add_co_u32_e32 v8, vcc, s16, v8
	v_addc_co_u32_e32 v9, vcc, v10, v9, vcc
	v_lshlrev_b64 v[12:13], 2, v[6:7]
	v_mov_b32_e32 v10, s19
	v_add_co_u32_e32 v12, vcc, s18, v12
	global_load_dwordx2 v[8:9], v[8:9], off
	v_addc_co_u32_e32 v13, vcc, v10, v13, vcc
	global_load_dword v10, v[12:13], off
	s_mov_b64 s[22:23], 0
	s_waitcnt vmcnt(1)
	v_subrev_co_u32_e32 v8, vcc, s54, v8
	v_subb_co_u32_e32 v9, vcc, v9, v22, vcc
	s_waitcnt vmcnt(0)
	v_mul_f32_e32 v24, v23, v10
	v_mul_lo_u32 v10, v8, s11
	v_and_b32_e32 v10, 0x7ff, v10
	s_branch .LBB100_17
.LBB100_16:                             ;   in Loop: Header=BB100_17 Depth=3
	s_or_b64 exec, exec, s[24:25]
	s_xor_b64 s[24:25], s[26:27], -1
	s_and_b64 s[24:25], exec, s[24:25]
	s_or_b64 s[22:23], s[24:25], s[22:23]
	s_andn2_b64 exec, exec, s[22:23]
	s_cbranch_execz .LBB100_14
.LBB100_17:                             ;   Parent Loop BB100_12 Depth=1
                                        ;     Parent Loop BB100_15 Depth=2
                                        ; =>    This Inner Loop Header: Depth=3
	v_lshl_add_u32 v25, v10, 3, 0
	ds_read_b64 v[12:13], v25
                                        ; implicit-def: $sgpr26_sgpr27
	s_waitcnt lgkmcnt(0)
	v_cmp_ne_u64_e32 vcc, v[12:13], v[8:9]
	s_and_saveexec_b64 s[24:25], vcc
	s_xor_b64 s[24:25], exec, s[24:25]
	s_cbranch_execz .LBB100_25
; %bb.18:                               ;   in Loop: Header=BB100_17 Depth=3
	v_cmp_ne_u64_e32 vcc, s[34:35], v[12:13]
                                        ; implicit-def: $sgpr26_sgpr27
	s_and_saveexec_b64 s[28:29], vcc
	s_xor_b64 s[28:29], exec, s[28:29]
; %bb.19:                               ;   in Loop: Header=BB100_17 Depth=3
	v_add_u32_e32 v10, 1, v10
	v_and_b32_e32 v10, 0x7ff, v10
	s_mov_b64 s[26:27], -1
                                        ; implicit-def: $vgpr25
; %bb.20:                               ;   in Loop: Header=BB100_17 Depth=3
	s_andn2_saveexec_b64 s[28:29], s[28:29]
	s_cbranch_execz .LBB100_24
; %bb.21:                               ;   in Loop: Header=BB100_17 Depth=3
	v_pk_mov_b32 v[12:13], s[34:35], s[34:35] op_sel:[0,1]
	ds_cmpst_rtn_b64 v[12:13], v25, v[12:13], v[8:9]
	s_mov_b64 s[30:31], -1
	s_waitcnt lgkmcnt(0)
	v_cmp_eq_u64_e32 vcc, s[34:35], v[12:13]
	s_and_saveexec_b64 s[44:45], vcc
	s_cbranch_execz .LBB100_23
; %bb.22:                               ;   in Loop: Header=BB100_17 Depth=3
	v_lshlrev_b32_e32 v12, 2, v10
	v_sub_u32_e32 v12, v25, v12
	ds_add_f32 v12, v24 offset:16384
	s_xor_b64 s[30:31], exec, -1
.LBB100_23:                             ;   in Loop: Header=BB100_17 Depth=3
	s_or_b64 exec, exec, s[44:45]
	s_andn2_b64 s[26:27], s[26:27], exec
	s_and_b64 s[30:31], s[30:31], exec
	s_or_b64 s[26:27], s[26:27], s[30:31]
.LBB100_24:                             ;   in Loop: Header=BB100_17 Depth=3
	s_or_b64 exec, exec, s[28:29]
	s_and_b64 s[26:27], s[26:27], exec
                                        ; implicit-def: $vgpr25
.LBB100_25:                             ;   in Loop: Header=BB100_17 Depth=3
	s_andn2_saveexec_b64 s[24:25], s[24:25]
	s_cbranch_execz .LBB100_16
; %bb.26:                               ;   in Loop: Header=BB100_17 Depth=3
	v_lshlrev_b32_e32 v12, 2, v10
	v_sub_u32_e32 v12, v25, v12
	ds_add_f32 v12, v24 offset:16384
	s_andn2_b64 s[26:27], s[26:27], exec
	s_branch .LBB100_16
.LBB100_27:
	s_or_b64 exec, exec, s[4:5]
.LBB100_28:
	s_andn2_b64 vcc, exec, s[0:1]
	s_cbranch_vccnz .LBB100_45
; %bb.29:
	s_waitcnt lgkmcnt(0)
	s_lshl_b64 s[0:1], s[52:53], 3
	s_add_u32 s0, s36, s0
	s_addc_u32 s1, s37, s1
	s_load_dwordx4 s[8:11], s[0:1], 0x0
	v_subrev_co_u32_e32 v2, vcc, s47, v0
	v_subb_co_u32_e64 v3, s[2:3], 0, 0, vcc
	s_waitcnt lgkmcnt(0)
	s_sub_u32 s0, s10, s47
	v_mov_b32_e32 v4, s9
	v_add_co_u32_e32 v2, vcc, s8, v2
	s_subb_u32 s1, s11, 0
	v_addc_co_u32_e32 v3, vcc, v4, v3, vcc
	s_mov_b32 s6, 0
	v_cmp_gt_i64_e32 vcc, s[0:1], v[2:3]
	s_and_saveexec_b64 s[2:3], vcc
	s_cbranch_execz .LBB100_44
; %bb.30:
	s_mov_b32 s18, s47
	s_mov_b64 s[4:5], 0
	v_mov_b32_e32 v7, s39
	v_mov_b32_e32 v10, s6
	;; [unrolled: 1-line block ×3, first 2 shown]
	s_movk_i32 s19, 0x89
	s_branch .LBB100_32
.LBB100_31:                             ;   in Loop: Header=BB100_32 Depth=1
	s_or_b64 exec, exec, s[6:7]
	v_add_co_u32_e32 v2, vcc, 0x400, v2
	v_addc_co_u32_e32 v3, vcc, 0, v3, vcc
	v_cmp_le_i64_e32 vcc, s[0:1], v[2:3]
	s_or_b64 s[4:5], vcc, s[4:5]
	s_andn2_b64 exec, exec, s[4:5]
	s_cbranch_execz .LBB100_44
.LBB100_32:                             ; =>This Loop Header: Depth=1
                                        ;     Child Loop BB100_34 Depth 2
	v_lshlrev_b64 v[4:5], 3, v[2:3]
	v_add_co_u32_e32 v4, vcc, s38, v4
	v_addc_co_u32_e32 v5, vcc, v7, v5, vcc
	v_lshlrev_b64 v[8:9], 2, v[2:3]
	v_add_co_u32_e32 v8, vcc, s40, v8
	global_load_dwordx2 v[4:5], v[4:5], off
	v_addc_co_u32_e32 v9, vcc, v12, v9, vcc
	global_load_dword v6, v[8:9], off
	s_mov_b64 s[6:7], 0
	s_waitcnt vmcnt(1)
	v_subrev_co_u32_e32 v4, vcc, s18, v4
	v_subb_co_u32_e32 v5, vcc, v5, v10, vcc
	s_waitcnt vmcnt(0)
	v_mul_f32_e32 v13, v11, v6
	v_mul_lo_u32 v6, v4, s19
	v_and_b32_e32 v6, 0x7ff, v6
	s_branch .LBB100_34
.LBB100_33:                             ;   in Loop: Header=BB100_34 Depth=2
	s_or_b64 exec, exec, s[8:9]
	s_xor_b64 s[8:9], s[10:11], -1
	s_and_b64 s[8:9], exec, s[8:9]
	s_or_b64 s[6:7], s[8:9], s[6:7]
	s_andn2_b64 exec, exec, s[6:7]
	s_cbranch_execz .LBB100_31
.LBB100_34:                             ;   Parent Loop BB100_32 Depth=1
                                        ; =>  This Inner Loop Header: Depth=2
	v_lshl_add_u32 v16, v6, 3, 0
	ds_read_b64 v[8:9], v16
                                        ; implicit-def: $sgpr10_sgpr11
	s_waitcnt lgkmcnt(0)
	v_cmp_ne_u64_e32 vcc, v[8:9], v[4:5]
	s_and_saveexec_b64 s[8:9], vcc
	s_xor_b64 s[8:9], exec, s[8:9]
	s_cbranch_execz .LBB100_42
; %bb.35:                               ;   in Loop: Header=BB100_34 Depth=2
	v_cmp_ne_u64_e32 vcc, s[34:35], v[8:9]
                                        ; implicit-def: $sgpr10_sgpr11
	s_and_saveexec_b64 s[12:13], vcc
	s_xor_b64 s[12:13], exec, s[12:13]
; %bb.36:                               ;   in Loop: Header=BB100_34 Depth=2
	v_add_u32_e32 v6, 1, v6
	v_and_b32_e32 v6, 0x7ff, v6
	s_mov_b64 s[10:11], -1
                                        ; implicit-def: $vgpr16
; %bb.37:                               ;   in Loop: Header=BB100_34 Depth=2
	s_andn2_saveexec_b64 s[12:13], s[12:13]
	s_cbranch_execz .LBB100_41
; %bb.38:                               ;   in Loop: Header=BB100_34 Depth=2
	v_pk_mov_b32 v[8:9], s[34:35], s[34:35] op_sel:[0,1]
	ds_cmpst_rtn_b64 v[8:9], v16, v[8:9], v[4:5]
	s_mov_b64 s[14:15], -1
	s_waitcnt lgkmcnt(0)
	v_cmp_eq_u64_e32 vcc, s[34:35], v[8:9]
	s_and_saveexec_b64 s[16:17], vcc
	s_cbranch_execz .LBB100_40
; %bb.39:                               ;   in Loop: Header=BB100_34 Depth=2
	v_lshlrev_b32_e32 v8, 2, v6
	v_sub_u32_e32 v8, v16, v8
	ds_add_f32 v8, v13 offset:16384
	s_xor_b64 s[14:15], exec, -1
.LBB100_40:                             ;   in Loop: Header=BB100_34 Depth=2
	s_or_b64 exec, exec, s[16:17]
	s_andn2_b64 s[10:11], s[10:11], exec
	s_and_b64 s[14:15], s[14:15], exec
	s_or_b64 s[10:11], s[10:11], s[14:15]
.LBB100_41:                             ;   in Loop: Header=BB100_34 Depth=2
	s_or_b64 exec, exec, s[12:13]
	s_and_b64 s[10:11], s[10:11], exec
                                        ; implicit-def: $vgpr16
.LBB100_42:                             ;   in Loop: Header=BB100_34 Depth=2
	s_andn2_saveexec_b64 s[8:9], s[8:9]
	s_cbranch_execz .LBB100_33
; %bb.43:                               ;   in Loop: Header=BB100_34 Depth=2
	v_lshlrev_b32_e32 v8, 2, v6
	v_sub_u32_e32 v8, v16, v8
	ds_add_f32 v8, v13 offset:16384
	s_andn2_b64 s[10:11], s[10:11], exec
	s_branch .LBB100_33
.LBB100_44:
	s_or_b64 exec, exec, s[2:3]
.LBB100_45:
	v_mbcnt_lo_u32_b32 v2, -1, 0
	v_mbcnt_hi_u32_b32 v2, -1, v2
	v_sub_u32_e32 v2, 63, v2
	v_lshrrev_b64 v[4:5], v2, -1
	v_lshrrev_b32_e32 v2, 3, v0
	v_and_b32_e32 v2, 0x78, v2
	s_movk_i32 s0, 0x3ff
	s_movk_i32 s4, 0x7f
	;; [unrolled: 1-line block ×15, first 2 shown]
	v_mov_b32_e32 v3, 0
	v_add_u32_e32 v12, 0, v2
	v_cmp_eq_u32_e64 s[0:1], s0, v0
	v_cmp_lt_u32_e64 s[2:3], 63, v0
	v_cmp_lt_u32_e64 s[4:5], s4, v0
	;; [unrolled: 1-line block ×15, first 2 shown]
	s_mov_b64 s[36:37], 0
	v_pk_mov_b32 v[6:7], 0, 0
	s_waitcnt lgkmcnt(0)
	s_barrier
	s_branch .LBB100_47
.LBB100_46:                             ;   in Loop: Header=BB100_47 Depth=1
	s_or_b64 exec, exec, s[38:39]
	s_waitcnt lgkmcnt(0)
	s_barrier
	ds_read_b64 v[8:9], v3 offset:24696
	v_add_u32_e32 v1, 0x1000, v1
	v_add_u32_e32 v15, 0x2000, v15
	s_waitcnt lgkmcnt(0)
	v_add_co_u32_e32 v6, vcc, v8, v6
	v_addc_co_u32_e32 v7, vcc, v9, v7, vcc
	v_add_co_u32_e32 v14, vcc, 0x400, v14
	s_xor_b64 s[38:39], vcc, -1
	s_and_b64 s[38:39], exec, s[38:39]
	s_or_b64 s[36:37], s[38:39], s[36:37]
	s_andn2_b64 exec, exec, s[36:37]
	s_cbranch_execz .LBB100_81
.LBB100_47:                             ; =>This Inner Loop Header: Depth=1
	ds_read_b64 v[8:9], v15
	ds_read_b32 v13, v1
	s_waitcnt lgkmcnt(0)
	s_barrier
	v_cmp_gt_i64_e32 vcc, s[34:35], v[8:9]
	v_and_b32_e32 v11, vcc_lo, v4
	s_bcnt1_i32_b64 s33, vcc
	v_and_b32_e32 v10, vcc_hi, v5
	v_bcnt_u32_b32 v11, v11, 0
	v_mov_b32_e32 v2, s33
	v_bcnt_u32_b32 v10, v10, v11
	ds_write_b64 v12, v[2:3] offset:24576
	s_waitcnt lgkmcnt(0)
	s_barrier
	s_and_saveexec_b64 s[38:39], s[2:3]
	s_cbranch_execnz .LBB100_64
; %bb.48:                               ;   in Loop: Header=BB100_47 Depth=1
	s_or_b64 exec, exec, s[38:39]
	s_and_saveexec_b64 s[38:39], s[4:5]
	s_cbranch_execnz .LBB100_65
.LBB100_49:                             ;   in Loop: Header=BB100_47 Depth=1
	s_or_b64 exec, exec, s[38:39]
	s_and_saveexec_b64 s[38:39], s[6:7]
	s_cbranch_execnz .LBB100_66
.LBB100_50:                             ;   in Loop: Header=BB100_47 Depth=1
	s_or_b64 exec, exec, s[38:39]
	s_and_saveexec_b64 s[38:39], s[8:9]
	s_cbranch_execnz .LBB100_67
.LBB100_51:                             ;   in Loop: Header=BB100_47 Depth=1
	s_or_b64 exec, exec, s[38:39]
	s_and_saveexec_b64 s[38:39], s[10:11]
	s_cbranch_execnz .LBB100_68
.LBB100_52:                             ;   in Loop: Header=BB100_47 Depth=1
	s_or_b64 exec, exec, s[38:39]
	s_and_saveexec_b64 s[38:39], s[12:13]
	s_cbranch_execnz .LBB100_69
.LBB100_53:                             ;   in Loop: Header=BB100_47 Depth=1
	s_or_b64 exec, exec, s[38:39]
	s_and_saveexec_b64 s[38:39], s[14:15]
	s_cbranch_execnz .LBB100_70
.LBB100_54:                             ;   in Loop: Header=BB100_47 Depth=1
	s_or_b64 exec, exec, s[38:39]
	s_and_saveexec_b64 s[38:39], s[16:17]
	s_cbranch_execnz .LBB100_71
.LBB100_55:                             ;   in Loop: Header=BB100_47 Depth=1
	s_or_b64 exec, exec, s[38:39]
	s_and_saveexec_b64 s[38:39], s[18:19]
	s_cbranch_execnz .LBB100_72
.LBB100_56:                             ;   in Loop: Header=BB100_47 Depth=1
	s_or_b64 exec, exec, s[38:39]
	s_and_saveexec_b64 s[38:39], s[20:21]
	s_cbranch_execnz .LBB100_73
.LBB100_57:                             ;   in Loop: Header=BB100_47 Depth=1
	s_or_b64 exec, exec, s[38:39]
	s_and_saveexec_b64 s[38:39], s[22:23]
	s_cbranch_execnz .LBB100_74
.LBB100_58:                             ;   in Loop: Header=BB100_47 Depth=1
	s_or_b64 exec, exec, s[38:39]
	s_and_saveexec_b64 s[38:39], s[24:25]
	s_cbranch_execnz .LBB100_75
.LBB100_59:                             ;   in Loop: Header=BB100_47 Depth=1
	s_or_b64 exec, exec, s[38:39]
	s_and_saveexec_b64 s[38:39], s[26:27]
	s_cbranch_execnz .LBB100_76
.LBB100_60:                             ;   in Loop: Header=BB100_47 Depth=1
	s_or_b64 exec, exec, s[38:39]
	s_and_saveexec_b64 s[38:39], s[28:29]
	s_cbranch_execnz .LBB100_77
.LBB100_61:                             ;   in Loop: Header=BB100_47 Depth=1
	s_or_b64 exec, exec, s[38:39]
	s_and_saveexec_b64 s[38:39], s[30:31]
	s_cbranch_execnz .LBB100_78
.LBB100_62:                             ;   in Loop: Header=BB100_47 Depth=1
	s_or_b64 exec, exec, s[38:39]
	v_ashrrev_i32_e32 v11, 31, v10
	s_and_saveexec_b64 s[38:39], vcc
	s_cbranch_execnz .LBB100_79
.LBB100_63:                             ;   in Loop: Header=BB100_47 Depth=1
	s_or_b64 exec, exec, s[38:39]
	s_and_saveexec_b64 s[38:39], s[0:1]
	s_cbranch_execz .LBB100_46
	s_branch .LBB100_80
.LBB100_64:                             ;   in Loop: Header=BB100_47 Depth=1
	ds_read_b32 v2, v3 offset:24576
	s_waitcnt lgkmcnt(0)
	v_add_u32_e32 v10, v2, v10
	s_or_b64 exec, exec, s[38:39]
	s_and_saveexec_b64 s[38:39], s[4:5]
	s_cbranch_execz .LBB100_49
.LBB100_65:                             ;   in Loop: Header=BB100_47 Depth=1
	ds_read_b32 v2, v3 offset:24584
	s_waitcnt lgkmcnt(0)
	v_add_u32_e32 v10, v10, v2
	s_or_b64 exec, exec, s[38:39]
	s_and_saveexec_b64 s[38:39], s[6:7]
	s_cbranch_execz .LBB100_50
.LBB100_66:                             ;   in Loop: Header=BB100_47 Depth=1
	ds_read_b32 v2, v3 offset:24592
	s_waitcnt lgkmcnt(0)
	v_add_u32_e32 v10, v10, v2
	s_or_b64 exec, exec, s[38:39]
	s_and_saveexec_b64 s[38:39], s[8:9]
	s_cbranch_execz .LBB100_51
.LBB100_67:                             ;   in Loop: Header=BB100_47 Depth=1
	ds_read_b32 v2, v3 offset:24600
	s_waitcnt lgkmcnt(0)
	v_add_u32_e32 v10, v10, v2
	s_or_b64 exec, exec, s[38:39]
	s_and_saveexec_b64 s[38:39], s[10:11]
	s_cbranch_execz .LBB100_52
.LBB100_68:                             ;   in Loop: Header=BB100_47 Depth=1
	ds_read_b32 v2, v3 offset:24608
	s_waitcnt lgkmcnt(0)
	v_add_u32_e32 v10, v10, v2
	s_or_b64 exec, exec, s[38:39]
	s_and_saveexec_b64 s[38:39], s[12:13]
	s_cbranch_execz .LBB100_53
.LBB100_69:                             ;   in Loop: Header=BB100_47 Depth=1
	ds_read_b32 v2, v3 offset:24616
	s_waitcnt lgkmcnt(0)
	v_add_u32_e32 v10, v10, v2
	s_or_b64 exec, exec, s[38:39]
	s_and_saveexec_b64 s[38:39], s[14:15]
	s_cbranch_execz .LBB100_54
.LBB100_70:                             ;   in Loop: Header=BB100_47 Depth=1
	ds_read_b32 v2, v3 offset:24624
	s_waitcnt lgkmcnt(0)
	v_add_u32_e32 v10, v10, v2
	s_or_b64 exec, exec, s[38:39]
	s_and_saveexec_b64 s[38:39], s[16:17]
	s_cbranch_execz .LBB100_55
.LBB100_71:                             ;   in Loop: Header=BB100_47 Depth=1
	ds_read_b32 v2, v3 offset:24632
	s_waitcnt lgkmcnt(0)
	v_add_u32_e32 v10, v10, v2
	s_or_b64 exec, exec, s[38:39]
	s_and_saveexec_b64 s[38:39], s[18:19]
	s_cbranch_execz .LBB100_56
.LBB100_72:                             ;   in Loop: Header=BB100_47 Depth=1
	ds_read_b32 v2, v3 offset:24640
	s_waitcnt lgkmcnt(0)
	v_add_u32_e32 v10, v10, v2
	s_or_b64 exec, exec, s[38:39]
	s_and_saveexec_b64 s[38:39], s[20:21]
	s_cbranch_execz .LBB100_57
.LBB100_73:                             ;   in Loop: Header=BB100_47 Depth=1
	ds_read_b32 v2, v3 offset:24648
	s_waitcnt lgkmcnt(0)
	v_add_u32_e32 v10, v10, v2
	s_or_b64 exec, exec, s[38:39]
	s_and_saveexec_b64 s[38:39], s[22:23]
	s_cbranch_execz .LBB100_58
.LBB100_74:                             ;   in Loop: Header=BB100_47 Depth=1
	ds_read_b32 v2, v3 offset:24656
	s_waitcnt lgkmcnt(0)
	v_add_u32_e32 v10, v10, v2
	s_or_b64 exec, exec, s[38:39]
	s_and_saveexec_b64 s[38:39], s[24:25]
	s_cbranch_execz .LBB100_59
.LBB100_75:                             ;   in Loop: Header=BB100_47 Depth=1
	ds_read_b32 v2, v3 offset:24664
	s_waitcnt lgkmcnt(0)
	v_add_u32_e32 v10, v10, v2
	s_or_b64 exec, exec, s[38:39]
	s_and_saveexec_b64 s[38:39], s[26:27]
	s_cbranch_execz .LBB100_60
.LBB100_76:                             ;   in Loop: Header=BB100_47 Depth=1
	ds_read_b32 v2, v3 offset:24672
	s_waitcnt lgkmcnt(0)
	v_add_u32_e32 v10, v10, v2
	s_or_b64 exec, exec, s[38:39]
	s_and_saveexec_b64 s[38:39], s[28:29]
	s_cbranch_execz .LBB100_61
.LBB100_77:                             ;   in Loop: Header=BB100_47 Depth=1
	ds_read_b32 v2, v3 offset:24680
	s_waitcnt lgkmcnt(0)
	v_add_u32_e32 v10, v10, v2
	s_or_b64 exec, exec, s[38:39]
	s_and_saveexec_b64 s[38:39], s[30:31]
	s_cbranch_execz .LBB100_62
.LBB100_78:                             ;   in Loop: Header=BB100_47 Depth=1
	ds_read_b32 v2, v3 offset:24688
	s_waitcnt lgkmcnt(0)
	v_add_u32_e32 v10, v10, v2
	s_or_b64 exec, exec, s[38:39]
	v_ashrrev_i32_e32 v11, 31, v10
	s_and_saveexec_b64 s[38:39], vcc
	s_cbranch_execz .LBB100_63
.LBB100_79:                             ;   in Loop: Header=BB100_47 Depth=1
	v_add3_u32 v2, v6, -1, v10
	v_lshl_add_u32 v16, v2, 3, 0
	v_lshl_add_u32 v2, v2, 2, 0
	ds_write_b64 v16, v[8:9]
	ds_write_b32 v2, v13 offset:16384
	s_or_b64 exec, exec, s[38:39]
	s_and_saveexec_b64 s[38:39], s[0:1]
	s_cbranch_execz .LBB100_46
.LBB100_80:                             ;   in Loop: Header=BB100_47 Depth=1
	ds_write_b64 v3, v[10:11] offset:24696
	s_branch .LBB100_46
.LBB100_81:
	s_or_b64 exec, exec, s[36:37]
	s_lshl_b64 s[0:1], s[52:53], 3
	s_add_u32 s0, s42, s0
	s_addc_u32 s1, s43, s1
	s_load_dwordx4 s[0:3], s[0:1], 0x0
	v_mov_b32_e32 v1, 0
	s_waitcnt lgkmcnt(0)
	s_sub_u32 s4, s2, s0
	s_subb_u32 s5, s3, s1
	v_cmp_gt_i64_e32 vcc, s[4:5], v[0:1]
	s_and_saveexec_b64 s[6:7], vcc
	s_cbranch_execz .LBB100_91
; %bb.82:
	s_sub_u32 s6, s0, s46
	s_subb_u32 s7, s1, 0
	s_and_b32 s8, s4, 7
	s_sub_u32 s0, s0, s2
	s_mov_b32 s16, 0
	s_subb_u32 s1, s1, s3
	s_mov_b32 s9, s16
	s_and_b32 s2, s4, -8
	v_cmp_lt_u64_e64 s[0:1], s[0:1], -7
	s_cmp_lg_u64 s[8:9], 0
	v_cndmask_b32_e64 v2, 0, 1, s[0:1]
	s_mov_b32 s3, s5
	s_mov_b64 s[10:11], 0
	s_cselect_b64 s[12:13], -1, 0
	v_cmp_ne_u32_e64 s[0:1], 1, v2
	s_branch .LBB100_84
.LBB100_83:                             ;   in Loop: Header=BB100_84 Depth=1
	v_mov_b32_e32 v7, s16
	s_waitcnt lgkmcnt(1)
	v_add_co_u32_e32 v2, vcc, s46, v2
	v_addc_co_u32_e32 v3, vcc, v3, v7, vcc
	v_lshlrev_b64 v[8:9], 3, v[4:5]
	v_mov_b32_e32 v7, s49
	v_add_co_u32_e32 v8, vcc, s48, v8
	v_addc_co_u32_e32 v9, vcc, v7, v9, vcc
	global_store_dwordx2 v[8:9], v[2:3], off
	v_lshlrev_b64 v[2:3], 2, v[4:5]
	v_mov_b32_e32 v4, s51
	v_add_co_u32_e32 v2, vcc, s50, v2
	v_addc_co_u32_e32 v3, vcc, v4, v3, vcc
	v_add_co_u32_e32 v0, vcc, 0x400, v0
	v_addc_co_u32_e32 v1, vcc, 0, v1, vcc
	v_cmp_le_i64_e32 vcc, s[4:5], v[0:1]
	s_or_b64 s[10:11], vcc, s[10:11]
	s_waitcnt lgkmcnt(0)
	global_store_dword v[2:3], v6, off
	s_andn2_b64 exec, exec, s[10:11]
	s_cbranch_execz .LBB100_91
.LBB100_84:                             ; =>This Loop Header: Depth=1
                                        ;     Child Loop BB100_86 Depth 2
                                        ;     Child Loop BB100_90 Depth 2
	v_lshl_add_u32 v2, v0, 3, 0
	v_lshlrev_b32_e32 v3, 2, v0
	v_sub_u32_e32 v4, v2, v3
	ds_read_b64 v[2:3], v2
	ds_read_b32 v6, v4 offset:16384
	s_and_b64 vcc, exec, s[0:1]
	v_pk_mov_b32 v[4:5], s[6:7], s[6:7] op_sel:[0,1]
	s_mov_b64 s[14:15], 0
	s_cbranch_vccnz .LBB100_88
; %bb.85:                               ;   in Loop: Header=BB100_84 Depth=1
	s_mov_b32 s17, 0
	v_pk_mov_b32 v[4:5], s[6:7], s[6:7] op_sel:[0,1]
.LBB100_86:                             ;   Parent Loop BB100_84 Depth=1
                                        ; =>  This Inner Loop Header: Depth=2
	v_mov_b32_e32 v7, s17
	ds_read2_b64 v[8:11], v7 offset1:1
	ds_read2_b64 v[12:15], v7 offset0:2 offset1:3
	ds_read2_b64 v[16:19], v7 offset0:4 offset1:5
	;; [unrolled: 1-line block ×3, first 2 shown]
	s_add_u32 s14, s14, 8
	s_waitcnt lgkmcnt(3)
	v_cmp_gt_i64_e32 vcc, v[2:3], v[8:9]
	v_cndmask_b32_e64 v7, 0, 1, vcc
	v_cmp_gt_i64_e32 vcc, v[2:3], v[10:11]
	v_cndmask_b32_e64 v8, 0, 1, vcc
	s_waitcnt lgkmcnt(2)
	v_cmp_gt_i64_e32 vcc, v[2:3], v[12:13]
	v_cndmask_b32_e64 v9, 0, 1, vcc
	v_cmp_gt_i64_e32 vcc, v[2:3], v[14:15]
	v_cndmask_b32_e64 v10, 0, 1, vcc
	;; [unrolled: 5-line block ×4, first 2 shown]
	v_add_co_u32_e32 v4, vcc, v4, v7
	v_addc_co_u32_e32 v5, vcc, 0, v5, vcc
	v_add_co_u32_e32 v4, vcc, v4, v8
	v_addc_co_u32_e32 v5, vcc, 0, v5, vcc
	;; [unrolled: 2-line block ×7, first 2 shown]
	s_addc_u32 s15, s15, 0
	s_add_i32 s17, s17, 64
	v_add_co_u32_e32 v4, vcc, v4, v14
	s_cmp_eq_u64 s[2:3], s[14:15]
	v_addc_co_u32_e32 v5, vcc, 0, v5, vcc
	s_cbranch_scc0 .LBB100_86
; %bb.87:                               ;   in Loop: Header=BB100_84 Depth=1
	s_mov_b64 s[14:15], s[2:3]
.LBB100_88:                             ;   in Loop: Header=BB100_84 Depth=1
	s_andn2_b64 vcc, exec, s[12:13]
	s_cbranch_vccnz .LBB100_83
; %bb.89:                               ;   in Loop: Header=BB100_84 Depth=1
	s_lshl_b32 s14, s14, 3
	s_add_i32 s17, s14, 0
	s_mov_b64 s[14:15], s[8:9]
.LBB100_90:                             ;   Parent Loop BB100_84 Depth=1
                                        ; =>  This Inner Loop Header: Depth=2
	v_mov_b32_e32 v7, s17
	ds_read_b64 v[8:9], v7
	s_add_i32 s17, s17, 8
	s_add_u32 s14, s14, -1
	s_addc_u32 s15, s15, -1
	s_cmp_lg_u64 s[14:15], 0
	s_waitcnt lgkmcnt(0)
	v_cmp_gt_i64_e32 vcc, v[2:3], v[8:9]
	v_cndmask_b32_e64 v7, 0, 1, vcc
	v_add_co_u32_e32 v4, vcc, v4, v7
	v_addc_co_u32_e32 v5, vcc, 0, v5, vcc
	s_cbranch_scc1 .LBB100_90
	s_branch .LBB100_83
.LBB100_91:
	s_endpgm
	.section	.rodata,"a",@progbits
	.p2align	6, 0x0
	.amdhsa_kernel _ZN9rocsparseL26csrgemm_fill_block_per_rowILj1024ELj32ELj2048ELj137ELj64EllfEEvT5_PKS1_S3_NS_24const_host_device_scalarIT6_EEPKT4_S3_PKS5_S9_S3_SB_S6_S9_S3_SB_S9_PS1_PS5_21rocsparse_index_base_SE_SE_SE_bbb
		.amdhsa_group_segment_fixed_size 0
		.amdhsa_private_segment_fixed_size 0
		.amdhsa_kernarg_size 156
		.amdhsa_user_sgpr_count 6
		.amdhsa_user_sgpr_private_segment_buffer 1
		.amdhsa_user_sgpr_dispatch_ptr 0
		.amdhsa_user_sgpr_queue_ptr 0
		.amdhsa_user_sgpr_kernarg_segment_ptr 1
		.amdhsa_user_sgpr_dispatch_id 0
		.amdhsa_user_sgpr_flat_scratch_init 0
		.amdhsa_user_sgpr_kernarg_preload_length 0
		.amdhsa_user_sgpr_kernarg_preload_offset 0
		.amdhsa_user_sgpr_private_segment_size 0
		.amdhsa_uses_dynamic_stack 0
		.amdhsa_system_sgpr_private_segment_wavefront_offset 0
		.amdhsa_system_sgpr_workgroup_id_x 1
		.amdhsa_system_sgpr_workgroup_id_y 0
		.amdhsa_system_sgpr_workgroup_id_z 0
		.amdhsa_system_sgpr_workgroup_info 0
		.amdhsa_system_vgpr_workitem_id 0
		.amdhsa_next_free_vgpr 26
		.amdhsa_next_free_sgpr 55
		.amdhsa_accum_offset 28
		.amdhsa_reserve_vcc 1
		.amdhsa_reserve_flat_scratch 0
		.amdhsa_float_round_mode_32 0
		.amdhsa_float_round_mode_16_64 0
		.amdhsa_float_denorm_mode_32 3
		.amdhsa_float_denorm_mode_16_64 3
		.amdhsa_dx10_clamp 1
		.amdhsa_ieee_mode 1
		.amdhsa_fp16_overflow 0
		.amdhsa_tg_split 0
		.amdhsa_exception_fp_ieee_invalid_op 0
		.amdhsa_exception_fp_denorm_src 0
		.amdhsa_exception_fp_ieee_div_zero 0
		.amdhsa_exception_fp_ieee_overflow 0
		.amdhsa_exception_fp_ieee_underflow 0
		.amdhsa_exception_fp_ieee_inexact 0
		.amdhsa_exception_int_div_zero 0
	.end_amdhsa_kernel
	.section	.text._ZN9rocsparseL26csrgemm_fill_block_per_rowILj1024ELj32ELj2048ELj137ELj64EllfEEvT5_PKS1_S3_NS_24const_host_device_scalarIT6_EEPKT4_S3_PKS5_S9_S3_SB_S6_S9_S3_SB_S9_PS1_PS5_21rocsparse_index_base_SE_SE_SE_bbb,"axG",@progbits,_ZN9rocsparseL26csrgemm_fill_block_per_rowILj1024ELj32ELj2048ELj137ELj64EllfEEvT5_PKS1_S3_NS_24const_host_device_scalarIT6_EEPKT4_S3_PKS5_S9_S3_SB_S6_S9_S3_SB_S9_PS1_PS5_21rocsparse_index_base_SE_SE_SE_bbb,comdat
.Lfunc_end100:
	.size	_ZN9rocsparseL26csrgemm_fill_block_per_rowILj1024ELj32ELj2048ELj137ELj64EllfEEvT5_PKS1_S3_NS_24const_host_device_scalarIT6_EEPKT4_S3_PKS5_S9_S3_SB_S6_S9_S3_SB_S9_PS1_PS5_21rocsparse_index_base_SE_SE_SE_bbb, .Lfunc_end100-_ZN9rocsparseL26csrgemm_fill_block_per_rowILj1024ELj32ELj2048ELj137ELj64EllfEEvT5_PKS1_S3_NS_24const_host_device_scalarIT6_EEPKT4_S3_PKS5_S9_S3_SB_S6_S9_S3_SB_S9_PS1_PS5_21rocsparse_index_base_SE_SE_SE_bbb
                                        ; -- End function
	.section	.AMDGPU.csdata,"",@progbits
; Kernel info:
; codeLenInByte = 3204
; NumSgprs: 59
; NumVgprs: 26
; NumAgprs: 0
; TotalNumVgprs: 26
; ScratchSize: 0
; MemoryBound: 0
; FloatMode: 240
; IeeeMode: 1
; LDSByteSize: 0 bytes/workgroup (compile time only)
; SGPRBlocks: 7
; VGPRBlocks: 3
; NumSGPRsForWavesPerEU: 59
; NumVGPRsForWavesPerEU: 26
; AccumOffset: 28
; Occupancy: 8
; WaveLimiterHint : 1
; COMPUTE_PGM_RSRC2:SCRATCH_EN: 0
; COMPUTE_PGM_RSRC2:USER_SGPR: 6
; COMPUTE_PGM_RSRC2:TRAP_HANDLER: 0
; COMPUTE_PGM_RSRC2:TGID_X_EN: 1
; COMPUTE_PGM_RSRC2:TGID_Y_EN: 0
; COMPUTE_PGM_RSRC2:TGID_Z_EN: 0
; COMPUTE_PGM_RSRC2:TIDIG_COMP_CNT: 0
; COMPUTE_PGM_RSRC3_GFX90A:ACCUM_OFFSET: 6
; COMPUTE_PGM_RSRC3_GFX90A:TG_SPLIT: 0
	.section	.text._ZN9rocsparseL26csrgemm_fill_block_per_rowILj1024ELj64ELj4096ELj137ELj32EllfEEvT5_PKS1_S3_NS_24const_host_device_scalarIT6_EEPKT4_S3_PKS5_S9_S3_SB_S6_S9_S3_SB_S9_PS1_PS5_21rocsparse_index_base_SE_SE_SE_bbb,"axG",@progbits,_ZN9rocsparseL26csrgemm_fill_block_per_rowILj1024ELj64ELj4096ELj137ELj32EllfEEvT5_PKS1_S3_NS_24const_host_device_scalarIT6_EEPKT4_S3_PKS5_S9_S3_SB_S6_S9_S3_SB_S9_PS1_PS5_21rocsparse_index_base_SE_SE_SE_bbb,comdat
	.globl	_ZN9rocsparseL26csrgemm_fill_block_per_rowILj1024ELj64ELj4096ELj137ELj32EllfEEvT5_PKS1_S3_NS_24const_host_device_scalarIT6_EEPKT4_S3_PKS5_S9_S3_SB_S6_S9_S3_SB_S9_PS1_PS5_21rocsparse_index_base_SE_SE_SE_bbb ; -- Begin function _ZN9rocsparseL26csrgemm_fill_block_per_rowILj1024ELj64ELj4096ELj137ELj32EllfEEvT5_PKS1_S3_NS_24const_host_device_scalarIT6_EEPKT4_S3_PKS5_S9_S3_SB_S6_S9_S3_SB_S9_PS1_PS5_21rocsparse_index_base_SE_SE_SE_bbb
	.p2align	8
	.type	_ZN9rocsparseL26csrgemm_fill_block_per_rowILj1024ELj64ELj4096ELj137ELj32EllfEEvT5_PKS1_S3_NS_24const_host_device_scalarIT6_EEPKT4_S3_PKS5_S9_S3_SB_S6_S9_S3_SB_S9_PS1_PS5_21rocsparse_index_base_SE_SE_SE_bbb,@function
_ZN9rocsparseL26csrgemm_fill_block_per_rowILj1024ELj64ELj4096ELj137ELj32EllfEEvT5_PKS1_S3_NS_24const_host_device_scalarIT6_EEPKT4_S3_PKS5_S9_S3_SB_S6_S9_S3_SB_S9_PS1_PS5_21rocsparse_index_base_SE_SE_SE_bbb: ; @_ZN9rocsparseL26csrgemm_fill_block_per_rowILj1024ELj64ELj4096ELj137ELj32EllfEEvT5_PKS1_S3_NS_24const_host_device_scalarIT6_EEPKT4_S3_PKS5_S9_S3_SB_S6_S9_S3_SB_S9_PS1_PS5_21rocsparse_index_base_SE_SE_SE_bbb
; %bb.0:
	s_load_dword s7, s[4:5], 0x98
	s_load_dwordx4 s[68:71], s[4:5], 0x88
	s_load_dwordx2 s[0:1], s[4:5], 0x18
	s_load_dwordx2 s[24:25], s[4:5], 0x50
	s_waitcnt lgkmcnt(0)
	s_bitcmp1_b32 s7, 0
	s_cselect_b64 s[2:3], -1, 0
	s_bitcmp1_b32 s7, 16
	s_cselect_b64 s[26:27], -1, 0
	s_xor_b64 s[8:9], s[2:3], -1
	s_or_b64 s[8:9], s[8:9], s[26:27]
	s_and_b64 vcc, exec, s[8:9]
	s_cbranch_vccnz .LBB101_2
; %bb.1:
	s_load_dword s0, s[0:1], 0x0
	s_waitcnt lgkmcnt(0)
	v_mov_b32_e32 v16, s0
	s_branch .LBB101_3
.LBB101_2:
	v_mov_b32_e32 v1, s0
	v_cndmask_b32_e64 v16, 0, v1, s[2:3]
.LBB101_3:
	s_load_dwordx4 s[72:75], s[4:5], 0x78
	s_load_dwordx8 s[60:67], s[4:5], 0x58
	s_load_dwordx4 s[16:19], s[4:5], 0x40
	s_load_dwordx4 s[20:23], s[4:5], 0x8
	s_load_dwordx8 s[8:15], s[4:5], 0x20
	s_bitcmp1_b32 s7, 8
	s_cselect_b64 s[0:1], -1, 0
	s_xor_b64 s[28:29], s[0:1], -1
	s_or_b64 s[26:27], s[28:29], s[26:27]
	s_and_b64 vcc, exec, s[26:27]
	s_cbranch_vccnz .LBB101_5
; %bb.4:
	s_load_dword s7, s[24:25], 0x0
	s_waitcnt lgkmcnt(0)
	v_mov_b32_e32 v11, s7
	s_branch .LBB101_6
.LBB101_5:
	v_mov_b32_e32 v1, s24
	v_cndmask_b32_e64 v11, 0, v1, s[0:1]
.LBB101_6:
	s_load_dwordx2 s[76:77], s[4:5], 0x0
	v_lshl_add_u32 v1, v0, 2, 0
	v_add_u32_e32 v1, 0x8000, v1
	v_or_b32_e32 v14, 0xfffffc00, v0
	v_lshl_add_u32 v15, v0, 3, 0
	s_mov_b64 s[4:5], 0
	s_waitcnt lgkmcnt(0)
	v_pk_mov_b32 v[2:3], s[76:77], s[76:77] op_sel:[0,1]
	v_mov_b32_e32 v4, 0
	s_movk_i32 s7, 0xbff
	v_mov_b32_e32 v5, v15
	v_mov_b32_e32 v6, v14
	;; [unrolled: 1-line block ×3, first 2 shown]
.LBB101_7:                              ; =>This Inner Loop Header: Depth=1
	v_add_u32_e32 v6, 0x400, v6
	v_cmp_lt_u32_e32 vcc, s7, v6
	ds_write_b64 v5, v[2:3]
	ds_write_b32 v7, v4
	v_add_u32_e32 v7, 0x1000, v7
	s_or_b64 s[4:5], vcc, s[4:5]
	v_add_u32_e32 v5, 0x2000, v5
	s_andn2_b64 exec, exec, s[4:5]
	s_cbranch_execnz .LBB101_7
; %bb.8:
	s_or_b64 exec, exec, s[4:5]
	s_waitcnt lgkmcnt(0)
	s_barrier
	s_load_dwordx2 s[4:5], s[20:21], 0x0
	s_mov_b32 s7, 0
	s_waitcnt lgkmcnt(0)
	s_lshl_b64 s[4:5], s[4:5], 3
	s_add_u32 s20, s22, s4
	s_addc_u32 s21, s23, s5
	s_lshl_b64 s[4:5], s[6:7], 3
	s_add_u32 s4, s20, s4
	s_addc_u32 s5, s21, s5
	s_load_dwordx2 s[78:79], s[4:5], 0x0
	s_and_b64 vcc, exec, s[2:3]
	s_cbranch_vccz .LBB101_28
; %bb.9:
	s_waitcnt lgkmcnt(0)
	s_lshl_b64 s[2:3], s[78:79], 3
	s_add_u32 s2, s8, s2
	s_addc_u32 s3, s9, s3
	s_load_dwordx4 s[20:23], s[2:3], 0x0
	v_lshrrev_b32_e32 v2, 6, v0
	v_subrev_co_u32_e32 v2, vcc, s68, v2
	v_subb_co_u32_e64 v3, s[4:5], 0, 0, vcc
	s_waitcnt lgkmcnt(0)
	s_sub_u32 s2, s22, s68
	v_mov_b32_e32 v4, s21
	v_add_co_u32_e32 v2, vcc, s20, v2
	s_subb_u32 s3, s23, 0
	v_addc_co_u32_e32 v3, vcc, v4, v3, vcc
	v_cmp_gt_i64_e32 vcc, s[2:3], v[2:3]
	s_and_saveexec_b64 s[4:5], vcc
	s_cbranch_execz .LBB101_27
; %bb.10:
	v_and_b32_e32 v4, 63, v0
	v_subrev_co_u32_e32 v17, vcc, s69, v4
	s_mov_b32 s6, 0
	v_subb_co_u32_e64 v18, s[8:9], 0, 0, vcc
	s_mov_b32 s33, s68
	s_mov_b32 s36, s69
	s_mov_b64 s[8:9], 0
	v_mov_b32_e32 v19, s11
	v_mov_b32_e32 v20, s7
	;; [unrolled: 1-line block ×4, first 2 shown]
	s_movk_i32 s11, 0x89
	s_branch .LBB101_12
.LBB101_11:                             ;   in Loop: Header=BB101_12 Depth=1
	s_or_b64 exec, exec, s[6:7]
	v_add_co_u32_e32 v2, vcc, 16, v2
	v_addc_co_u32_e32 v3, vcc, 0, v3, vcc
	v_cmp_le_i64_e32 vcc, s[2:3], v[2:3]
	s_or_b64 s[8:9], vcc, s[8:9]
	s_andn2_b64 exec, exec, s[8:9]
	s_cbranch_execz .LBB101_27
.LBB101_12:                             ; =>This Loop Header: Depth=1
                                        ;     Child Loop BB101_15 Depth 2
                                        ;       Child Loop BB101_17 Depth 3
	v_lshlrev_b64 v[4:5], 3, v[2:3]
	v_add_co_u32_e32 v4, vcc, s10, v4
	v_addc_co_u32_e32 v5, vcc, v19, v5, vcc
	global_load_dwordx2 v[4:5], v[4:5], off
	s_waitcnt vmcnt(0)
	v_subrev_co_u32_e32 v4, vcc, s33, v4
	v_subb_co_u32_e32 v5, vcc, v5, v20, vcc
	v_lshlrev_b64 v[4:5], 3, v[4:5]
	v_add_co_u32_e32 v4, vcc, s14, v4
	v_addc_co_u32_e32 v5, vcc, v21, v5, vcc
	global_load_dwordx4 v[6:9], v[4:5], off
	s_waitcnt vmcnt(0)
	v_subrev_co_u32_e32 v4, vcc, s36, v8
	v_subb_co_u32_e32 v5, vcc, v9, v22, vcc
	v_add_co_u32_e32 v6, vcc, v6, v17
	v_addc_co_u32_e32 v7, vcc, v7, v18, vcc
	v_cmp_lt_i64_e32 vcc, v[6:7], v[4:5]
	s_and_saveexec_b64 s[6:7], vcc
	s_cbranch_execz .LBB101_11
; %bb.13:                               ;   in Loop: Header=BB101_12 Depth=1
	v_lshlrev_b64 v[8:9], 2, v[2:3]
	v_mov_b32_e32 v10, s13
	v_add_co_u32_e32 v8, vcc, s12, v8
	v_addc_co_u32_e32 v9, vcc, v10, v9, vcc
	global_load_dword v8, v[8:9], off
	s_mov_b64 s[20:21], 0
	s_waitcnt vmcnt(0)
	v_mul_f32_e32 v23, v16, v8
	s_branch .LBB101_15
.LBB101_14:                             ;   in Loop: Header=BB101_15 Depth=2
	s_or_b64 exec, exec, s[22:23]
	v_add_co_u32_e32 v6, vcc, 64, v6
	v_addc_co_u32_e32 v7, vcc, 0, v7, vcc
	v_cmp_ge_i64_e32 vcc, v[6:7], v[4:5]
	s_or_b64 s[20:21], vcc, s[20:21]
	s_andn2_b64 exec, exec, s[20:21]
	s_cbranch_execz .LBB101_11
.LBB101_15:                             ;   Parent Loop BB101_12 Depth=1
                                        ; =>  This Loop Header: Depth=2
                                        ;       Child Loop BB101_17 Depth 3
	v_lshlrev_b64 v[8:9], 3, v[6:7]
	v_mov_b32_e32 v10, s17
	v_add_co_u32_e32 v8, vcc, s16, v8
	v_addc_co_u32_e32 v9, vcc, v10, v9, vcc
	v_lshlrev_b64 v[12:13], 2, v[6:7]
	v_mov_b32_e32 v10, s19
	v_add_co_u32_e32 v12, vcc, s18, v12
	global_load_dwordx2 v[8:9], v[8:9], off
	v_addc_co_u32_e32 v13, vcc, v10, v13, vcc
	global_load_dword v10, v[12:13], off
	s_mov_b64 s[22:23], 0
	s_waitcnt vmcnt(1)
	v_subrev_co_u32_e32 v8, vcc, s36, v8
	v_subb_co_u32_e32 v9, vcc, v9, v22, vcc
	s_waitcnt vmcnt(0)
	v_mul_f32_e32 v24, v23, v10
	v_mul_lo_u32 v10, v8, s11
	v_and_b32_e32 v10, 0xfff, v10
	s_branch .LBB101_17
.LBB101_16:                             ;   in Loop: Header=BB101_17 Depth=3
	s_or_b64 exec, exec, s[24:25]
	s_xor_b64 s[24:25], s[26:27], -1
	s_and_b64 s[24:25], exec, s[24:25]
	s_or_b64 s[22:23], s[24:25], s[22:23]
	s_andn2_b64 exec, exec, s[22:23]
	s_cbranch_execz .LBB101_14
.LBB101_17:                             ;   Parent Loop BB101_12 Depth=1
                                        ;     Parent Loop BB101_15 Depth=2
                                        ; =>    This Inner Loop Header: Depth=3
	v_lshl_add_u32 v25, v10, 3, 0
	ds_read_b64 v[12:13], v25
                                        ; implicit-def: $sgpr26_sgpr27
	s_waitcnt lgkmcnt(0)
	v_cmp_ne_u64_e32 vcc, v[12:13], v[8:9]
	s_and_saveexec_b64 s[24:25], vcc
	s_xor_b64 s[24:25], exec, s[24:25]
	s_cbranch_execz .LBB101_25
; %bb.18:                               ;   in Loop: Header=BB101_17 Depth=3
	v_cmp_ne_u64_e32 vcc, s[76:77], v[12:13]
                                        ; implicit-def: $sgpr26_sgpr27
	s_and_saveexec_b64 s[28:29], vcc
	s_xor_b64 s[28:29], exec, s[28:29]
; %bb.19:                               ;   in Loop: Header=BB101_17 Depth=3
	v_add_u32_e32 v10, 1, v10
	v_and_b32_e32 v10, 0xfff, v10
	s_mov_b64 s[26:27], -1
                                        ; implicit-def: $vgpr25
; %bb.20:                               ;   in Loop: Header=BB101_17 Depth=3
	s_andn2_saveexec_b64 s[28:29], s[28:29]
	s_cbranch_execz .LBB101_24
; %bb.21:                               ;   in Loop: Header=BB101_17 Depth=3
	v_pk_mov_b32 v[12:13], s[76:77], s[76:77] op_sel:[0,1]
	ds_cmpst_rtn_b64 v[12:13], v25, v[12:13], v[8:9]
	s_mov_b64 s[30:31], -1
	s_waitcnt lgkmcnt(0)
	v_cmp_eq_u64_e32 vcc, s[76:77], v[12:13]
	s_and_saveexec_b64 s[34:35], vcc
	s_cbranch_execz .LBB101_23
; %bb.22:                               ;   in Loop: Header=BB101_17 Depth=3
	v_lshlrev_b32_e32 v12, 2, v10
	v_sub_u32_e32 v12, v25, v12
	ds_add_f32 v12, v24 offset:32768
	s_xor_b64 s[30:31], exec, -1
.LBB101_23:                             ;   in Loop: Header=BB101_17 Depth=3
	s_or_b64 exec, exec, s[34:35]
	s_andn2_b64 s[26:27], s[26:27], exec
	s_and_b64 s[30:31], s[30:31], exec
	s_or_b64 s[26:27], s[26:27], s[30:31]
.LBB101_24:                             ;   in Loop: Header=BB101_17 Depth=3
	s_or_b64 exec, exec, s[28:29]
	s_and_b64 s[26:27], s[26:27], exec
                                        ; implicit-def: $vgpr25
.LBB101_25:                             ;   in Loop: Header=BB101_17 Depth=3
	s_andn2_saveexec_b64 s[24:25], s[24:25]
	s_cbranch_execz .LBB101_16
; %bb.26:                               ;   in Loop: Header=BB101_17 Depth=3
	v_lshlrev_b32_e32 v12, 2, v10
	v_sub_u32_e32 v12, v25, v12
	ds_add_f32 v12, v24 offset:32768
	s_andn2_b64 s[26:27], s[26:27], exec
	s_branch .LBB101_16
.LBB101_27:
	s_or_b64 exec, exec, s[4:5]
.LBB101_28:
	s_andn2_b64 vcc, exec, s[0:1]
	s_cbranch_vccnz .LBB101_45
; %bb.29:
	s_waitcnt lgkmcnt(0)
	s_lshl_b64 s[0:1], s[78:79], 3
	s_add_u32 s0, s60, s0
	s_addc_u32 s1, s61, s1
	s_load_dwordx4 s[8:11], s[0:1], 0x0
	v_subrev_co_u32_e32 v2, vcc, s71, v0
	v_subb_co_u32_e64 v3, s[2:3], 0, 0, vcc
	s_waitcnt lgkmcnt(0)
	s_sub_u32 s0, s10, s71
	v_mov_b32_e32 v4, s9
	v_add_co_u32_e32 v2, vcc, s8, v2
	s_subb_u32 s1, s11, 0
	v_addc_co_u32_e32 v3, vcc, v4, v3, vcc
	s_mov_b32 s6, 0
	v_cmp_gt_i64_e32 vcc, s[0:1], v[2:3]
	s_and_saveexec_b64 s[2:3], vcc
	s_cbranch_execz .LBB101_44
; %bb.30:
	s_mov_b32 s18, s71
	s_mov_b64 s[4:5], 0
	v_mov_b32_e32 v7, s63
	v_mov_b32_e32 v10, s6
	;; [unrolled: 1-line block ×3, first 2 shown]
	s_movk_i32 s19, 0x89
	s_branch .LBB101_32
.LBB101_31:                             ;   in Loop: Header=BB101_32 Depth=1
	s_or_b64 exec, exec, s[6:7]
	v_add_co_u32_e32 v2, vcc, 0x400, v2
	v_addc_co_u32_e32 v3, vcc, 0, v3, vcc
	v_cmp_le_i64_e32 vcc, s[0:1], v[2:3]
	s_or_b64 s[4:5], vcc, s[4:5]
	s_andn2_b64 exec, exec, s[4:5]
	s_cbranch_execz .LBB101_44
.LBB101_32:                             ; =>This Loop Header: Depth=1
                                        ;     Child Loop BB101_34 Depth 2
	v_lshlrev_b64 v[4:5], 3, v[2:3]
	v_add_co_u32_e32 v4, vcc, s62, v4
	v_addc_co_u32_e32 v5, vcc, v7, v5, vcc
	v_lshlrev_b64 v[8:9], 2, v[2:3]
	v_add_co_u32_e32 v8, vcc, s64, v8
	global_load_dwordx2 v[4:5], v[4:5], off
	v_addc_co_u32_e32 v9, vcc, v12, v9, vcc
	global_load_dword v6, v[8:9], off
	s_mov_b64 s[6:7], 0
	s_waitcnt vmcnt(1)
	v_subrev_co_u32_e32 v4, vcc, s18, v4
	v_subb_co_u32_e32 v5, vcc, v5, v10, vcc
	s_waitcnt vmcnt(0)
	v_mul_f32_e32 v13, v11, v6
	v_mul_lo_u32 v6, v4, s19
	v_and_b32_e32 v6, 0xfff, v6
	s_branch .LBB101_34
.LBB101_33:                             ;   in Loop: Header=BB101_34 Depth=2
	s_or_b64 exec, exec, s[8:9]
	s_xor_b64 s[8:9], s[10:11], -1
	s_and_b64 s[8:9], exec, s[8:9]
	s_or_b64 s[6:7], s[8:9], s[6:7]
	s_andn2_b64 exec, exec, s[6:7]
	s_cbranch_execz .LBB101_31
.LBB101_34:                             ;   Parent Loop BB101_32 Depth=1
                                        ; =>  This Inner Loop Header: Depth=2
	v_lshl_add_u32 v16, v6, 3, 0
	ds_read_b64 v[8:9], v16
                                        ; implicit-def: $sgpr10_sgpr11
	s_waitcnt lgkmcnt(0)
	v_cmp_ne_u64_e32 vcc, v[8:9], v[4:5]
	s_and_saveexec_b64 s[8:9], vcc
	s_xor_b64 s[8:9], exec, s[8:9]
	s_cbranch_execz .LBB101_42
; %bb.35:                               ;   in Loop: Header=BB101_34 Depth=2
	v_cmp_ne_u64_e32 vcc, s[76:77], v[8:9]
                                        ; implicit-def: $sgpr10_sgpr11
	s_and_saveexec_b64 s[12:13], vcc
	s_xor_b64 s[12:13], exec, s[12:13]
; %bb.36:                               ;   in Loop: Header=BB101_34 Depth=2
	v_add_u32_e32 v6, 1, v6
	v_and_b32_e32 v6, 0xfff, v6
	s_mov_b64 s[10:11], -1
                                        ; implicit-def: $vgpr16
; %bb.37:                               ;   in Loop: Header=BB101_34 Depth=2
	s_andn2_saveexec_b64 s[12:13], s[12:13]
	s_cbranch_execz .LBB101_41
; %bb.38:                               ;   in Loop: Header=BB101_34 Depth=2
	v_pk_mov_b32 v[8:9], s[76:77], s[76:77] op_sel:[0,1]
	ds_cmpst_rtn_b64 v[8:9], v16, v[8:9], v[4:5]
	s_mov_b64 s[14:15], -1
	s_waitcnt lgkmcnt(0)
	v_cmp_eq_u64_e32 vcc, s[76:77], v[8:9]
	s_and_saveexec_b64 s[16:17], vcc
	s_cbranch_execz .LBB101_40
; %bb.39:                               ;   in Loop: Header=BB101_34 Depth=2
	v_lshlrev_b32_e32 v8, 2, v6
	v_sub_u32_e32 v8, v16, v8
	ds_add_f32 v8, v13 offset:32768
	s_xor_b64 s[14:15], exec, -1
.LBB101_40:                             ;   in Loop: Header=BB101_34 Depth=2
	s_or_b64 exec, exec, s[16:17]
	s_andn2_b64 s[10:11], s[10:11], exec
	s_and_b64 s[14:15], s[14:15], exec
	s_or_b64 s[10:11], s[10:11], s[14:15]
.LBB101_41:                             ;   in Loop: Header=BB101_34 Depth=2
	s_or_b64 exec, exec, s[12:13]
	s_and_b64 s[10:11], s[10:11], exec
                                        ; implicit-def: $vgpr16
.LBB101_42:                             ;   in Loop: Header=BB101_34 Depth=2
	s_andn2_saveexec_b64 s[8:9], s[8:9]
	s_cbranch_execz .LBB101_33
; %bb.43:                               ;   in Loop: Header=BB101_34 Depth=2
	v_lshlrev_b32_e32 v8, 2, v6
	v_sub_u32_e32 v8, v16, v8
	ds_add_f32 v8, v13 offset:32768
	s_andn2_b64 s[10:11], s[10:11], exec
	s_branch .LBB101_33
.LBB101_44:
	s_or_b64 exec, exec, s[2:3]
.LBB101_45:
	s_movk_i32 s33, 0x21f
	v_cmp_lt_u32_e64 s[34:35], s33, v0
	s_movk_i32 s33, 0x23f
	v_cmp_lt_u32_e64 s[36:37], s33, v0
	;; [unrolled: 2-line block ×9, first 2 shown]
	s_movk_i32 s33, 0x33f
	v_mbcnt_lo_u32_b32 v2, -1, 0
	v_cmp_lt_u32_e64 s[52:53], s33, v0
	s_movk_i32 s33, 0x35f
	v_mbcnt_hi_u32_b32 v2, -1, v2
	v_cmp_lt_u32_e64 s[54:55], s33, v0
	s_movk_i32 s33, 0x37f
	v_sub_u32_e32 v2, 63, v2
	v_cmp_lt_u32_e64 s[56:57], s33, v0
	s_movk_i32 s33, 0x39f
	v_lshrrev_b64 v[4:5], v2, -1
	v_lshrrev_b32_e32 v2, 2, v0
	v_cmp_lt_u32_e64 s[58:59], s33, v0
	s_movk_i32 s33, 0x3bf
	v_and_b32_e32 v2, 0xf8, v2
	s_movk_i32 s0, 0x3ff
	s_movk_i32 s4, 0x5f
	;; [unrolled: 1-line block ×15, first 2 shown]
	v_cmp_lt_u32_e64 s[60:61], s33, v0
	s_movk_i32 s33, 0x3df
	v_mov_b32_e32 v3, 0
	v_add_u32_e32 v12, 0, v2
	v_cmp_eq_u32_e32 vcc, s0, v0
	v_cmp_lt_u32_e64 s[0:1], 31, v0
	v_cmp_lt_u32_e64 s[2:3], 63, v0
	;; [unrolled: 1-line block ×17, first 2 shown]
	s_mov_b64 s[68:69], 0
	v_pk_mov_b32 v[6:7], 0, 0
	s_movk_i32 s33, 0xbff
	s_waitcnt lgkmcnt(0)
	s_barrier
	s_branch .LBB101_47
.LBB101_46:                             ;   in Loop: Header=BB101_47 Depth=1
	s_or_b64 exec, exec, s[64:65]
	s_waitcnt lgkmcnt(0)
	s_barrier
	ds_read_b64 v[8:9], v3 offset:49400
	v_add_u32_e32 v14, 0x400, v14
	v_add_u32_e32 v1, 0x1000, v1
	;; [unrolled: 1-line block ×3, first 2 shown]
	s_waitcnt lgkmcnt(0)
	v_add_co_u32_e64 v6, s[64:65], v8, v6
	v_addc_co_u32_e64 v7, s[64:65], v9, v7, s[64:65]
	v_cmp_lt_u32_e64 s[64:65], s33, v14
	s_or_b64 s[68:69], s[64:65], s[68:69]
	s_andn2_b64 exec, exec, s[68:69]
	s_cbranch_execz .LBB101_113
.LBB101_47:                             ; =>This Inner Loop Header: Depth=1
	ds_read_b64 v[8:9], v15
	ds_read_b32 v13, v1
	s_waitcnt lgkmcnt(0)
	s_barrier
	v_cmp_gt_i64_e64 s[64:65], s[76:77], v[8:9]
	v_and_b32_e32 v11, s64, v4
	s_bcnt1_i32_b64 s71, s[64:65]
	v_and_b32_e32 v10, s65, v5
	v_bcnt_u32_b32 v11, v11, 0
	v_mov_b32_e32 v2, s71
	v_bcnt_u32_b32 v10, v10, v11
	ds_write_b64 v12, v[2:3] offset:49152
	s_waitcnt lgkmcnt(0)
	s_barrier
	s_and_saveexec_b64 s[80:81], s[0:1]
	s_cbranch_execnz .LBB101_80
; %bb.48:                               ;   in Loop: Header=BB101_47 Depth=1
	s_or_b64 exec, exec, s[80:81]
	s_and_saveexec_b64 s[80:81], s[2:3]
	s_cbranch_execnz .LBB101_81
.LBB101_49:                             ;   in Loop: Header=BB101_47 Depth=1
	s_or_b64 exec, exec, s[80:81]
	s_and_saveexec_b64 s[80:81], s[4:5]
	s_cbranch_execnz .LBB101_82
.LBB101_50:                             ;   in Loop: Header=BB101_47 Depth=1
	s_or_b64 exec, exec, s[80:81]
	s_and_saveexec_b64 s[80:81], s[6:7]
	s_cbranch_execnz .LBB101_83
.LBB101_51:                             ;   in Loop: Header=BB101_47 Depth=1
	s_or_b64 exec, exec, s[80:81]
	s_and_saveexec_b64 s[80:81], s[8:9]
	s_cbranch_execnz .LBB101_84
.LBB101_52:                             ;   in Loop: Header=BB101_47 Depth=1
	s_or_b64 exec, exec, s[80:81]
	s_and_saveexec_b64 s[80:81], s[10:11]
	s_cbranch_execnz .LBB101_85
.LBB101_53:                             ;   in Loop: Header=BB101_47 Depth=1
	s_or_b64 exec, exec, s[80:81]
	s_and_saveexec_b64 s[80:81], s[12:13]
	s_cbranch_execnz .LBB101_86
.LBB101_54:                             ;   in Loop: Header=BB101_47 Depth=1
	s_or_b64 exec, exec, s[80:81]
	s_and_saveexec_b64 s[80:81], s[14:15]
	s_cbranch_execnz .LBB101_87
.LBB101_55:                             ;   in Loop: Header=BB101_47 Depth=1
	s_or_b64 exec, exec, s[80:81]
	s_and_saveexec_b64 s[80:81], s[16:17]
	s_cbranch_execnz .LBB101_88
.LBB101_56:                             ;   in Loop: Header=BB101_47 Depth=1
	s_or_b64 exec, exec, s[80:81]
	s_and_saveexec_b64 s[80:81], s[18:19]
	s_cbranch_execnz .LBB101_89
.LBB101_57:                             ;   in Loop: Header=BB101_47 Depth=1
	s_or_b64 exec, exec, s[80:81]
	s_and_saveexec_b64 s[80:81], s[20:21]
	s_cbranch_execnz .LBB101_90
.LBB101_58:                             ;   in Loop: Header=BB101_47 Depth=1
	s_or_b64 exec, exec, s[80:81]
	s_and_saveexec_b64 s[80:81], s[22:23]
	s_cbranch_execnz .LBB101_91
.LBB101_59:                             ;   in Loop: Header=BB101_47 Depth=1
	s_or_b64 exec, exec, s[80:81]
	s_and_saveexec_b64 s[80:81], s[24:25]
	s_cbranch_execnz .LBB101_92
.LBB101_60:                             ;   in Loop: Header=BB101_47 Depth=1
	s_or_b64 exec, exec, s[80:81]
	s_and_saveexec_b64 s[80:81], s[26:27]
	s_cbranch_execnz .LBB101_93
.LBB101_61:                             ;   in Loop: Header=BB101_47 Depth=1
	s_or_b64 exec, exec, s[80:81]
	s_and_saveexec_b64 s[80:81], s[28:29]
	s_cbranch_execnz .LBB101_94
.LBB101_62:                             ;   in Loop: Header=BB101_47 Depth=1
	s_or_b64 exec, exec, s[80:81]
	s_and_saveexec_b64 s[80:81], s[30:31]
	s_cbranch_execnz .LBB101_95
.LBB101_63:                             ;   in Loop: Header=BB101_47 Depth=1
	s_or_b64 exec, exec, s[80:81]
	s_and_saveexec_b64 s[80:81], s[34:35]
	s_cbranch_execnz .LBB101_96
.LBB101_64:                             ;   in Loop: Header=BB101_47 Depth=1
	s_or_b64 exec, exec, s[80:81]
	s_and_saveexec_b64 s[80:81], s[36:37]
	s_cbranch_execnz .LBB101_97
.LBB101_65:                             ;   in Loop: Header=BB101_47 Depth=1
	s_or_b64 exec, exec, s[80:81]
	s_and_saveexec_b64 s[80:81], s[38:39]
	s_cbranch_execnz .LBB101_98
.LBB101_66:                             ;   in Loop: Header=BB101_47 Depth=1
	s_or_b64 exec, exec, s[80:81]
	s_and_saveexec_b64 s[80:81], s[40:41]
	s_cbranch_execnz .LBB101_99
.LBB101_67:                             ;   in Loop: Header=BB101_47 Depth=1
	s_or_b64 exec, exec, s[80:81]
	s_and_saveexec_b64 s[80:81], s[42:43]
	s_cbranch_execnz .LBB101_100
.LBB101_68:                             ;   in Loop: Header=BB101_47 Depth=1
	s_or_b64 exec, exec, s[80:81]
	s_and_saveexec_b64 s[80:81], s[44:45]
	s_cbranch_execnz .LBB101_101
.LBB101_69:                             ;   in Loop: Header=BB101_47 Depth=1
	s_or_b64 exec, exec, s[80:81]
	s_and_saveexec_b64 s[80:81], s[46:47]
	s_cbranch_execnz .LBB101_102
.LBB101_70:                             ;   in Loop: Header=BB101_47 Depth=1
	s_or_b64 exec, exec, s[80:81]
	s_and_saveexec_b64 s[80:81], s[48:49]
	s_cbranch_execnz .LBB101_103
.LBB101_71:                             ;   in Loop: Header=BB101_47 Depth=1
	s_or_b64 exec, exec, s[80:81]
	s_and_saveexec_b64 s[80:81], s[50:51]
	s_cbranch_execnz .LBB101_104
.LBB101_72:                             ;   in Loop: Header=BB101_47 Depth=1
	s_or_b64 exec, exec, s[80:81]
	s_and_saveexec_b64 s[80:81], s[52:53]
	s_cbranch_execnz .LBB101_105
.LBB101_73:                             ;   in Loop: Header=BB101_47 Depth=1
	s_or_b64 exec, exec, s[80:81]
	s_and_saveexec_b64 s[80:81], s[54:55]
	s_cbranch_execnz .LBB101_106
.LBB101_74:                             ;   in Loop: Header=BB101_47 Depth=1
	s_or_b64 exec, exec, s[80:81]
	s_and_saveexec_b64 s[80:81], s[56:57]
	s_cbranch_execnz .LBB101_107
.LBB101_75:                             ;   in Loop: Header=BB101_47 Depth=1
	s_or_b64 exec, exec, s[80:81]
	s_and_saveexec_b64 s[80:81], s[58:59]
	s_cbranch_execnz .LBB101_108
.LBB101_76:                             ;   in Loop: Header=BB101_47 Depth=1
	s_or_b64 exec, exec, s[80:81]
	s_and_saveexec_b64 s[80:81], s[60:61]
	s_cbranch_execnz .LBB101_109
.LBB101_77:                             ;   in Loop: Header=BB101_47 Depth=1
	s_or_b64 exec, exec, s[80:81]
	s_and_saveexec_b64 s[80:81], s[62:63]
	s_cbranch_execnz .LBB101_110
.LBB101_78:                             ;   in Loop: Header=BB101_47 Depth=1
	s_or_b64 exec, exec, s[80:81]
	v_ashrrev_i32_e32 v11, 31, v10
	s_and_saveexec_b64 s[80:81], s[64:65]
	s_cbranch_execnz .LBB101_111
.LBB101_79:                             ;   in Loop: Header=BB101_47 Depth=1
	s_or_b64 exec, exec, s[80:81]
	s_and_saveexec_b64 s[64:65], vcc
	s_cbranch_execz .LBB101_46
	s_branch .LBB101_112
.LBB101_80:                             ;   in Loop: Header=BB101_47 Depth=1
	ds_read_b32 v2, v3 offset:49152
	s_waitcnt lgkmcnt(0)
	v_add_u32_e32 v10, v2, v10
	s_or_b64 exec, exec, s[80:81]
	s_and_saveexec_b64 s[80:81], s[2:3]
	s_cbranch_execz .LBB101_49
.LBB101_81:                             ;   in Loop: Header=BB101_47 Depth=1
	ds_read_b32 v2, v3 offset:49160
	s_waitcnt lgkmcnt(0)
	v_add_u32_e32 v10, v10, v2
	s_or_b64 exec, exec, s[80:81]
	s_and_saveexec_b64 s[80:81], s[4:5]
	s_cbranch_execz .LBB101_50
.LBB101_82:                             ;   in Loop: Header=BB101_47 Depth=1
	ds_read_b32 v2, v3 offset:49168
	s_waitcnt lgkmcnt(0)
	v_add_u32_e32 v10, v10, v2
	s_or_b64 exec, exec, s[80:81]
	s_and_saveexec_b64 s[80:81], s[6:7]
	s_cbranch_execz .LBB101_51
.LBB101_83:                             ;   in Loop: Header=BB101_47 Depth=1
	ds_read_b32 v2, v3 offset:49176
	s_waitcnt lgkmcnt(0)
	v_add_u32_e32 v10, v10, v2
	s_or_b64 exec, exec, s[80:81]
	s_and_saveexec_b64 s[80:81], s[8:9]
	s_cbranch_execz .LBB101_52
.LBB101_84:                             ;   in Loop: Header=BB101_47 Depth=1
	ds_read_b32 v2, v3 offset:49184
	s_waitcnt lgkmcnt(0)
	v_add_u32_e32 v10, v10, v2
	s_or_b64 exec, exec, s[80:81]
	s_and_saveexec_b64 s[80:81], s[10:11]
	s_cbranch_execz .LBB101_53
.LBB101_85:                             ;   in Loop: Header=BB101_47 Depth=1
	ds_read_b32 v2, v3 offset:49192
	s_waitcnt lgkmcnt(0)
	v_add_u32_e32 v10, v10, v2
	s_or_b64 exec, exec, s[80:81]
	s_and_saveexec_b64 s[80:81], s[12:13]
	s_cbranch_execz .LBB101_54
.LBB101_86:                             ;   in Loop: Header=BB101_47 Depth=1
	ds_read_b32 v2, v3 offset:49200
	s_waitcnt lgkmcnt(0)
	v_add_u32_e32 v10, v10, v2
	s_or_b64 exec, exec, s[80:81]
	s_and_saveexec_b64 s[80:81], s[14:15]
	s_cbranch_execz .LBB101_55
.LBB101_87:                             ;   in Loop: Header=BB101_47 Depth=1
	ds_read_b32 v2, v3 offset:49208
	s_waitcnt lgkmcnt(0)
	v_add_u32_e32 v10, v10, v2
	s_or_b64 exec, exec, s[80:81]
	s_and_saveexec_b64 s[80:81], s[16:17]
	s_cbranch_execz .LBB101_56
.LBB101_88:                             ;   in Loop: Header=BB101_47 Depth=1
	ds_read_b32 v2, v3 offset:49216
	s_waitcnt lgkmcnt(0)
	v_add_u32_e32 v10, v10, v2
	s_or_b64 exec, exec, s[80:81]
	s_and_saveexec_b64 s[80:81], s[18:19]
	s_cbranch_execz .LBB101_57
.LBB101_89:                             ;   in Loop: Header=BB101_47 Depth=1
	ds_read_b32 v2, v3 offset:49224
	s_waitcnt lgkmcnt(0)
	v_add_u32_e32 v10, v10, v2
	s_or_b64 exec, exec, s[80:81]
	s_and_saveexec_b64 s[80:81], s[20:21]
	s_cbranch_execz .LBB101_58
.LBB101_90:                             ;   in Loop: Header=BB101_47 Depth=1
	ds_read_b32 v2, v3 offset:49232
	s_waitcnt lgkmcnt(0)
	v_add_u32_e32 v10, v10, v2
	s_or_b64 exec, exec, s[80:81]
	s_and_saveexec_b64 s[80:81], s[22:23]
	s_cbranch_execz .LBB101_59
.LBB101_91:                             ;   in Loop: Header=BB101_47 Depth=1
	ds_read_b32 v2, v3 offset:49240
	s_waitcnt lgkmcnt(0)
	v_add_u32_e32 v10, v10, v2
	s_or_b64 exec, exec, s[80:81]
	s_and_saveexec_b64 s[80:81], s[24:25]
	s_cbranch_execz .LBB101_60
.LBB101_92:                             ;   in Loop: Header=BB101_47 Depth=1
	ds_read_b32 v2, v3 offset:49248
	s_waitcnt lgkmcnt(0)
	v_add_u32_e32 v10, v10, v2
	s_or_b64 exec, exec, s[80:81]
	s_and_saveexec_b64 s[80:81], s[26:27]
	s_cbranch_execz .LBB101_61
.LBB101_93:                             ;   in Loop: Header=BB101_47 Depth=1
	ds_read_b32 v2, v3 offset:49256
	s_waitcnt lgkmcnt(0)
	v_add_u32_e32 v10, v10, v2
	s_or_b64 exec, exec, s[80:81]
	s_and_saveexec_b64 s[80:81], s[28:29]
	s_cbranch_execz .LBB101_62
.LBB101_94:                             ;   in Loop: Header=BB101_47 Depth=1
	ds_read_b32 v2, v3 offset:49264
	s_waitcnt lgkmcnt(0)
	v_add_u32_e32 v10, v10, v2
	s_or_b64 exec, exec, s[80:81]
	s_and_saveexec_b64 s[80:81], s[30:31]
	s_cbranch_execz .LBB101_63
.LBB101_95:                             ;   in Loop: Header=BB101_47 Depth=1
	ds_read_b32 v2, v3 offset:49272
	s_waitcnt lgkmcnt(0)
	v_add_u32_e32 v10, v10, v2
	s_or_b64 exec, exec, s[80:81]
	s_and_saveexec_b64 s[80:81], s[34:35]
	s_cbranch_execz .LBB101_64
.LBB101_96:                             ;   in Loop: Header=BB101_47 Depth=1
	ds_read_b32 v2, v3 offset:49280
	s_waitcnt lgkmcnt(0)
	v_add_u32_e32 v10, v10, v2
	s_or_b64 exec, exec, s[80:81]
	s_and_saveexec_b64 s[80:81], s[36:37]
	s_cbranch_execz .LBB101_65
.LBB101_97:                             ;   in Loop: Header=BB101_47 Depth=1
	ds_read_b32 v2, v3 offset:49288
	s_waitcnt lgkmcnt(0)
	v_add_u32_e32 v10, v10, v2
	s_or_b64 exec, exec, s[80:81]
	s_and_saveexec_b64 s[80:81], s[38:39]
	s_cbranch_execz .LBB101_66
.LBB101_98:                             ;   in Loop: Header=BB101_47 Depth=1
	ds_read_b32 v2, v3 offset:49296
	s_waitcnt lgkmcnt(0)
	v_add_u32_e32 v10, v10, v2
	s_or_b64 exec, exec, s[80:81]
	s_and_saveexec_b64 s[80:81], s[40:41]
	s_cbranch_execz .LBB101_67
.LBB101_99:                             ;   in Loop: Header=BB101_47 Depth=1
	ds_read_b32 v2, v3 offset:49304
	s_waitcnt lgkmcnt(0)
	v_add_u32_e32 v10, v10, v2
	s_or_b64 exec, exec, s[80:81]
	s_and_saveexec_b64 s[80:81], s[42:43]
	s_cbranch_execz .LBB101_68
.LBB101_100:                            ;   in Loop: Header=BB101_47 Depth=1
	ds_read_b32 v2, v3 offset:49312
	s_waitcnt lgkmcnt(0)
	v_add_u32_e32 v10, v10, v2
	s_or_b64 exec, exec, s[80:81]
	s_and_saveexec_b64 s[80:81], s[44:45]
	s_cbranch_execz .LBB101_69
.LBB101_101:                            ;   in Loop: Header=BB101_47 Depth=1
	ds_read_b32 v2, v3 offset:49320
	s_waitcnt lgkmcnt(0)
	v_add_u32_e32 v10, v10, v2
	s_or_b64 exec, exec, s[80:81]
	s_and_saveexec_b64 s[80:81], s[46:47]
	s_cbranch_execz .LBB101_70
.LBB101_102:                            ;   in Loop: Header=BB101_47 Depth=1
	ds_read_b32 v2, v3 offset:49328
	s_waitcnt lgkmcnt(0)
	v_add_u32_e32 v10, v10, v2
	s_or_b64 exec, exec, s[80:81]
	s_and_saveexec_b64 s[80:81], s[48:49]
	s_cbranch_execz .LBB101_71
.LBB101_103:                            ;   in Loop: Header=BB101_47 Depth=1
	ds_read_b32 v2, v3 offset:49336
	s_waitcnt lgkmcnt(0)
	v_add_u32_e32 v10, v10, v2
	s_or_b64 exec, exec, s[80:81]
	s_and_saveexec_b64 s[80:81], s[50:51]
	s_cbranch_execz .LBB101_72
.LBB101_104:                            ;   in Loop: Header=BB101_47 Depth=1
	ds_read_b32 v2, v3 offset:49344
	s_waitcnt lgkmcnt(0)
	v_add_u32_e32 v10, v10, v2
	s_or_b64 exec, exec, s[80:81]
	s_and_saveexec_b64 s[80:81], s[52:53]
	s_cbranch_execz .LBB101_73
.LBB101_105:                            ;   in Loop: Header=BB101_47 Depth=1
	ds_read_b32 v2, v3 offset:49352
	s_waitcnt lgkmcnt(0)
	v_add_u32_e32 v10, v10, v2
	s_or_b64 exec, exec, s[80:81]
	s_and_saveexec_b64 s[80:81], s[54:55]
	s_cbranch_execz .LBB101_74
.LBB101_106:                            ;   in Loop: Header=BB101_47 Depth=1
	ds_read_b32 v2, v3 offset:49360
	s_waitcnt lgkmcnt(0)
	v_add_u32_e32 v10, v10, v2
	s_or_b64 exec, exec, s[80:81]
	s_and_saveexec_b64 s[80:81], s[56:57]
	s_cbranch_execz .LBB101_75
.LBB101_107:                            ;   in Loop: Header=BB101_47 Depth=1
	ds_read_b32 v2, v3 offset:49368
	s_waitcnt lgkmcnt(0)
	v_add_u32_e32 v10, v10, v2
	s_or_b64 exec, exec, s[80:81]
	s_and_saveexec_b64 s[80:81], s[58:59]
	s_cbranch_execz .LBB101_76
.LBB101_108:                            ;   in Loop: Header=BB101_47 Depth=1
	ds_read_b32 v2, v3 offset:49376
	s_waitcnt lgkmcnt(0)
	v_add_u32_e32 v10, v10, v2
	s_or_b64 exec, exec, s[80:81]
	s_and_saveexec_b64 s[80:81], s[60:61]
	s_cbranch_execz .LBB101_77
.LBB101_109:                            ;   in Loop: Header=BB101_47 Depth=1
	ds_read_b32 v2, v3 offset:49384
	s_waitcnt lgkmcnt(0)
	v_add_u32_e32 v10, v10, v2
	s_or_b64 exec, exec, s[80:81]
	s_and_saveexec_b64 s[80:81], s[62:63]
	s_cbranch_execz .LBB101_78
.LBB101_110:                            ;   in Loop: Header=BB101_47 Depth=1
	ds_read_b32 v2, v3 offset:49392
	s_waitcnt lgkmcnt(0)
	v_add_u32_e32 v10, v10, v2
	s_or_b64 exec, exec, s[80:81]
	v_ashrrev_i32_e32 v11, 31, v10
	s_and_saveexec_b64 s[80:81], s[64:65]
	s_cbranch_execz .LBB101_79
.LBB101_111:                            ;   in Loop: Header=BB101_47 Depth=1
	v_add3_u32 v2, v6, -1, v10
	v_lshl_add_u32 v16, v2, 3, 0
	v_lshl_add_u32 v2, v2, 2, 0
	ds_write_b64 v16, v[8:9]
	ds_write_b32 v2, v13 offset:32768
	s_or_b64 exec, exec, s[80:81]
	s_and_saveexec_b64 s[64:65], vcc
	s_cbranch_execz .LBB101_46
.LBB101_112:                            ;   in Loop: Header=BB101_47 Depth=1
	ds_write_b64 v3, v[10:11] offset:49400
	s_branch .LBB101_46
.LBB101_113:
	s_or_b64 exec, exec, s[68:69]
	s_lshl_b64 s[0:1], s[78:79], 3
	s_add_u32 s0, s66, s0
	s_addc_u32 s1, s67, s1
	s_load_dwordx4 s[0:3], s[0:1], 0x0
	v_mov_b32_e32 v1, 0
	s_waitcnt lgkmcnt(0)
	s_sub_u32 s4, s2, s0
	s_subb_u32 s5, s3, s1
	v_cmp_gt_i64_e32 vcc, s[4:5], v[0:1]
	s_and_saveexec_b64 s[6:7], vcc
	s_cbranch_execz .LBB101_123
; %bb.114:
	s_sub_u32 s6, s0, s70
	s_subb_u32 s7, s1, 0
	s_and_b32 s8, s4, 7
	s_sub_u32 s0, s0, s2
	s_mov_b32 s16, 0
	s_subb_u32 s1, s1, s3
	s_mov_b32 s9, s16
	s_and_b32 s2, s4, -8
	v_cmp_lt_u64_e64 s[0:1], s[0:1], -7
	s_cmp_lg_u64 s[8:9], 0
	v_cndmask_b32_e64 v2, 0, 1, s[0:1]
	s_mov_b32 s3, s5
	s_mov_b64 s[10:11], 0
	s_cselect_b64 s[12:13], -1, 0
	v_cmp_ne_u32_e64 s[0:1], 1, v2
	s_branch .LBB101_116
.LBB101_115:                            ;   in Loop: Header=BB101_116 Depth=1
	v_mov_b32_e32 v7, s16
	s_waitcnt lgkmcnt(1)
	v_add_co_u32_e32 v2, vcc, s70, v2
	v_addc_co_u32_e32 v3, vcc, v3, v7, vcc
	v_lshlrev_b64 v[8:9], 3, v[4:5]
	v_mov_b32_e32 v7, s73
	v_add_co_u32_e32 v8, vcc, s72, v8
	v_addc_co_u32_e32 v9, vcc, v7, v9, vcc
	global_store_dwordx2 v[8:9], v[2:3], off
	v_lshlrev_b64 v[2:3], 2, v[4:5]
	v_mov_b32_e32 v4, s75
	v_add_co_u32_e32 v2, vcc, s74, v2
	v_addc_co_u32_e32 v3, vcc, v4, v3, vcc
	v_add_co_u32_e32 v0, vcc, 0x400, v0
	v_addc_co_u32_e32 v1, vcc, 0, v1, vcc
	v_cmp_le_i64_e32 vcc, s[4:5], v[0:1]
	s_or_b64 s[10:11], vcc, s[10:11]
	s_waitcnt lgkmcnt(0)
	global_store_dword v[2:3], v6, off
	s_andn2_b64 exec, exec, s[10:11]
	s_cbranch_execz .LBB101_123
.LBB101_116:                            ; =>This Loop Header: Depth=1
                                        ;     Child Loop BB101_118 Depth 2
                                        ;     Child Loop BB101_122 Depth 2
	v_lshl_add_u32 v2, v0, 3, 0
	v_lshlrev_b32_e32 v3, 2, v0
	v_sub_u32_e32 v4, v2, v3
	ds_read_b64 v[2:3], v2
	ds_read_b32 v6, v4 offset:32768
	s_and_b64 vcc, exec, s[0:1]
	v_pk_mov_b32 v[4:5], s[6:7], s[6:7] op_sel:[0,1]
	s_mov_b64 s[14:15], 0
	s_cbranch_vccnz .LBB101_120
; %bb.117:                              ;   in Loop: Header=BB101_116 Depth=1
	s_mov_b32 s17, 0
	v_pk_mov_b32 v[4:5], s[6:7], s[6:7] op_sel:[0,1]
.LBB101_118:                            ;   Parent Loop BB101_116 Depth=1
                                        ; =>  This Inner Loop Header: Depth=2
	v_mov_b32_e32 v7, s17
	ds_read2_b64 v[8:11], v7 offset1:1
	ds_read2_b64 v[12:15], v7 offset0:2 offset1:3
	ds_read2_b64 v[16:19], v7 offset0:4 offset1:5
	;; [unrolled: 1-line block ×3, first 2 shown]
	s_add_u32 s14, s14, 8
	s_waitcnt lgkmcnt(3)
	v_cmp_gt_i64_e32 vcc, v[2:3], v[8:9]
	v_cndmask_b32_e64 v7, 0, 1, vcc
	v_cmp_gt_i64_e32 vcc, v[2:3], v[10:11]
	v_cndmask_b32_e64 v8, 0, 1, vcc
	s_waitcnt lgkmcnt(2)
	v_cmp_gt_i64_e32 vcc, v[2:3], v[12:13]
	v_cndmask_b32_e64 v9, 0, 1, vcc
	v_cmp_gt_i64_e32 vcc, v[2:3], v[14:15]
	v_cndmask_b32_e64 v10, 0, 1, vcc
	s_waitcnt lgkmcnt(1)
	v_cmp_gt_i64_e32 vcc, v[2:3], v[16:17]
	v_cndmask_b32_e64 v11, 0, 1, vcc
	v_cmp_gt_i64_e32 vcc, v[2:3], v[18:19]
	v_cndmask_b32_e64 v12, 0, 1, vcc
	s_waitcnt lgkmcnt(0)
	v_cmp_gt_i64_e32 vcc, v[2:3], v[20:21]
	v_cndmask_b32_e64 v13, 0, 1, vcc
	v_cmp_gt_i64_e32 vcc, v[2:3], v[22:23]
	v_cndmask_b32_e64 v14, 0, 1, vcc
	v_add_co_u32_e32 v4, vcc, v4, v7
	v_addc_co_u32_e32 v5, vcc, 0, v5, vcc
	v_add_co_u32_e32 v4, vcc, v4, v8
	v_addc_co_u32_e32 v5, vcc, 0, v5, vcc
	;; [unrolled: 2-line block ×7, first 2 shown]
	s_addc_u32 s15, s15, 0
	s_add_i32 s17, s17, 64
	v_add_co_u32_e32 v4, vcc, v4, v14
	s_cmp_eq_u64 s[2:3], s[14:15]
	v_addc_co_u32_e32 v5, vcc, 0, v5, vcc
	s_cbranch_scc0 .LBB101_118
; %bb.119:                              ;   in Loop: Header=BB101_116 Depth=1
	s_mov_b64 s[14:15], s[2:3]
.LBB101_120:                            ;   in Loop: Header=BB101_116 Depth=1
	s_andn2_b64 vcc, exec, s[12:13]
	s_cbranch_vccnz .LBB101_115
; %bb.121:                              ;   in Loop: Header=BB101_116 Depth=1
	s_lshl_b32 s14, s14, 3
	s_add_i32 s17, s14, 0
	s_mov_b64 s[14:15], s[8:9]
.LBB101_122:                            ;   Parent Loop BB101_116 Depth=1
                                        ; =>  This Inner Loop Header: Depth=2
	v_mov_b32_e32 v7, s17
	ds_read_b64 v[8:9], v7
	s_add_i32 s17, s17, 8
	s_add_u32 s14, s14, -1
	s_addc_u32 s15, s15, -1
	s_cmp_lg_u64 s[14:15], 0
	s_waitcnt lgkmcnt(0)
	v_cmp_gt_i64_e32 vcc, v[2:3], v[8:9]
	v_cndmask_b32_e64 v7, 0, 1, vcc
	v_add_co_u32_e32 v4, vcc, v4, v7
	v_addc_co_u32_e32 v5, vcc, 0, v5, vcc
	s_cbranch_scc1 .LBB101_122
	s_branch .LBB101_115
.LBB101_123:
	s_endpgm
	.section	.rodata,"a",@progbits
	.p2align	6, 0x0
	.amdhsa_kernel _ZN9rocsparseL26csrgemm_fill_block_per_rowILj1024ELj64ELj4096ELj137ELj32EllfEEvT5_PKS1_S3_NS_24const_host_device_scalarIT6_EEPKT4_S3_PKS5_S9_S3_SB_S6_S9_S3_SB_S9_PS1_PS5_21rocsparse_index_base_SE_SE_SE_bbb
		.amdhsa_group_segment_fixed_size 0
		.amdhsa_private_segment_fixed_size 0
		.amdhsa_kernarg_size 156
		.amdhsa_user_sgpr_count 6
		.amdhsa_user_sgpr_private_segment_buffer 1
		.amdhsa_user_sgpr_dispatch_ptr 0
		.amdhsa_user_sgpr_queue_ptr 0
		.amdhsa_user_sgpr_kernarg_segment_ptr 1
		.amdhsa_user_sgpr_dispatch_id 0
		.amdhsa_user_sgpr_flat_scratch_init 0
		.amdhsa_user_sgpr_kernarg_preload_length 0
		.amdhsa_user_sgpr_kernarg_preload_offset 0
		.amdhsa_user_sgpr_private_segment_size 0
		.amdhsa_uses_dynamic_stack 0
		.amdhsa_system_sgpr_private_segment_wavefront_offset 0
		.amdhsa_system_sgpr_workgroup_id_x 1
		.amdhsa_system_sgpr_workgroup_id_y 0
		.amdhsa_system_sgpr_workgroup_id_z 0
		.amdhsa_system_sgpr_workgroup_info 0
		.amdhsa_system_vgpr_workitem_id 0
		.amdhsa_next_free_vgpr 26
		.amdhsa_next_free_sgpr 82
		.amdhsa_accum_offset 28
		.amdhsa_reserve_vcc 1
		.amdhsa_reserve_flat_scratch 0
		.amdhsa_float_round_mode_32 0
		.amdhsa_float_round_mode_16_64 0
		.amdhsa_float_denorm_mode_32 3
		.amdhsa_float_denorm_mode_16_64 3
		.amdhsa_dx10_clamp 1
		.amdhsa_ieee_mode 1
		.amdhsa_fp16_overflow 0
		.amdhsa_tg_split 0
		.amdhsa_exception_fp_ieee_invalid_op 0
		.amdhsa_exception_fp_denorm_src 0
		.amdhsa_exception_fp_ieee_div_zero 0
		.amdhsa_exception_fp_ieee_overflow 0
		.amdhsa_exception_fp_ieee_underflow 0
		.amdhsa_exception_fp_ieee_inexact 0
		.amdhsa_exception_int_div_zero 0
	.end_amdhsa_kernel
	.section	.text._ZN9rocsparseL26csrgemm_fill_block_per_rowILj1024ELj64ELj4096ELj137ELj32EllfEEvT5_PKS1_S3_NS_24const_host_device_scalarIT6_EEPKT4_S3_PKS5_S9_S3_SB_S6_S9_S3_SB_S9_PS1_PS5_21rocsparse_index_base_SE_SE_SE_bbb,"axG",@progbits,_ZN9rocsparseL26csrgemm_fill_block_per_rowILj1024ELj64ELj4096ELj137ELj32EllfEEvT5_PKS1_S3_NS_24const_host_device_scalarIT6_EEPKT4_S3_PKS5_S9_S3_SB_S6_S9_S3_SB_S9_PS1_PS5_21rocsparse_index_base_SE_SE_SE_bbb,comdat
.Lfunc_end101:
	.size	_ZN9rocsparseL26csrgemm_fill_block_per_rowILj1024ELj64ELj4096ELj137ELj32EllfEEvT5_PKS1_S3_NS_24const_host_device_scalarIT6_EEPKT4_S3_PKS5_S9_S3_SB_S6_S9_S3_SB_S9_PS1_PS5_21rocsparse_index_base_SE_SE_SE_bbb, .Lfunc_end101-_ZN9rocsparseL26csrgemm_fill_block_per_rowILj1024ELj64ELj4096ELj137ELj32EllfEEvT5_PKS1_S3_NS_24const_host_device_scalarIT6_EEPKT4_S3_PKS5_S9_S3_SB_S6_S9_S3_SB_S9_PS1_PS5_21rocsparse_index_base_SE_SE_SE_bbb
                                        ; -- End function
	.section	.AMDGPU.csdata,"",@progbits
; Kernel info:
; codeLenInByte = 4044
; NumSgprs: 86
; NumVgprs: 26
; NumAgprs: 0
; TotalNumVgprs: 26
; ScratchSize: 0
; MemoryBound: 0
; FloatMode: 240
; IeeeMode: 1
; LDSByteSize: 0 bytes/workgroup (compile time only)
; SGPRBlocks: 10
; VGPRBlocks: 3
; NumSGPRsForWavesPerEU: 86
; NumVGPRsForWavesPerEU: 26
; AccumOffset: 28
; Occupancy: 8
; WaveLimiterHint : 1
; COMPUTE_PGM_RSRC2:SCRATCH_EN: 0
; COMPUTE_PGM_RSRC2:USER_SGPR: 6
; COMPUTE_PGM_RSRC2:TRAP_HANDLER: 0
; COMPUTE_PGM_RSRC2:TGID_X_EN: 1
; COMPUTE_PGM_RSRC2:TGID_Y_EN: 0
; COMPUTE_PGM_RSRC2:TGID_Z_EN: 0
; COMPUTE_PGM_RSRC2:TIDIG_COMP_CNT: 0
; COMPUTE_PGM_RSRC3_GFX90A:ACCUM_OFFSET: 6
; COMPUTE_PGM_RSRC3_GFX90A:TG_SPLIT: 0
	.section	.text._ZN9rocsparseL26csrgemm_fill_block_per_rowILj1024ELj64ELj4096ELj137ELj64EllfEEvT5_PKS1_S3_NS_24const_host_device_scalarIT6_EEPKT4_S3_PKS5_S9_S3_SB_S6_S9_S3_SB_S9_PS1_PS5_21rocsparse_index_base_SE_SE_SE_bbb,"axG",@progbits,_ZN9rocsparseL26csrgemm_fill_block_per_rowILj1024ELj64ELj4096ELj137ELj64EllfEEvT5_PKS1_S3_NS_24const_host_device_scalarIT6_EEPKT4_S3_PKS5_S9_S3_SB_S6_S9_S3_SB_S9_PS1_PS5_21rocsparse_index_base_SE_SE_SE_bbb,comdat
	.globl	_ZN9rocsparseL26csrgemm_fill_block_per_rowILj1024ELj64ELj4096ELj137ELj64EllfEEvT5_PKS1_S3_NS_24const_host_device_scalarIT6_EEPKT4_S3_PKS5_S9_S3_SB_S6_S9_S3_SB_S9_PS1_PS5_21rocsparse_index_base_SE_SE_SE_bbb ; -- Begin function _ZN9rocsparseL26csrgemm_fill_block_per_rowILj1024ELj64ELj4096ELj137ELj64EllfEEvT5_PKS1_S3_NS_24const_host_device_scalarIT6_EEPKT4_S3_PKS5_S9_S3_SB_S6_S9_S3_SB_S9_PS1_PS5_21rocsparse_index_base_SE_SE_SE_bbb
	.p2align	8
	.type	_ZN9rocsparseL26csrgemm_fill_block_per_rowILj1024ELj64ELj4096ELj137ELj64EllfEEvT5_PKS1_S3_NS_24const_host_device_scalarIT6_EEPKT4_S3_PKS5_S9_S3_SB_S6_S9_S3_SB_S9_PS1_PS5_21rocsparse_index_base_SE_SE_SE_bbb,@function
_ZN9rocsparseL26csrgemm_fill_block_per_rowILj1024ELj64ELj4096ELj137ELj64EllfEEvT5_PKS1_S3_NS_24const_host_device_scalarIT6_EEPKT4_S3_PKS5_S9_S3_SB_S6_S9_S3_SB_S9_PS1_PS5_21rocsparse_index_base_SE_SE_SE_bbb: ; @_ZN9rocsparseL26csrgemm_fill_block_per_rowILj1024ELj64ELj4096ELj137ELj64EllfEEvT5_PKS1_S3_NS_24const_host_device_scalarIT6_EEPKT4_S3_PKS5_S9_S3_SB_S6_S9_S3_SB_S9_PS1_PS5_21rocsparse_index_base_SE_SE_SE_bbb
; %bb.0:
	s_load_dword s7, s[4:5], 0x98
	s_load_dwordx4 s[44:47], s[4:5], 0x88
	s_load_dwordx2 s[0:1], s[4:5], 0x18
	s_load_dwordx2 s[24:25], s[4:5], 0x50
	s_waitcnt lgkmcnt(0)
	s_bitcmp1_b32 s7, 0
	s_cselect_b64 s[2:3], -1, 0
	s_bitcmp1_b32 s7, 16
	s_cselect_b64 s[26:27], -1, 0
	s_xor_b64 s[8:9], s[2:3], -1
	s_or_b64 s[8:9], s[8:9], s[26:27]
	s_and_b64 vcc, exec, s[8:9]
	s_cbranch_vccnz .LBB102_2
; %bb.1:
	s_load_dword s0, s[0:1], 0x0
	s_waitcnt lgkmcnt(0)
	v_mov_b32_e32 v17, s0
	s_branch .LBB102_3
.LBB102_2:
	v_mov_b32_e32 v1, s0
	v_cndmask_b32_e64 v17, 0, v1, s[2:3]
.LBB102_3:
	s_load_dwordx4 s[48:51], s[4:5], 0x78
	s_load_dwordx8 s[36:43], s[4:5], 0x58
	s_load_dwordx4 s[16:19], s[4:5], 0x40
	s_load_dwordx4 s[20:23], s[4:5], 0x8
	s_load_dwordx8 s[8:15], s[4:5], 0x20
	s_bitcmp1_b32 s7, 8
	s_cselect_b64 s[0:1], -1, 0
	s_xor_b64 s[28:29], s[0:1], -1
	s_or_b64 s[26:27], s[28:29], s[26:27]
	s_and_b64 vcc, exec, s[26:27]
	s_cbranch_vccnz .LBB102_5
; %bb.4:
	s_load_dword s7, s[24:25], 0x0
	s_waitcnt lgkmcnt(0)
	v_mov_b32_e32 v11, s7
	s_branch .LBB102_6
.LBB102_5:
	v_mov_b32_e32 v1, s24
	v_cndmask_b32_e64 v11, 0, v1, s[0:1]
.LBB102_6:
	s_load_dwordx2 s[34:35], s[4:5], 0x0
	v_lshl_add_u32 v1, v0, 2, 0
	v_add_u32_e32 v1, 0x8000, v1
	v_or_b32_e32 v14, 0xfffffc00, v0
	v_lshl_add_u32 v15, v0, 3, 0
	s_mov_b64 s[4:5], 0
	s_waitcnt lgkmcnt(0)
	v_pk_mov_b32 v[2:3], s[34:35], s[34:35] op_sel:[0,1]
	v_mov_b32_e32 v4, 0
	s_movk_i32 s7, 0xbff
	v_mov_b32_e32 v5, v15
	v_mov_b32_e32 v6, v14
	;; [unrolled: 1-line block ×3, first 2 shown]
.LBB102_7:                              ; =>This Inner Loop Header: Depth=1
	v_add_u32_e32 v6, 0x400, v6
	v_cmp_lt_u32_e32 vcc, s7, v6
	ds_write_b64 v5, v[2:3]
	ds_write_b32 v7, v4
	v_add_u32_e32 v7, 0x1000, v7
	s_or_b64 s[4:5], vcc, s[4:5]
	v_add_u32_e32 v5, 0x2000, v5
	s_andn2_b64 exec, exec, s[4:5]
	s_cbranch_execnz .LBB102_7
; %bb.8:
	s_or_b64 exec, exec, s[4:5]
	s_waitcnt lgkmcnt(0)
	s_barrier
	s_load_dwordx2 s[4:5], s[20:21], 0x0
	s_mov_b32 s7, 0
	v_lshrrev_b32_e32 v16, 6, v0
	s_waitcnt lgkmcnt(0)
	s_lshl_b64 s[4:5], s[4:5], 3
	s_add_u32 s20, s22, s4
	s_addc_u32 s21, s23, s5
	s_lshl_b64 s[4:5], s[6:7], 3
	s_add_u32 s4, s20, s4
	s_addc_u32 s5, s21, s5
	s_load_dwordx2 s[52:53], s[4:5], 0x0
	s_and_b64 vcc, exec, s[2:3]
	s_cbranch_vccz .LBB102_28
; %bb.9:
	s_waitcnt lgkmcnt(0)
	s_lshl_b64 s[2:3], s[52:53], 3
	s_add_u32 s2, s8, s2
	s_addc_u32 s3, s9, s3
	s_load_dwordx4 s[20:23], s[2:3], 0x0
	v_subrev_co_u32_e32 v2, vcc, s44, v16
	v_subb_co_u32_e64 v3, s[4:5], 0, 0, vcc
	s_waitcnt lgkmcnt(0)
	s_sub_u32 s2, s22, s44
	v_mov_b32_e32 v4, s21
	v_add_co_u32_e32 v2, vcc, s20, v2
	s_subb_u32 s3, s23, 0
	v_addc_co_u32_e32 v3, vcc, v4, v3, vcc
	v_cmp_gt_i64_e32 vcc, s[2:3], v[2:3]
	s_and_saveexec_b64 s[4:5], vcc
	s_cbranch_execz .LBB102_27
; %bb.10:
	v_and_b32_e32 v4, 63, v0
	v_subrev_co_u32_e32 v18, vcc, s45, v4
	s_mov_b32 s6, 0
	v_subb_co_u32_e64 v19, s[8:9], 0, 0, vcc
	s_mov_b32 s33, s44
	s_mov_b32 s54, s45
	s_mov_b64 s[8:9], 0
	v_mov_b32_e32 v20, s11
	v_mov_b32_e32 v21, s7
	;; [unrolled: 1-line block ×4, first 2 shown]
	s_movk_i32 s11, 0x89
	s_branch .LBB102_12
.LBB102_11:                             ;   in Loop: Header=BB102_12 Depth=1
	s_or_b64 exec, exec, s[6:7]
	v_add_co_u32_e32 v2, vcc, 16, v2
	v_addc_co_u32_e32 v3, vcc, 0, v3, vcc
	v_cmp_le_i64_e32 vcc, s[2:3], v[2:3]
	s_or_b64 s[8:9], vcc, s[8:9]
	s_andn2_b64 exec, exec, s[8:9]
	s_cbranch_execz .LBB102_27
.LBB102_12:                             ; =>This Loop Header: Depth=1
                                        ;     Child Loop BB102_15 Depth 2
                                        ;       Child Loop BB102_17 Depth 3
	v_lshlrev_b64 v[4:5], 3, v[2:3]
	v_add_co_u32_e32 v4, vcc, s10, v4
	v_addc_co_u32_e32 v5, vcc, v20, v5, vcc
	global_load_dwordx2 v[4:5], v[4:5], off
	s_waitcnt vmcnt(0)
	v_subrev_co_u32_e32 v4, vcc, s33, v4
	v_subb_co_u32_e32 v5, vcc, v5, v21, vcc
	v_lshlrev_b64 v[4:5], 3, v[4:5]
	v_add_co_u32_e32 v4, vcc, s14, v4
	v_addc_co_u32_e32 v5, vcc, v22, v5, vcc
	global_load_dwordx4 v[6:9], v[4:5], off
	s_waitcnt vmcnt(0)
	v_subrev_co_u32_e32 v4, vcc, s54, v8
	v_subb_co_u32_e32 v5, vcc, v9, v23, vcc
	v_add_co_u32_e32 v6, vcc, v6, v18
	v_addc_co_u32_e32 v7, vcc, v7, v19, vcc
	v_cmp_lt_i64_e32 vcc, v[6:7], v[4:5]
	s_and_saveexec_b64 s[6:7], vcc
	s_cbranch_execz .LBB102_11
; %bb.13:                               ;   in Loop: Header=BB102_12 Depth=1
	v_lshlrev_b64 v[8:9], 2, v[2:3]
	v_mov_b32_e32 v10, s13
	v_add_co_u32_e32 v8, vcc, s12, v8
	v_addc_co_u32_e32 v9, vcc, v10, v9, vcc
	global_load_dword v8, v[8:9], off
	s_mov_b64 s[20:21], 0
	s_waitcnt vmcnt(0)
	v_mul_f32_e32 v24, v17, v8
	s_branch .LBB102_15
.LBB102_14:                             ;   in Loop: Header=BB102_15 Depth=2
	s_or_b64 exec, exec, s[22:23]
	v_add_co_u32_e32 v6, vcc, 64, v6
	v_addc_co_u32_e32 v7, vcc, 0, v7, vcc
	v_cmp_ge_i64_e32 vcc, v[6:7], v[4:5]
	s_or_b64 s[20:21], vcc, s[20:21]
	s_andn2_b64 exec, exec, s[20:21]
	s_cbranch_execz .LBB102_11
.LBB102_15:                             ;   Parent Loop BB102_12 Depth=1
                                        ; =>  This Loop Header: Depth=2
                                        ;       Child Loop BB102_17 Depth 3
	v_lshlrev_b64 v[8:9], 3, v[6:7]
	v_mov_b32_e32 v10, s17
	v_add_co_u32_e32 v8, vcc, s16, v8
	v_addc_co_u32_e32 v9, vcc, v10, v9, vcc
	v_lshlrev_b64 v[12:13], 2, v[6:7]
	v_mov_b32_e32 v10, s19
	v_add_co_u32_e32 v12, vcc, s18, v12
	global_load_dwordx2 v[8:9], v[8:9], off
	v_addc_co_u32_e32 v13, vcc, v10, v13, vcc
	global_load_dword v10, v[12:13], off
	s_mov_b64 s[22:23], 0
	s_waitcnt vmcnt(1)
	v_subrev_co_u32_e32 v8, vcc, s54, v8
	v_subb_co_u32_e32 v9, vcc, v9, v23, vcc
	s_waitcnt vmcnt(0)
	v_mul_f32_e32 v25, v24, v10
	v_mul_lo_u32 v10, v8, s11
	v_and_b32_e32 v10, 0xfff, v10
	s_branch .LBB102_17
.LBB102_16:                             ;   in Loop: Header=BB102_17 Depth=3
	s_or_b64 exec, exec, s[24:25]
	s_xor_b64 s[24:25], s[26:27], -1
	s_and_b64 s[24:25], exec, s[24:25]
	s_or_b64 s[22:23], s[24:25], s[22:23]
	s_andn2_b64 exec, exec, s[22:23]
	s_cbranch_execz .LBB102_14
.LBB102_17:                             ;   Parent Loop BB102_12 Depth=1
                                        ;     Parent Loop BB102_15 Depth=2
                                        ; =>    This Inner Loop Header: Depth=3
	v_lshl_add_u32 v26, v10, 3, 0
	ds_read_b64 v[12:13], v26
                                        ; implicit-def: $sgpr26_sgpr27
	s_waitcnt lgkmcnt(0)
	v_cmp_ne_u64_e32 vcc, v[12:13], v[8:9]
	s_and_saveexec_b64 s[24:25], vcc
	s_xor_b64 s[24:25], exec, s[24:25]
	s_cbranch_execz .LBB102_25
; %bb.18:                               ;   in Loop: Header=BB102_17 Depth=3
	v_cmp_ne_u64_e32 vcc, s[34:35], v[12:13]
                                        ; implicit-def: $sgpr26_sgpr27
	s_and_saveexec_b64 s[28:29], vcc
	s_xor_b64 s[28:29], exec, s[28:29]
; %bb.19:                               ;   in Loop: Header=BB102_17 Depth=3
	v_add_u32_e32 v10, 1, v10
	v_and_b32_e32 v10, 0xfff, v10
	s_mov_b64 s[26:27], -1
                                        ; implicit-def: $vgpr26
; %bb.20:                               ;   in Loop: Header=BB102_17 Depth=3
	s_andn2_saveexec_b64 s[28:29], s[28:29]
	s_cbranch_execz .LBB102_24
; %bb.21:                               ;   in Loop: Header=BB102_17 Depth=3
	v_pk_mov_b32 v[12:13], s[34:35], s[34:35] op_sel:[0,1]
	ds_cmpst_rtn_b64 v[12:13], v26, v[12:13], v[8:9]
	s_mov_b64 s[30:31], -1
	s_waitcnt lgkmcnt(0)
	v_cmp_eq_u64_e32 vcc, s[34:35], v[12:13]
	s_and_saveexec_b64 s[44:45], vcc
	s_cbranch_execz .LBB102_23
; %bb.22:                               ;   in Loop: Header=BB102_17 Depth=3
	v_lshlrev_b32_e32 v12, 2, v10
	v_sub_u32_e32 v12, v26, v12
	ds_add_f32 v12, v25 offset:32768
	s_xor_b64 s[30:31], exec, -1
.LBB102_23:                             ;   in Loop: Header=BB102_17 Depth=3
	s_or_b64 exec, exec, s[44:45]
	s_andn2_b64 s[26:27], s[26:27], exec
	s_and_b64 s[30:31], s[30:31], exec
	s_or_b64 s[26:27], s[26:27], s[30:31]
.LBB102_24:                             ;   in Loop: Header=BB102_17 Depth=3
	s_or_b64 exec, exec, s[28:29]
	s_and_b64 s[26:27], s[26:27], exec
                                        ; implicit-def: $vgpr26
.LBB102_25:                             ;   in Loop: Header=BB102_17 Depth=3
	s_andn2_saveexec_b64 s[24:25], s[24:25]
	s_cbranch_execz .LBB102_16
; %bb.26:                               ;   in Loop: Header=BB102_17 Depth=3
	v_lshlrev_b32_e32 v12, 2, v10
	v_sub_u32_e32 v12, v26, v12
	ds_add_f32 v12, v25 offset:32768
	s_andn2_b64 s[26:27], s[26:27], exec
	s_branch .LBB102_16
.LBB102_27:
	s_or_b64 exec, exec, s[4:5]
.LBB102_28:
	s_andn2_b64 vcc, exec, s[0:1]
	s_cbranch_vccnz .LBB102_45
; %bb.29:
	s_waitcnt lgkmcnt(0)
	s_lshl_b64 s[0:1], s[52:53], 3
	s_add_u32 s0, s36, s0
	s_addc_u32 s1, s37, s1
	s_load_dwordx4 s[8:11], s[0:1], 0x0
	v_subrev_co_u32_e32 v2, vcc, s47, v0
	v_subb_co_u32_e64 v3, s[2:3], 0, 0, vcc
	s_waitcnt lgkmcnt(0)
	s_sub_u32 s0, s10, s47
	v_mov_b32_e32 v4, s9
	v_add_co_u32_e32 v2, vcc, s8, v2
	s_subb_u32 s1, s11, 0
	v_addc_co_u32_e32 v3, vcc, v4, v3, vcc
	s_mov_b32 s6, 0
	v_cmp_gt_i64_e32 vcc, s[0:1], v[2:3]
	s_and_saveexec_b64 s[2:3], vcc
	s_cbranch_execz .LBB102_44
; %bb.30:
	s_mov_b32 s18, s47
	s_mov_b64 s[4:5], 0
	v_mov_b32_e32 v7, s39
	v_mov_b32_e32 v10, s6
	;; [unrolled: 1-line block ×3, first 2 shown]
	s_movk_i32 s19, 0x89
	s_branch .LBB102_32
.LBB102_31:                             ;   in Loop: Header=BB102_32 Depth=1
	s_or_b64 exec, exec, s[6:7]
	v_add_co_u32_e32 v2, vcc, 0x400, v2
	v_addc_co_u32_e32 v3, vcc, 0, v3, vcc
	v_cmp_le_i64_e32 vcc, s[0:1], v[2:3]
	s_or_b64 s[4:5], vcc, s[4:5]
	s_andn2_b64 exec, exec, s[4:5]
	s_cbranch_execz .LBB102_44
.LBB102_32:                             ; =>This Loop Header: Depth=1
                                        ;     Child Loop BB102_34 Depth 2
	v_lshlrev_b64 v[4:5], 3, v[2:3]
	v_add_co_u32_e32 v4, vcc, s38, v4
	v_addc_co_u32_e32 v5, vcc, v7, v5, vcc
	v_lshlrev_b64 v[8:9], 2, v[2:3]
	v_add_co_u32_e32 v8, vcc, s40, v8
	global_load_dwordx2 v[4:5], v[4:5], off
	v_addc_co_u32_e32 v9, vcc, v12, v9, vcc
	global_load_dword v6, v[8:9], off
	s_mov_b64 s[6:7], 0
	s_waitcnt vmcnt(1)
	v_subrev_co_u32_e32 v4, vcc, s18, v4
	v_subb_co_u32_e32 v5, vcc, v5, v10, vcc
	s_waitcnt vmcnt(0)
	v_mul_f32_e32 v13, v11, v6
	v_mul_lo_u32 v6, v4, s19
	v_and_b32_e32 v6, 0xfff, v6
	s_branch .LBB102_34
.LBB102_33:                             ;   in Loop: Header=BB102_34 Depth=2
	s_or_b64 exec, exec, s[8:9]
	s_xor_b64 s[8:9], s[10:11], -1
	s_and_b64 s[8:9], exec, s[8:9]
	s_or_b64 s[6:7], s[8:9], s[6:7]
	s_andn2_b64 exec, exec, s[6:7]
	s_cbranch_execz .LBB102_31
.LBB102_34:                             ;   Parent Loop BB102_32 Depth=1
                                        ; =>  This Inner Loop Header: Depth=2
	v_lshl_add_u32 v17, v6, 3, 0
	ds_read_b64 v[8:9], v17
                                        ; implicit-def: $sgpr10_sgpr11
	s_waitcnt lgkmcnt(0)
	v_cmp_ne_u64_e32 vcc, v[8:9], v[4:5]
	s_and_saveexec_b64 s[8:9], vcc
	s_xor_b64 s[8:9], exec, s[8:9]
	s_cbranch_execz .LBB102_42
; %bb.35:                               ;   in Loop: Header=BB102_34 Depth=2
	v_cmp_ne_u64_e32 vcc, s[34:35], v[8:9]
                                        ; implicit-def: $sgpr10_sgpr11
	s_and_saveexec_b64 s[12:13], vcc
	s_xor_b64 s[12:13], exec, s[12:13]
; %bb.36:                               ;   in Loop: Header=BB102_34 Depth=2
	v_add_u32_e32 v6, 1, v6
	v_and_b32_e32 v6, 0xfff, v6
	s_mov_b64 s[10:11], -1
                                        ; implicit-def: $vgpr17
; %bb.37:                               ;   in Loop: Header=BB102_34 Depth=2
	s_andn2_saveexec_b64 s[12:13], s[12:13]
	s_cbranch_execz .LBB102_41
; %bb.38:                               ;   in Loop: Header=BB102_34 Depth=2
	v_pk_mov_b32 v[8:9], s[34:35], s[34:35] op_sel:[0,1]
	ds_cmpst_rtn_b64 v[8:9], v17, v[8:9], v[4:5]
	s_mov_b64 s[14:15], -1
	s_waitcnt lgkmcnt(0)
	v_cmp_eq_u64_e32 vcc, s[34:35], v[8:9]
	s_and_saveexec_b64 s[16:17], vcc
	s_cbranch_execz .LBB102_40
; %bb.39:                               ;   in Loop: Header=BB102_34 Depth=2
	v_lshlrev_b32_e32 v8, 2, v6
	v_sub_u32_e32 v8, v17, v8
	ds_add_f32 v8, v13 offset:32768
	s_xor_b64 s[14:15], exec, -1
.LBB102_40:                             ;   in Loop: Header=BB102_34 Depth=2
	s_or_b64 exec, exec, s[16:17]
	s_andn2_b64 s[10:11], s[10:11], exec
	s_and_b64 s[14:15], s[14:15], exec
	s_or_b64 s[10:11], s[10:11], s[14:15]
.LBB102_41:                             ;   in Loop: Header=BB102_34 Depth=2
	s_or_b64 exec, exec, s[12:13]
	s_and_b64 s[10:11], s[10:11], exec
                                        ; implicit-def: $vgpr17
.LBB102_42:                             ;   in Loop: Header=BB102_34 Depth=2
	s_andn2_saveexec_b64 s[8:9], s[8:9]
	s_cbranch_execz .LBB102_33
; %bb.43:                               ;   in Loop: Header=BB102_34 Depth=2
	v_lshlrev_b32_e32 v8, 2, v6
	v_sub_u32_e32 v8, v17, v8
	ds_add_f32 v8, v13 offset:32768
	s_andn2_b64 s[10:11], s[10:11], exec
	s_branch .LBB102_33
.LBB102_44:
	s_or_b64 exec, exec, s[2:3]
.LBB102_45:
	v_mbcnt_lo_u32_b32 v2, -1, 0
	v_mbcnt_hi_u32_b32 v2, -1, v2
	v_sub_u32_e32 v2, 63, v2
	s_movk_i32 s0, 0x3ff
	s_movk_i32 s2, 0x7f
	;; [unrolled: 1-line block ×15, first 2 shown]
	v_mov_b32_e32 v3, 0
	v_lshrrev_b64 v[4:5], v2, -1
	v_lshl_add_u32 v12, v16, 3, 0
	v_cmp_eq_u32_e32 vcc, s0, v0
	v_cmp_lt_u32_e64 s[0:1], 63, v0
	v_cmp_lt_u32_e64 s[2:3], s2, v0
	;; [unrolled: 1-line block ×15, first 2 shown]
	s_mov_b64 s[36:37], 0
	v_pk_mov_b32 v[6:7], 0, 0
	s_movk_i32 s33, 0xbff
	s_waitcnt lgkmcnt(0)
	s_barrier
	s_branch .LBB102_47
.LBB102_46:                             ;   in Loop: Header=BB102_47 Depth=1
	s_or_b64 exec, exec, s[30:31]
	s_waitcnt lgkmcnt(0)
	s_barrier
	ds_read_b64 v[8:9], v3 offset:49272
	v_add_u32_e32 v14, 0x400, v14
	v_add_u32_e32 v1, 0x1000, v1
	;; [unrolled: 1-line block ×3, first 2 shown]
	s_waitcnt lgkmcnt(0)
	v_add_co_u32_e64 v6, s[30:31], v8, v6
	v_addc_co_u32_e64 v7, s[30:31], v9, v7, s[30:31]
	v_cmp_lt_u32_e64 s[30:31], s33, v14
	s_or_b64 s[36:37], s[30:31], s[36:37]
	s_andn2_b64 exec, exec, s[36:37]
	s_cbranch_execz .LBB102_81
.LBB102_47:                             ; =>This Inner Loop Header: Depth=1
	ds_read_b64 v[8:9], v15
	ds_read_b32 v13, v1
	s_waitcnt lgkmcnt(0)
	s_barrier
	v_cmp_gt_i64_e64 s[30:31], s[34:35], v[8:9]
	v_and_b32_e32 v11, s30, v4
	s_bcnt1_i32_b64 s38, s[30:31]
	v_and_b32_e32 v10, s31, v5
	v_bcnt_u32_b32 v11, v11, 0
	v_mov_b32_e32 v2, s38
	v_bcnt_u32_b32 v10, v10, v11
	ds_write_b64 v12, v[2:3] offset:49152
	s_waitcnt lgkmcnt(0)
	s_barrier
	s_and_saveexec_b64 s[38:39], s[0:1]
	s_cbranch_execnz .LBB102_64
; %bb.48:                               ;   in Loop: Header=BB102_47 Depth=1
	s_or_b64 exec, exec, s[38:39]
	s_and_saveexec_b64 s[38:39], s[2:3]
	s_cbranch_execnz .LBB102_65
.LBB102_49:                             ;   in Loop: Header=BB102_47 Depth=1
	s_or_b64 exec, exec, s[38:39]
	s_and_saveexec_b64 s[38:39], s[4:5]
	s_cbranch_execnz .LBB102_66
.LBB102_50:                             ;   in Loop: Header=BB102_47 Depth=1
	s_or_b64 exec, exec, s[38:39]
	s_and_saveexec_b64 s[38:39], s[6:7]
	s_cbranch_execnz .LBB102_67
.LBB102_51:                             ;   in Loop: Header=BB102_47 Depth=1
	s_or_b64 exec, exec, s[38:39]
	s_and_saveexec_b64 s[38:39], s[8:9]
	s_cbranch_execnz .LBB102_68
.LBB102_52:                             ;   in Loop: Header=BB102_47 Depth=1
	s_or_b64 exec, exec, s[38:39]
	s_and_saveexec_b64 s[38:39], s[10:11]
	s_cbranch_execnz .LBB102_69
.LBB102_53:                             ;   in Loop: Header=BB102_47 Depth=1
	s_or_b64 exec, exec, s[38:39]
	s_and_saveexec_b64 s[38:39], s[12:13]
	s_cbranch_execnz .LBB102_70
.LBB102_54:                             ;   in Loop: Header=BB102_47 Depth=1
	s_or_b64 exec, exec, s[38:39]
	s_and_saveexec_b64 s[38:39], s[14:15]
	s_cbranch_execnz .LBB102_71
.LBB102_55:                             ;   in Loop: Header=BB102_47 Depth=1
	s_or_b64 exec, exec, s[38:39]
	s_and_saveexec_b64 s[38:39], s[16:17]
	s_cbranch_execnz .LBB102_72
.LBB102_56:                             ;   in Loop: Header=BB102_47 Depth=1
	s_or_b64 exec, exec, s[38:39]
	s_and_saveexec_b64 s[38:39], s[18:19]
	s_cbranch_execnz .LBB102_73
.LBB102_57:                             ;   in Loop: Header=BB102_47 Depth=1
	s_or_b64 exec, exec, s[38:39]
	s_and_saveexec_b64 s[38:39], s[20:21]
	s_cbranch_execnz .LBB102_74
.LBB102_58:                             ;   in Loop: Header=BB102_47 Depth=1
	s_or_b64 exec, exec, s[38:39]
	s_and_saveexec_b64 s[38:39], s[22:23]
	s_cbranch_execnz .LBB102_75
.LBB102_59:                             ;   in Loop: Header=BB102_47 Depth=1
	s_or_b64 exec, exec, s[38:39]
	s_and_saveexec_b64 s[38:39], s[24:25]
	s_cbranch_execnz .LBB102_76
.LBB102_60:                             ;   in Loop: Header=BB102_47 Depth=1
	s_or_b64 exec, exec, s[38:39]
	s_and_saveexec_b64 s[38:39], s[26:27]
	s_cbranch_execnz .LBB102_77
.LBB102_61:                             ;   in Loop: Header=BB102_47 Depth=1
	s_or_b64 exec, exec, s[38:39]
	s_and_saveexec_b64 s[38:39], s[28:29]
	s_cbranch_execnz .LBB102_78
.LBB102_62:                             ;   in Loop: Header=BB102_47 Depth=1
	s_or_b64 exec, exec, s[38:39]
	v_ashrrev_i32_e32 v11, 31, v10
	s_and_saveexec_b64 s[38:39], s[30:31]
	s_cbranch_execnz .LBB102_79
.LBB102_63:                             ;   in Loop: Header=BB102_47 Depth=1
	s_or_b64 exec, exec, s[38:39]
	s_and_saveexec_b64 s[30:31], vcc
	s_cbranch_execz .LBB102_46
	s_branch .LBB102_80
.LBB102_64:                             ;   in Loop: Header=BB102_47 Depth=1
	ds_read_b32 v2, v3 offset:49152
	s_waitcnt lgkmcnt(0)
	v_add_u32_e32 v10, v2, v10
	s_or_b64 exec, exec, s[38:39]
	s_and_saveexec_b64 s[38:39], s[2:3]
	s_cbranch_execz .LBB102_49
.LBB102_65:                             ;   in Loop: Header=BB102_47 Depth=1
	ds_read_b32 v2, v3 offset:49160
	s_waitcnt lgkmcnt(0)
	v_add_u32_e32 v10, v10, v2
	s_or_b64 exec, exec, s[38:39]
	s_and_saveexec_b64 s[38:39], s[4:5]
	s_cbranch_execz .LBB102_50
.LBB102_66:                             ;   in Loop: Header=BB102_47 Depth=1
	ds_read_b32 v2, v3 offset:49168
	s_waitcnt lgkmcnt(0)
	v_add_u32_e32 v10, v10, v2
	s_or_b64 exec, exec, s[38:39]
	s_and_saveexec_b64 s[38:39], s[6:7]
	s_cbranch_execz .LBB102_51
.LBB102_67:                             ;   in Loop: Header=BB102_47 Depth=1
	ds_read_b32 v2, v3 offset:49176
	s_waitcnt lgkmcnt(0)
	v_add_u32_e32 v10, v10, v2
	s_or_b64 exec, exec, s[38:39]
	s_and_saveexec_b64 s[38:39], s[8:9]
	s_cbranch_execz .LBB102_52
.LBB102_68:                             ;   in Loop: Header=BB102_47 Depth=1
	ds_read_b32 v2, v3 offset:49184
	s_waitcnt lgkmcnt(0)
	v_add_u32_e32 v10, v10, v2
	s_or_b64 exec, exec, s[38:39]
	s_and_saveexec_b64 s[38:39], s[10:11]
	s_cbranch_execz .LBB102_53
.LBB102_69:                             ;   in Loop: Header=BB102_47 Depth=1
	ds_read_b32 v2, v3 offset:49192
	s_waitcnt lgkmcnt(0)
	v_add_u32_e32 v10, v10, v2
	s_or_b64 exec, exec, s[38:39]
	s_and_saveexec_b64 s[38:39], s[12:13]
	s_cbranch_execz .LBB102_54
.LBB102_70:                             ;   in Loop: Header=BB102_47 Depth=1
	ds_read_b32 v2, v3 offset:49200
	s_waitcnt lgkmcnt(0)
	v_add_u32_e32 v10, v10, v2
	s_or_b64 exec, exec, s[38:39]
	s_and_saveexec_b64 s[38:39], s[14:15]
	s_cbranch_execz .LBB102_55
.LBB102_71:                             ;   in Loop: Header=BB102_47 Depth=1
	ds_read_b32 v2, v3 offset:49208
	s_waitcnt lgkmcnt(0)
	v_add_u32_e32 v10, v10, v2
	s_or_b64 exec, exec, s[38:39]
	s_and_saveexec_b64 s[38:39], s[16:17]
	s_cbranch_execz .LBB102_56
.LBB102_72:                             ;   in Loop: Header=BB102_47 Depth=1
	ds_read_b32 v2, v3 offset:49216
	s_waitcnt lgkmcnt(0)
	v_add_u32_e32 v10, v10, v2
	s_or_b64 exec, exec, s[38:39]
	s_and_saveexec_b64 s[38:39], s[18:19]
	s_cbranch_execz .LBB102_57
.LBB102_73:                             ;   in Loop: Header=BB102_47 Depth=1
	ds_read_b32 v2, v3 offset:49224
	s_waitcnt lgkmcnt(0)
	v_add_u32_e32 v10, v10, v2
	s_or_b64 exec, exec, s[38:39]
	s_and_saveexec_b64 s[38:39], s[20:21]
	s_cbranch_execz .LBB102_58
.LBB102_74:                             ;   in Loop: Header=BB102_47 Depth=1
	ds_read_b32 v2, v3 offset:49232
	s_waitcnt lgkmcnt(0)
	v_add_u32_e32 v10, v10, v2
	s_or_b64 exec, exec, s[38:39]
	s_and_saveexec_b64 s[38:39], s[22:23]
	s_cbranch_execz .LBB102_59
.LBB102_75:                             ;   in Loop: Header=BB102_47 Depth=1
	ds_read_b32 v2, v3 offset:49240
	s_waitcnt lgkmcnt(0)
	v_add_u32_e32 v10, v10, v2
	s_or_b64 exec, exec, s[38:39]
	s_and_saveexec_b64 s[38:39], s[24:25]
	s_cbranch_execz .LBB102_60
.LBB102_76:                             ;   in Loop: Header=BB102_47 Depth=1
	ds_read_b32 v2, v3 offset:49248
	s_waitcnt lgkmcnt(0)
	v_add_u32_e32 v10, v10, v2
	s_or_b64 exec, exec, s[38:39]
	s_and_saveexec_b64 s[38:39], s[26:27]
	s_cbranch_execz .LBB102_61
.LBB102_77:                             ;   in Loop: Header=BB102_47 Depth=1
	ds_read_b32 v2, v3 offset:49256
	s_waitcnt lgkmcnt(0)
	v_add_u32_e32 v10, v10, v2
	s_or_b64 exec, exec, s[38:39]
	s_and_saveexec_b64 s[38:39], s[28:29]
	s_cbranch_execz .LBB102_62
.LBB102_78:                             ;   in Loop: Header=BB102_47 Depth=1
	ds_read_b32 v2, v3 offset:49264
	s_waitcnt lgkmcnt(0)
	v_add_u32_e32 v10, v10, v2
	s_or_b64 exec, exec, s[38:39]
	v_ashrrev_i32_e32 v11, 31, v10
	s_and_saveexec_b64 s[38:39], s[30:31]
	s_cbranch_execz .LBB102_63
.LBB102_79:                             ;   in Loop: Header=BB102_47 Depth=1
	v_add3_u32 v2, v6, -1, v10
	v_lshl_add_u32 v16, v2, 3, 0
	v_lshl_add_u32 v2, v2, 2, 0
	ds_write_b64 v16, v[8:9]
	ds_write_b32 v2, v13 offset:32768
	s_or_b64 exec, exec, s[38:39]
	s_and_saveexec_b64 s[30:31], vcc
	s_cbranch_execz .LBB102_46
.LBB102_80:                             ;   in Loop: Header=BB102_47 Depth=1
	ds_write_b64 v3, v[10:11] offset:49272
	s_branch .LBB102_46
.LBB102_81:
	s_or_b64 exec, exec, s[36:37]
	s_lshl_b64 s[0:1], s[52:53], 3
	s_add_u32 s0, s42, s0
	s_addc_u32 s1, s43, s1
	s_load_dwordx4 s[0:3], s[0:1], 0x0
	v_mov_b32_e32 v1, 0
	s_waitcnt lgkmcnt(0)
	s_sub_u32 s4, s2, s0
	s_subb_u32 s5, s3, s1
	v_cmp_gt_i64_e32 vcc, s[4:5], v[0:1]
	s_and_saveexec_b64 s[6:7], vcc
	s_cbranch_execz .LBB102_91
; %bb.82:
	s_sub_u32 s6, s0, s46
	s_subb_u32 s7, s1, 0
	s_and_b32 s8, s4, 7
	s_sub_u32 s0, s0, s2
	s_mov_b32 s16, 0
	s_subb_u32 s1, s1, s3
	s_mov_b32 s9, s16
	s_and_b32 s2, s4, -8
	v_cmp_lt_u64_e64 s[0:1], s[0:1], -7
	s_cmp_lg_u64 s[8:9], 0
	v_cndmask_b32_e64 v2, 0, 1, s[0:1]
	s_mov_b32 s3, s5
	s_mov_b64 s[10:11], 0
	s_cselect_b64 s[12:13], -1, 0
	v_cmp_ne_u32_e64 s[0:1], 1, v2
	s_branch .LBB102_84
.LBB102_83:                             ;   in Loop: Header=BB102_84 Depth=1
	v_mov_b32_e32 v7, s16
	s_waitcnt lgkmcnt(1)
	v_add_co_u32_e32 v2, vcc, s46, v2
	v_addc_co_u32_e32 v3, vcc, v3, v7, vcc
	v_lshlrev_b64 v[8:9], 3, v[4:5]
	v_mov_b32_e32 v7, s49
	v_add_co_u32_e32 v8, vcc, s48, v8
	v_addc_co_u32_e32 v9, vcc, v7, v9, vcc
	global_store_dwordx2 v[8:9], v[2:3], off
	v_lshlrev_b64 v[2:3], 2, v[4:5]
	v_mov_b32_e32 v4, s51
	v_add_co_u32_e32 v2, vcc, s50, v2
	v_addc_co_u32_e32 v3, vcc, v4, v3, vcc
	v_add_co_u32_e32 v0, vcc, 0x400, v0
	v_addc_co_u32_e32 v1, vcc, 0, v1, vcc
	v_cmp_le_i64_e32 vcc, s[4:5], v[0:1]
	s_or_b64 s[10:11], vcc, s[10:11]
	s_waitcnt lgkmcnt(0)
	global_store_dword v[2:3], v6, off
	s_andn2_b64 exec, exec, s[10:11]
	s_cbranch_execz .LBB102_91
.LBB102_84:                             ; =>This Loop Header: Depth=1
                                        ;     Child Loop BB102_86 Depth 2
                                        ;     Child Loop BB102_90 Depth 2
	v_lshl_add_u32 v2, v0, 3, 0
	v_lshlrev_b32_e32 v3, 2, v0
	v_sub_u32_e32 v4, v2, v3
	ds_read_b64 v[2:3], v2
	ds_read_b32 v6, v4 offset:32768
	s_and_b64 vcc, exec, s[0:1]
	v_pk_mov_b32 v[4:5], s[6:7], s[6:7] op_sel:[0,1]
	s_mov_b64 s[14:15], 0
	s_cbranch_vccnz .LBB102_88
; %bb.85:                               ;   in Loop: Header=BB102_84 Depth=1
	s_mov_b32 s17, 0
	v_pk_mov_b32 v[4:5], s[6:7], s[6:7] op_sel:[0,1]
.LBB102_86:                             ;   Parent Loop BB102_84 Depth=1
                                        ; =>  This Inner Loop Header: Depth=2
	v_mov_b32_e32 v7, s17
	ds_read2_b64 v[8:11], v7 offset1:1
	ds_read2_b64 v[12:15], v7 offset0:2 offset1:3
	ds_read2_b64 v[16:19], v7 offset0:4 offset1:5
	;; [unrolled: 1-line block ×3, first 2 shown]
	s_add_u32 s14, s14, 8
	s_waitcnt lgkmcnt(3)
	v_cmp_gt_i64_e32 vcc, v[2:3], v[8:9]
	v_cndmask_b32_e64 v7, 0, 1, vcc
	v_cmp_gt_i64_e32 vcc, v[2:3], v[10:11]
	v_cndmask_b32_e64 v8, 0, 1, vcc
	s_waitcnt lgkmcnt(2)
	v_cmp_gt_i64_e32 vcc, v[2:3], v[12:13]
	v_cndmask_b32_e64 v9, 0, 1, vcc
	v_cmp_gt_i64_e32 vcc, v[2:3], v[14:15]
	v_cndmask_b32_e64 v10, 0, 1, vcc
	;; [unrolled: 5-line block ×4, first 2 shown]
	v_add_co_u32_e32 v4, vcc, v4, v7
	v_addc_co_u32_e32 v5, vcc, 0, v5, vcc
	v_add_co_u32_e32 v4, vcc, v4, v8
	v_addc_co_u32_e32 v5, vcc, 0, v5, vcc
	;; [unrolled: 2-line block ×7, first 2 shown]
	s_addc_u32 s15, s15, 0
	s_add_i32 s17, s17, 64
	v_add_co_u32_e32 v4, vcc, v4, v14
	s_cmp_eq_u64 s[2:3], s[14:15]
	v_addc_co_u32_e32 v5, vcc, 0, v5, vcc
	s_cbranch_scc0 .LBB102_86
; %bb.87:                               ;   in Loop: Header=BB102_84 Depth=1
	s_mov_b64 s[14:15], s[2:3]
.LBB102_88:                             ;   in Loop: Header=BB102_84 Depth=1
	s_andn2_b64 vcc, exec, s[12:13]
	s_cbranch_vccnz .LBB102_83
; %bb.89:                               ;   in Loop: Header=BB102_84 Depth=1
	s_lshl_b32 s14, s14, 3
	s_add_i32 s17, s14, 0
	s_mov_b64 s[14:15], s[8:9]
.LBB102_90:                             ;   Parent Loop BB102_84 Depth=1
                                        ; =>  This Inner Loop Header: Depth=2
	v_mov_b32_e32 v7, s17
	ds_read_b64 v[8:9], v7
	s_add_i32 s17, s17, 8
	s_add_u32 s14, s14, -1
	s_addc_u32 s15, s15, -1
	s_cmp_lg_u64 s[14:15], 0
	s_waitcnt lgkmcnt(0)
	v_cmp_gt_i64_e32 vcc, v[2:3], v[8:9]
	v_cndmask_b32_e64 v7, 0, 1, vcc
	v_add_co_u32_e32 v4, vcc, v4, v7
	v_addc_co_u32_e32 v5, vcc, 0, v5, vcc
	s_cbranch_scc1 .LBB102_90
	s_branch .LBB102_83
.LBB102_91:
	s_endpgm
	.section	.rodata,"a",@progbits
	.p2align	6, 0x0
	.amdhsa_kernel _ZN9rocsparseL26csrgemm_fill_block_per_rowILj1024ELj64ELj4096ELj137ELj64EllfEEvT5_PKS1_S3_NS_24const_host_device_scalarIT6_EEPKT4_S3_PKS5_S9_S3_SB_S6_S9_S3_SB_S9_PS1_PS5_21rocsparse_index_base_SE_SE_SE_bbb
		.amdhsa_group_segment_fixed_size 0
		.amdhsa_private_segment_fixed_size 0
		.amdhsa_kernarg_size 156
		.amdhsa_user_sgpr_count 6
		.amdhsa_user_sgpr_private_segment_buffer 1
		.amdhsa_user_sgpr_dispatch_ptr 0
		.amdhsa_user_sgpr_queue_ptr 0
		.amdhsa_user_sgpr_kernarg_segment_ptr 1
		.amdhsa_user_sgpr_dispatch_id 0
		.amdhsa_user_sgpr_flat_scratch_init 0
		.amdhsa_user_sgpr_kernarg_preload_length 0
		.amdhsa_user_sgpr_kernarg_preload_offset 0
		.amdhsa_user_sgpr_private_segment_size 0
		.amdhsa_uses_dynamic_stack 0
		.amdhsa_system_sgpr_private_segment_wavefront_offset 0
		.amdhsa_system_sgpr_workgroup_id_x 1
		.amdhsa_system_sgpr_workgroup_id_y 0
		.amdhsa_system_sgpr_workgroup_id_z 0
		.amdhsa_system_sgpr_workgroup_info 0
		.amdhsa_system_vgpr_workitem_id 0
		.amdhsa_next_free_vgpr 27
		.amdhsa_next_free_sgpr 55
		.amdhsa_accum_offset 28
		.amdhsa_reserve_vcc 1
		.amdhsa_reserve_flat_scratch 0
		.amdhsa_float_round_mode_32 0
		.amdhsa_float_round_mode_16_64 0
		.amdhsa_float_denorm_mode_32 3
		.amdhsa_float_denorm_mode_16_64 3
		.amdhsa_dx10_clamp 1
		.amdhsa_ieee_mode 1
		.amdhsa_fp16_overflow 0
		.amdhsa_tg_split 0
		.amdhsa_exception_fp_ieee_invalid_op 0
		.amdhsa_exception_fp_denorm_src 0
		.amdhsa_exception_fp_ieee_div_zero 0
		.amdhsa_exception_fp_ieee_overflow 0
		.amdhsa_exception_fp_ieee_underflow 0
		.amdhsa_exception_fp_ieee_inexact 0
		.amdhsa_exception_int_div_zero 0
	.end_amdhsa_kernel
	.section	.text._ZN9rocsparseL26csrgemm_fill_block_per_rowILj1024ELj64ELj4096ELj137ELj64EllfEEvT5_PKS1_S3_NS_24const_host_device_scalarIT6_EEPKT4_S3_PKS5_S9_S3_SB_S6_S9_S3_SB_S9_PS1_PS5_21rocsparse_index_base_SE_SE_SE_bbb,"axG",@progbits,_ZN9rocsparseL26csrgemm_fill_block_per_rowILj1024ELj64ELj4096ELj137ELj64EllfEEvT5_PKS1_S3_NS_24const_host_device_scalarIT6_EEPKT4_S3_PKS5_S9_S3_SB_S6_S9_S3_SB_S9_PS1_PS5_21rocsparse_index_base_SE_SE_SE_bbb,comdat
.Lfunc_end102:
	.size	_ZN9rocsparseL26csrgemm_fill_block_per_rowILj1024ELj64ELj4096ELj137ELj64EllfEEvT5_PKS1_S3_NS_24const_host_device_scalarIT6_EEPKT4_S3_PKS5_S9_S3_SB_S6_S9_S3_SB_S9_PS1_PS5_21rocsparse_index_base_SE_SE_SE_bbb, .Lfunc_end102-_ZN9rocsparseL26csrgemm_fill_block_per_rowILj1024ELj64ELj4096ELj137ELj64EllfEEvT5_PKS1_S3_NS_24const_host_device_scalarIT6_EEPKT4_S3_PKS5_S9_S3_SB_S6_S9_S3_SB_S9_PS1_PS5_21rocsparse_index_base_SE_SE_SE_bbb
                                        ; -- End function
	.section	.AMDGPU.csdata,"",@progbits
; Kernel info:
; codeLenInByte = 3208
; NumSgprs: 59
; NumVgprs: 27
; NumAgprs: 0
; TotalNumVgprs: 27
; ScratchSize: 0
; MemoryBound: 0
; FloatMode: 240
; IeeeMode: 1
; LDSByteSize: 0 bytes/workgroup (compile time only)
; SGPRBlocks: 7
; VGPRBlocks: 3
; NumSGPRsForWavesPerEU: 59
; NumVGPRsForWavesPerEU: 27
; AccumOffset: 28
; Occupancy: 8
; WaveLimiterHint : 1
; COMPUTE_PGM_RSRC2:SCRATCH_EN: 0
; COMPUTE_PGM_RSRC2:USER_SGPR: 6
; COMPUTE_PGM_RSRC2:TRAP_HANDLER: 0
; COMPUTE_PGM_RSRC2:TGID_X_EN: 1
; COMPUTE_PGM_RSRC2:TGID_Y_EN: 0
; COMPUTE_PGM_RSRC2:TGID_Z_EN: 0
; COMPUTE_PGM_RSRC2:TIDIG_COMP_CNT: 0
; COMPUTE_PGM_RSRC3_GFX90A:ACCUM_OFFSET: 6
; COMPUTE_PGM_RSRC3_GFX90A:TG_SPLIT: 0
	.section	.text._ZN9rocsparseL26csrgemm_fill_block_per_rowILj1024ELj64ELj8192ELj137ELj32EllfEEvT5_PKS1_S3_NS_24const_host_device_scalarIT6_EEPKT4_S3_PKS5_S9_S3_SB_S6_S9_S3_SB_S9_PS1_PS5_21rocsparse_index_base_SE_SE_SE_bbb,"axG",@progbits,_ZN9rocsparseL26csrgemm_fill_block_per_rowILj1024ELj64ELj8192ELj137ELj32EllfEEvT5_PKS1_S3_NS_24const_host_device_scalarIT6_EEPKT4_S3_PKS5_S9_S3_SB_S6_S9_S3_SB_S9_PS1_PS5_21rocsparse_index_base_SE_SE_SE_bbb,comdat
	.globl	_ZN9rocsparseL26csrgemm_fill_block_per_rowILj1024ELj64ELj8192ELj137ELj32EllfEEvT5_PKS1_S3_NS_24const_host_device_scalarIT6_EEPKT4_S3_PKS5_S9_S3_SB_S6_S9_S3_SB_S9_PS1_PS5_21rocsparse_index_base_SE_SE_SE_bbb ; -- Begin function _ZN9rocsparseL26csrgemm_fill_block_per_rowILj1024ELj64ELj8192ELj137ELj32EllfEEvT5_PKS1_S3_NS_24const_host_device_scalarIT6_EEPKT4_S3_PKS5_S9_S3_SB_S6_S9_S3_SB_S9_PS1_PS5_21rocsparse_index_base_SE_SE_SE_bbb
	.p2align	8
	.type	_ZN9rocsparseL26csrgemm_fill_block_per_rowILj1024ELj64ELj8192ELj137ELj32EllfEEvT5_PKS1_S3_NS_24const_host_device_scalarIT6_EEPKT4_S3_PKS5_S9_S3_SB_S6_S9_S3_SB_S9_PS1_PS5_21rocsparse_index_base_SE_SE_SE_bbb,@function
_ZN9rocsparseL26csrgemm_fill_block_per_rowILj1024ELj64ELj8192ELj137ELj32EllfEEvT5_PKS1_S3_NS_24const_host_device_scalarIT6_EEPKT4_S3_PKS5_S9_S3_SB_S6_S9_S3_SB_S9_PS1_PS5_21rocsparse_index_base_SE_SE_SE_bbb: ; @_ZN9rocsparseL26csrgemm_fill_block_per_rowILj1024ELj64ELj8192ELj137ELj32EllfEEvT5_PKS1_S3_NS_24const_host_device_scalarIT6_EEPKT4_S3_PKS5_S9_S3_SB_S6_S9_S3_SB_S9_PS1_PS5_21rocsparse_index_base_SE_SE_SE_bbb
; %bb.0:
	s_load_dword s7, s[4:5], 0x98
	s_load_dwordx4 s[8:11], s[4:5], 0x8
	s_load_dwordx2 s[0:1], s[4:5], 0x18
	s_load_dwordx4 s[40:43], s[4:5], 0x88
	s_load_dwordx2 s[12:13], s[4:5], 0x50
	s_waitcnt lgkmcnt(0)
	s_bitcmp1_b32 s7, 0
	s_cselect_b64 s[2:3], -1, 0
	s_bitcmp1_b32 s7, 16
	s_cselect_b64 s[14:15], -1, 0
	s_xor_b64 s[16:17], s[2:3], -1
	s_or_b64 s[16:17], s[16:17], s[14:15]
	s_and_b64 vcc, exec, s[16:17]
	s_cbranch_vccnz .LBB103_2
; %bb.1:
	s_load_dword s0, s[0:1], 0x0
	s_waitcnt lgkmcnt(0)
	v_mov_b32_e32 v15, s0
	s_branch .LBB103_3
.LBB103_2:
	v_mov_b32_e32 v1, s0
	v_cndmask_b32_e64 v15, 0, v1, s[2:3]
.LBB103_3:
	s_bitcmp1_b32 s7, 8
	s_cselect_b64 s[0:1], -1, 0
	s_xor_b64 s[16:17], s[0:1], -1
	s_or_b64 s[14:15], s[16:17], s[14:15]
	s_and_b64 vcc, exec, s[14:15]
	s_cbranch_vccnz .LBB103_5
; %bb.4:
	s_load_dword s7, s[12:13], 0x0
	s_waitcnt lgkmcnt(0)
	v_mov_b32_e32 v14, s7
	s_branch .LBB103_6
.LBB103_5:
	v_mov_b32_e32 v1, s12
	v_cndmask_b32_e64 v14, 0, v1, s[0:1]
.LBB103_6:
	s_load_dwordx2 s[72:73], s[4:5], 0x0
	v_lshl_add_u32 v1, v0, 3, 0
	v_lshl_add_u32 v11, v0, 2, 0
	v_mov_b32_e32 v6, 0
	v_add_u32_e32 v7, 0x10000, v11
	s_waitcnt lgkmcnt(0)
	v_pk_mov_b32 v[2:3], s[72:73], s[72:73] op_sel:[0,1]
	v_pk_mov_b32 v[4:5], s[72:73], s[72:73] op_sel:[0,1]
	ds_write2st64_b64 v1, v[2:3], v[4:5] offset1:16
	ds_write2st64_b32 v7, v6, v6 offset1:16
	ds_write2st64_b64 v1, v[2:3], v[4:5] offset0:32 offset1:48
	ds_write2st64_b32 v7, v6, v6 offset0:32 offset1:48
	ds_write2st64_b64 v1, v[2:3], v[4:5] offset0:64 offset1:80
	ds_write2st64_b32 v7, v6, v6 offset0:64 offset1:80
	;; [unrolled: 2-line block ×3, first 2 shown]
	s_waitcnt lgkmcnt(0)
	s_barrier
	s_load_dwordx2 s[8:9], s[8:9], 0x0
	s_mov_b32 s7, 0
	s_waitcnt lgkmcnt(0)
	s_lshl_b64 s[8:9], s[8:9], 3
	s_add_u32 s10, s10, s8
	s_addc_u32 s11, s11, s9
	s_lshl_b64 s[8:9], s[6:7], 3
	s_add_u32 s8, s10, s8
	s_addc_u32 s9, s11, s9
	s_load_dwordx2 s[44:45], s[8:9], 0x0
	s_andn2_b64 vcc, exec, s[2:3]
	s_cbranch_vccnz .LBB103_26
; %bb.7:
	s_load_dwordx2 s[2:3], s[4:5], 0x20
	s_waitcnt lgkmcnt(0)
	s_lshl_b64 s[8:9], s[44:45], 3
	v_lshrrev_b32_e32 v2, 6, v0
	v_subrev_co_u32_e32 v2, vcc, s40, v2
	s_add_u32 s2, s2, s8
	s_addc_u32 s3, s3, s9
	s_load_dwordx4 s[8:11], s[2:3], 0x0
	v_subb_co_u32_e64 v3, s[2:3], 0, 0, vcc
	s_waitcnt lgkmcnt(0)
	s_sub_u32 s2, s10, s40
	v_mov_b32_e32 v4, s9
	v_add_co_u32_e32 v2, vcc, s8, v2
	s_subb_u32 s3, s11, 0
	v_addc_co_u32_e32 v3, vcc, v4, v3, vcc
	v_cmp_gt_i64_e32 vcc, s[2:3], v[2:3]
	s_and_saveexec_b64 s[16:17], vcc
	s_cbranch_execz .LBB103_25
; %bb.8:
	s_load_dwordx2 s[18:19], s[4:5], 0x48
	s_load_dwordx8 s[8:15], s[4:5], 0x28
	v_and_b32_e32 v4, 63, v0
	v_subrev_co_u32_e32 v16, vcc, s41, v4
	s_mov_b32 s6, 0
	v_subb_co_u32_e64 v17, s[20:21], 0, 0, vcc
	s_mov_b32 s33, s40
	s_mov_b32 s38, s41
	s_mov_b64 s[20:21], 0
	s_waitcnt lgkmcnt(0)
	v_mov_b32_e32 v18, s9
	v_mov_b32_e32 v19, s7
	;; [unrolled: 1-line block ×4, first 2 shown]
	s_movk_i32 s9, 0x89
	s_branch .LBB103_10
.LBB103_9:                              ;   in Loop: Header=BB103_10 Depth=1
	s_or_b64 exec, exec, s[6:7]
	v_add_co_u32_e32 v2, vcc, 16, v2
	v_addc_co_u32_e32 v3, vcc, 0, v3, vcc
	v_cmp_le_i64_e32 vcc, s[2:3], v[2:3]
	s_or_b64 s[20:21], vcc, s[20:21]
	s_andn2_b64 exec, exec, s[20:21]
	s_cbranch_execz .LBB103_25
.LBB103_10:                             ; =>This Loop Header: Depth=1
                                        ;     Child Loop BB103_13 Depth 2
                                        ;       Child Loop BB103_15 Depth 3
	v_lshlrev_b64 v[4:5], 3, v[2:3]
	v_add_co_u32_e32 v4, vcc, s8, v4
	v_addc_co_u32_e32 v5, vcc, v18, v5, vcc
	global_load_dwordx2 v[4:5], v[4:5], off
	s_waitcnt vmcnt(0)
	v_subrev_co_u32_e32 v4, vcc, s33, v4
	v_subb_co_u32_e32 v5, vcc, v5, v19, vcc
	v_lshlrev_b64 v[4:5], 3, v[4:5]
	v_add_co_u32_e32 v4, vcc, s12, v4
	v_addc_co_u32_e32 v5, vcc, v20, v5, vcc
	global_load_dwordx4 v[6:9], v[4:5], off
	s_waitcnt vmcnt(0)
	v_subrev_co_u32_e32 v4, vcc, s38, v8
	v_subb_co_u32_e32 v5, vcc, v9, v21, vcc
	v_add_co_u32_e32 v6, vcc, v6, v16
	v_addc_co_u32_e32 v7, vcc, v7, v17, vcc
	v_cmp_lt_i64_e32 vcc, v[6:7], v[4:5]
	s_and_saveexec_b64 s[6:7], vcc
	s_cbranch_execz .LBB103_9
; %bb.11:                               ;   in Loop: Header=BB103_10 Depth=1
	v_lshlrev_b64 v[8:9], 2, v[2:3]
	v_mov_b32_e32 v10, s11
	v_add_co_u32_e32 v8, vcc, s10, v8
	v_addc_co_u32_e32 v9, vcc, v10, v9, vcc
	global_load_dword v8, v[8:9], off
	s_mov_b64 s[22:23], 0
	s_waitcnt vmcnt(0)
	v_mul_f32_e32 v22, v15, v8
	s_branch .LBB103_13
.LBB103_12:                             ;   in Loop: Header=BB103_13 Depth=2
	s_or_b64 exec, exec, s[24:25]
	v_add_co_u32_e32 v6, vcc, 64, v6
	v_addc_co_u32_e32 v7, vcc, 0, v7, vcc
	v_cmp_ge_i64_e32 vcc, v[6:7], v[4:5]
	s_or_b64 s[22:23], vcc, s[22:23]
	s_andn2_b64 exec, exec, s[22:23]
	s_cbranch_execz .LBB103_9
.LBB103_13:                             ;   Parent Loop BB103_10 Depth=1
                                        ; =>  This Loop Header: Depth=2
                                        ;       Child Loop BB103_15 Depth 3
	v_lshlrev_b64 v[8:9], 3, v[6:7]
	v_mov_b32_e32 v10, s15
	v_add_co_u32_e32 v8, vcc, s14, v8
	v_addc_co_u32_e32 v9, vcc, v10, v9, vcc
	v_lshlrev_b64 v[12:13], 2, v[6:7]
	v_mov_b32_e32 v10, s19
	v_add_co_u32_e32 v12, vcc, s18, v12
	global_load_dwordx2 v[8:9], v[8:9], off
	v_addc_co_u32_e32 v13, vcc, v10, v13, vcc
	global_load_dword v10, v[12:13], off
	s_mov_b64 s[24:25], 0
	s_waitcnt vmcnt(1)
	v_subrev_co_u32_e32 v8, vcc, s38, v8
	v_subb_co_u32_e32 v9, vcc, v9, v21, vcc
	s_waitcnt vmcnt(0)
	v_mul_f32_e32 v23, v22, v10
	v_mul_lo_u32 v10, v8, s9
	v_and_b32_e32 v10, 0x1fff, v10
	s_branch .LBB103_15
.LBB103_14:                             ;   in Loop: Header=BB103_15 Depth=3
	s_or_b64 exec, exec, s[26:27]
	s_xor_b64 s[26:27], s[28:29], -1
	s_and_b64 s[26:27], exec, s[26:27]
	s_or_b64 s[24:25], s[26:27], s[24:25]
	s_andn2_b64 exec, exec, s[24:25]
	s_cbranch_execz .LBB103_12
.LBB103_15:                             ;   Parent Loop BB103_10 Depth=1
                                        ;     Parent Loop BB103_13 Depth=2
                                        ; =>    This Inner Loop Header: Depth=3
	v_lshl_add_u32 v24, v10, 3, 0
	ds_read_b64 v[12:13], v24
                                        ; implicit-def: $sgpr28_sgpr29
	s_waitcnt lgkmcnt(0)
	v_cmp_ne_u64_e32 vcc, v[12:13], v[8:9]
	s_and_saveexec_b64 s[26:27], vcc
	s_xor_b64 s[26:27], exec, s[26:27]
	s_cbranch_execz .LBB103_23
; %bb.16:                               ;   in Loop: Header=BB103_15 Depth=3
	v_cmp_ne_u64_e32 vcc, s[72:73], v[12:13]
                                        ; implicit-def: $sgpr28_sgpr29
	s_and_saveexec_b64 s[30:31], vcc
	s_xor_b64 s[30:31], exec, s[30:31]
; %bb.17:                               ;   in Loop: Header=BB103_15 Depth=3
	v_add_u32_e32 v10, 1, v10
	v_and_b32_e32 v10, 0x1fff, v10
	s_mov_b64 s[28:29], -1
                                        ; implicit-def: $vgpr24
; %bb.18:                               ;   in Loop: Header=BB103_15 Depth=3
	s_andn2_saveexec_b64 s[30:31], s[30:31]
	s_cbranch_execz .LBB103_22
; %bb.19:                               ;   in Loop: Header=BB103_15 Depth=3
	v_pk_mov_b32 v[12:13], s[72:73], s[72:73] op_sel:[0,1]
	ds_cmpst_rtn_b64 v[12:13], v24, v[12:13], v[8:9]
	s_mov_b64 s[34:35], -1
	s_waitcnt lgkmcnt(0)
	v_cmp_eq_u64_e32 vcc, s[72:73], v[12:13]
	s_and_saveexec_b64 s[36:37], vcc
	s_cbranch_execz .LBB103_21
; %bb.20:                               ;   in Loop: Header=BB103_15 Depth=3
	v_lshl_add_u32 v12, v10, 2, 0
	v_add_u32_e32 v12, 0x10000, v12
	ds_add_f32 v12, v23
	s_xor_b64 s[34:35], exec, -1
.LBB103_21:                             ;   in Loop: Header=BB103_15 Depth=3
	s_or_b64 exec, exec, s[36:37]
	s_andn2_b64 s[28:29], s[28:29], exec
	s_and_b64 s[34:35], s[34:35], exec
	s_or_b64 s[28:29], s[28:29], s[34:35]
.LBB103_22:                             ;   in Loop: Header=BB103_15 Depth=3
	s_or_b64 exec, exec, s[30:31]
	s_and_b64 s[28:29], s[28:29], exec
.LBB103_23:                             ;   in Loop: Header=BB103_15 Depth=3
	s_andn2_saveexec_b64 s[26:27], s[26:27]
	s_cbranch_execz .LBB103_14
; %bb.24:                               ;   in Loop: Header=BB103_15 Depth=3
	v_lshl_add_u32 v12, v10, 2, 0
	v_add_u32_e32 v12, 0x10000, v12
	ds_add_f32 v12, v23
	s_andn2_b64 s[28:29], s[28:29], exec
	s_branch .LBB103_14
.LBB103_25:
	s_or_b64 exec, exec, s[16:17]
.LBB103_26:
	s_load_dwordx2 s[26:27], s[4:5], 0x80
	s_load_dwordx4 s[8:11], s[4:5], 0x70
                                        ; implicit-def: $vgpr25 : SGPR spill to VGPR lane
	s_andn2_b64 vcc, exec, s[0:1]
	s_waitcnt lgkmcnt(0)
	v_writelane_b32 v25, s8, 0
	v_writelane_b32 v25, s9, 1
	;; [unrolled: 1-line block ×4, first 2 shown]
	s_cbranch_vccnz .LBB103_43
; %bb.27:
	s_load_dwordx2 s[0:1], s[4:5], 0x58
	s_lshl_b64 s[2:3], s[44:45], 3
	v_subrev_co_u32_e32 v2, vcc, s43, v0
	v_subb_co_u32_e64 v3, s[6:7], 0, 0, vcc
	s_waitcnt lgkmcnt(0)
	s_add_u32 s0, s0, s2
	s_addc_u32 s1, s1, s3
	s_load_dwordx4 s[0:3], s[0:1], 0x0
	s_mov_b32 s10, 0
	s_waitcnt lgkmcnt(0)
	s_sub_u32 s6, s2, s43
	v_mov_b32_e32 v4, s1
	v_add_co_u32_e32 v2, vcc, s0, v2
	s_subb_u32 s7, s3, 0
	v_addc_co_u32_e32 v3, vcc, v4, v3, vcc
	v_cmp_gt_i64_e32 vcc, s[6:7], v[2:3]
	s_and_saveexec_b64 s[8:9], vcc
	s_cbranch_execz .LBB103_42
; %bb.28:
	s_load_dwordx4 s[0:3], s[4:5], 0x60
	s_mov_b32 s22, s43
	s_mov_b64 s[4:5], 0
	v_mov_b32_e32 v7, s10
	s_waitcnt lgkmcnt(0)
	v_mov_b32_e32 v10, s1
	v_mov_b32_e32 v12, s3
	s_movk_i32 s1, 0x89
	s_branch .LBB103_30
.LBB103_29:                             ;   in Loop: Header=BB103_30 Depth=1
	s_or_b64 exec, exec, s[10:11]
	v_add_co_u32_e32 v2, vcc, 0x400, v2
	v_addc_co_u32_e32 v3, vcc, 0, v3, vcc
	v_cmp_le_i64_e32 vcc, s[6:7], v[2:3]
	s_or_b64 s[4:5], vcc, s[4:5]
	s_andn2_b64 exec, exec, s[4:5]
	s_cbranch_execz .LBB103_42
.LBB103_30:                             ; =>This Loop Header: Depth=1
                                        ;     Child Loop BB103_32 Depth 2
	v_lshlrev_b64 v[4:5], 3, v[2:3]
	v_add_co_u32_e32 v4, vcc, s0, v4
	v_addc_co_u32_e32 v5, vcc, v10, v5, vcc
	v_lshlrev_b64 v[8:9], 2, v[2:3]
	v_add_co_u32_e32 v8, vcc, s2, v8
	global_load_dwordx2 v[4:5], v[4:5], off
	v_addc_co_u32_e32 v9, vcc, v12, v9, vcc
	global_load_dword v6, v[8:9], off
	s_mov_b64 s[10:11], 0
	s_waitcnt vmcnt(1)
	v_subrev_co_u32_e32 v4, vcc, s22, v4
	v_subb_co_u32_e32 v5, vcc, v5, v7, vcc
	s_waitcnt vmcnt(0)
	v_mul_f32_e32 v13, v14, v6
	v_mul_lo_u32 v6, v4, s1
	v_and_b32_e32 v6, 0x1fff, v6
	s_branch .LBB103_32
.LBB103_31:                             ;   in Loop: Header=BB103_32 Depth=2
	s_or_b64 exec, exec, s[12:13]
	s_xor_b64 s[12:13], s[14:15], -1
	s_and_b64 s[12:13], exec, s[12:13]
	s_or_b64 s[10:11], s[12:13], s[10:11]
	s_andn2_b64 exec, exec, s[10:11]
	s_cbranch_execz .LBB103_29
.LBB103_32:                             ;   Parent Loop BB103_30 Depth=1
                                        ; =>  This Inner Loop Header: Depth=2
	v_lshl_add_u32 v15, v6, 3, 0
	ds_read_b64 v[8:9], v15
                                        ; implicit-def: $sgpr14_sgpr15
	s_waitcnt lgkmcnt(0)
	v_cmp_ne_u64_e32 vcc, v[8:9], v[4:5]
	s_and_saveexec_b64 s[12:13], vcc
	s_xor_b64 s[12:13], exec, s[12:13]
	s_cbranch_execz .LBB103_40
; %bb.33:                               ;   in Loop: Header=BB103_32 Depth=2
	v_cmp_ne_u64_e32 vcc, s[72:73], v[8:9]
                                        ; implicit-def: $sgpr14_sgpr15
	s_and_saveexec_b64 s[16:17], vcc
	s_xor_b64 s[16:17], exec, s[16:17]
; %bb.34:                               ;   in Loop: Header=BB103_32 Depth=2
	v_add_u32_e32 v6, 1, v6
	v_and_b32_e32 v6, 0x1fff, v6
	s_mov_b64 s[14:15], -1
                                        ; implicit-def: $vgpr15
; %bb.35:                               ;   in Loop: Header=BB103_32 Depth=2
	s_andn2_saveexec_b64 s[16:17], s[16:17]
	s_cbranch_execz .LBB103_39
; %bb.36:                               ;   in Loop: Header=BB103_32 Depth=2
	v_pk_mov_b32 v[8:9], s[72:73], s[72:73] op_sel:[0,1]
	ds_cmpst_rtn_b64 v[8:9], v15, v[8:9], v[4:5]
	s_mov_b64 s[18:19], -1
	s_waitcnt lgkmcnt(0)
	v_cmp_eq_u64_e32 vcc, s[72:73], v[8:9]
	s_and_saveexec_b64 s[20:21], vcc
	s_cbranch_execz .LBB103_38
; %bb.37:                               ;   in Loop: Header=BB103_32 Depth=2
	v_lshl_add_u32 v8, v6, 2, 0
	v_add_u32_e32 v8, 0x10000, v8
	ds_add_f32 v8, v13
	s_xor_b64 s[18:19], exec, -1
.LBB103_38:                             ;   in Loop: Header=BB103_32 Depth=2
	s_or_b64 exec, exec, s[20:21]
	s_andn2_b64 s[14:15], s[14:15], exec
	s_and_b64 s[18:19], s[18:19], exec
	s_or_b64 s[14:15], s[14:15], s[18:19]
.LBB103_39:                             ;   in Loop: Header=BB103_32 Depth=2
	s_or_b64 exec, exec, s[16:17]
	s_and_b64 s[14:15], s[14:15], exec
.LBB103_40:                             ;   in Loop: Header=BB103_32 Depth=2
	s_andn2_saveexec_b64 s[12:13], s[12:13]
	s_cbranch_execz .LBB103_31
; %bb.41:                               ;   in Loop: Header=BB103_32 Depth=2
	v_lshl_add_u32 v8, v6, 2, 0
	v_add_u32_e32 v8, 0x10000, v8
	ds_add_f32 v8, v13
	s_andn2_b64 s[14:15], s[14:15], exec
	s_branch .LBB103_31
.LBB103_42:
	s_or_b64 exec, exec, s[8:9]
.LBB103_43:
	v_writelane_b32 v25, s26, 4
	v_writelane_b32 v25, s27, 5
	;; [unrolled: 1-line block ×4, first 2 shown]
	s_movk_i32 s33, 0x25f
	v_writelane_b32 v25, s40, 8
	v_cmp_lt_u32_e64 s[34:35], s33, v0
	s_movk_i32 s33, 0x27f
	v_writelane_b32 v25, s41, 9
	v_cmp_lt_u32_e64 s[36:37], s33, v0
	;; [unrolled: 3-line block ×4, first 2 shown]
	s_movk_i32 s33, 0x2df
	v_cmp_lt_u32_e64 s[42:43], s33, v0
	s_movk_i32 s33, 0x2ff
	v_cmp_lt_u32_e64 s[44:45], s33, v0
	s_movk_i32 s33, 0x31f
	v_cmp_lt_u32_e64 s[46:47], s33, v0
	s_movk_i32 s33, 0x33f
	v_cmp_lt_u32_e64 s[48:49], s33, v0
	s_movk_i32 s33, 0x35f
	v_cmp_lt_u32_e64 s[50:51], s33, v0
	s_movk_i32 s33, 0x37f
	v_cmp_lt_u32_e64 s[52:53], s33, v0
	s_movk_i32 s33, 0x39f
	v_cmp_lt_u32_e64 s[54:55], s33, v0
	s_movk_i32 s33, 0x3bf
	s_add_i32 s0, 0, 0x18000
	v_cmp_lt_u32_e64 s[56:57], s33, v0
	s_movk_i32 s33, 0x3df
	v_writelane_b32 v25, s0, 12
	v_cmp_lt_u32_e64 s[58:59], s33, v0
	s_add_i32 s33, 0, 0x18008
	v_writelane_b32 v25, s33, 13
	s_add_i32 s33, 0, 0x18010
	v_mbcnt_lo_u32_b32 v2, -1, 0
	v_writelane_b32 v25, s33, 14
	s_add_i32 s33, 0, 0x18018
	v_mbcnt_hi_u32_b32 v2, -1, v2
	v_writelane_b32 v25, s33, 15
	s_add_i32 s33, 0, 0x18020
	v_sub_u32_e32 v2, 63, v2
	v_writelane_b32 v25, s33, 16
	s_add_i32 s33, 0, 0x18028
	v_lshrrev_b64 v[4:5], v2, -1
	v_lshrrev_b32_e32 v2, 2, v0
	v_writelane_b32 v25, s33, 17
	s_add_i32 s33, 0, 0x18030
	v_and_b32_e32 v2, 0xf8, v2
	v_writelane_b32 v25, s33, 18
	s_add_i32 s33, 0, 0x18038
	v_add_u32_e32 v12, s0, v2
	s_movk_i32 s0, 0x3ff
	v_writelane_b32 v25, s33, 19
	s_add_i32 s33, 0, 0x18040
	v_cmp_eq_u32_e32 vcc, s0, v0
	s_movk_i32 s0, 0x5f
	s_movk_i32 s2, 0x7f
	;; [unrolled: 1-line block ×16, first 2 shown]
	v_writelane_b32 v25, s33, 20
	s_add_i32 s33, 0, 0x18048
	v_mov_b32_e32 v3, 0
	v_cmp_lt_u32_e64 s[0:1], s0, v0
	v_cmp_lt_u32_e64 s[2:3], s2, v0
	;; [unrolled: 1-line block ×16, first 2 shown]
	v_or_b32_e32 v13, 0xfffffc00, v0
	v_add_u32_e32 v14, 0x10000, v11
	v_pk_mov_b32 v[6:7], 0, 0
	v_writelane_b32 v25, s33, 21
	s_add_i32 s90, 0, 0x18050
	s_add_i32 s91, 0, 0x18058
	;; [unrolled: 1-line block ×22, first 2 shown]
	s_movk_i32 s87, 0x1bff
	v_cmp_lt_u32_e64 s[60:61], 31, v0
	v_cmp_lt_u32_e64 s[62:63], 63, v0
	s_mov_b64 s[78:79], 0
	s_waitcnt lgkmcnt(0)
	s_barrier
	s_branch .LBB103_45
.LBB103_44:                             ;   in Loop: Header=BB103_45 Depth=1
	s_or_b64 exec, exec, s[64:65]
	v_mov_b32_e32 v2, s86
	s_waitcnt lgkmcnt(0)
	s_barrier
	ds_read_b64 v[8:9], v2
	v_add_u32_e32 v13, 0x400, v13
	v_add_u32_e32 v14, 0x1000, v14
	;; [unrolled: 1-line block ×3, first 2 shown]
	s_waitcnt lgkmcnt(0)
	v_add_co_u32_e64 v6, s[64:65], v8, v6
	v_addc_co_u32_e64 v7, s[64:65], v9, v7, s[64:65]
	v_cmp_lt_u32_e64 s[64:65], s87, v13
	s_or_b64 s[78:79], s[64:65], s[78:79]
	s_andn2_b64 exec, exec, s[78:79]
	s_cbranch_execz .LBB103_111
.LBB103_45:                             ; =>This Inner Loop Header: Depth=1
	ds_read_b64 v[8:9], v1
	ds_read_b32 v15, v14
	s_waitcnt lgkmcnt(0)
	s_barrier
	v_cmp_gt_i64_e64 s[64:65], s[72:73], v[8:9]
	v_and_b32_e32 v11, s64, v4
	s_bcnt1_i32_b64 s80, s[64:65]
	v_and_b32_e32 v10, s65, v5
	v_bcnt_u32_b32 v11, v11, 0
	v_mov_b32_e32 v2, s80
	v_bcnt_u32_b32 v10, v10, v11
	ds_write_b64 v12, v[2:3]
	s_waitcnt lgkmcnt(0)
	s_barrier
	s_and_saveexec_b64 s[80:81], s[60:61]
	s_cbranch_execnz .LBB103_78
; %bb.46:                               ;   in Loop: Header=BB103_45 Depth=1
	s_or_b64 exec, exec, s[80:81]
	s_and_saveexec_b64 s[80:81], s[62:63]
	s_cbranch_execnz .LBB103_79
.LBB103_47:                             ;   in Loop: Header=BB103_45 Depth=1
	s_or_b64 exec, exec, s[80:81]
	s_and_saveexec_b64 s[80:81], s[0:1]
	s_cbranch_execnz .LBB103_80
.LBB103_48:                             ;   in Loop: Header=BB103_45 Depth=1
	s_or_b64 exec, exec, s[80:81]
	s_and_saveexec_b64 s[80:81], s[2:3]
	s_cbranch_execnz .LBB103_81
.LBB103_49:                             ;   in Loop: Header=BB103_45 Depth=1
	s_or_b64 exec, exec, s[80:81]
	s_and_saveexec_b64 s[80:81], s[4:5]
	s_cbranch_execnz .LBB103_82
.LBB103_50:                             ;   in Loop: Header=BB103_45 Depth=1
	s_or_b64 exec, exec, s[80:81]
	s_and_saveexec_b64 s[80:81], s[6:7]
	s_cbranch_execnz .LBB103_83
.LBB103_51:                             ;   in Loop: Header=BB103_45 Depth=1
	s_or_b64 exec, exec, s[80:81]
	s_and_saveexec_b64 s[80:81], s[8:9]
	s_cbranch_execnz .LBB103_84
.LBB103_52:                             ;   in Loop: Header=BB103_45 Depth=1
	s_or_b64 exec, exec, s[80:81]
	s_and_saveexec_b64 s[80:81], s[10:11]
	s_cbranch_execnz .LBB103_85
.LBB103_53:                             ;   in Loop: Header=BB103_45 Depth=1
	s_or_b64 exec, exec, s[80:81]
	s_and_saveexec_b64 s[80:81], s[12:13]
	s_cbranch_execnz .LBB103_86
.LBB103_54:                             ;   in Loop: Header=BB103_45 Depth=1
	s_or_b64 exec, exec, s[80:81]
	s_and_saveexec_b64 s[80:81], s[14:15]
	s_cbranch_execnz .LBB103_87
.LBB103_55:                             ;   in Loop: Header=BB103_45 Depth=1
	s_or_b64 exec, exec, s[80:81]
	s_and_saveexec_b64 s[80:81], s[16:17]
	s_cbranch_execnz .LBB103_88
.LBB103_56:                             ;   in Loop: Header=BB103_45 Depth=1
	s_or_b64 exec, exec, s[80:81]
	s_and_saveexec_b64 s[80:81], s[18:19]
	s_cbranch_execnz .LBB103_89
.LBB103_57:                             ;   in Loop: Header=BB103_45 Depth=1
	s_or_b64 exec, exec, s[80:81]
	s_and_saveexec_b64 s[80:81], s[20:21]
	s_cbranch_execnz .LBB103_90
.LBB103_58:                             ;   in Loop: Header=BB103_45 Depth=1
	s_or_b64 exec, exec, s[80:81]
	s_and_saveexec_b64 s[80:81], s[22:23]
	s_cbranch_execnz .LBB103_91
.LBB103_59:                             ;   in Loop: Header=BB103_45 Depth=1
	s_or_b64 exec, exec, s[80:81]
	s_and_saveexec_b64 s[80:81], s[24:25]
	s_cbranch_execnz .LBB103_92
.LBB103_60:                             ;   in Loop: Header=BB103_45 Depth=1
	s_or_b64 exec, exec, s[80:81]
	s_and_saveexec_b64 s[80:81], s[26:27]
	s_cbranch_execnz .LBB103_93
.LBB103_61:                             ;   in Loop: Header=BB103_45 Depth=1
	s_or_b64 exec, exec, s[80:81]
	s_and_saveexec_b64 s[80:81], s[28:29]
	s_cbranch_execnz .LBB103_94
.LBB103_62:                             ;   in Loop: Header=BB103_45 Depth=1
	s_or_b64 exec, exec, s[80:81]
	s_and_saveexec_b64 s[80:81], s[30:31]
	s_cbranch_execnz .LBB103_95
.LBB103_63:                             ;   in Loop: Header=BB103_45 Depth=1
	s_or_b64 exec, exec, s[80:81]
	s_and_saveexec_b64 s[80:81], s[34:35]
	s_cbranch_execnz .LBB103_96
.LBB103_64:                             ;   in Loop: Header=BB103_45 Depth=1
	s_or_b64 exec, exec, s[80:81]
	s_and_saveexec_b64 s[80:81], s[36:37]
	s_cbranch_execnz .LBB103_97
.LBB103_65:                             ;   in Loop: Header=BB103_45 Depth=1
	s_or_b64 exec, exec, s[80:81]
	s_and_saveexec_b64 s[80:81], s[38:39]
	s_cbranch_execnz .LBB103_98
.LBB103_66:                             ;   in Loop: Header=BB103_45 Depth=1
	s_or_b64 exec, exec, s[80:81]
	s_and_saveexec_b64 s[80:81], s[40:41]
	s_cbranch_execnz .LBB103_99
.LBB103_67:                             ;   in Loop: Header=BB103_45 Depth=1
	s_or_b64 exec, exec, s[80:81]
	s_and_saveexec_b64 s[80:81], s[42:43]
	s_cbranch_execnz .LBB103_100
.LBB103_68:                             ;   in Loop: Header=BB103_45 Depth=1
	s_or_b64 exec, exec, s[80:81]
	s_and_saveexec_b64 s[80:81], s[44:45]
	s_cbranch_execnz .LBB103_101
.LBB103_69:                             ;   in Loop: Header=BB103_45 Depth=1
	s_or_b64 exec, exec, s[80:81]
	s_and_saveexec_b64 s[80:81], s[46:47]
	s_cbranch_execnz .LBB103_102
.LBB103_70:                             ;   in Loop: Header=BB103_45 Depth=1
	s_or_b64 exec, exec, s[80:81]
	s_and_saveexec_b64 s[80:81], s[48:49]
	s_cbranch_execnz .LBB103_103
.LBB103_71:                             ;   in Loop: Header=BB103_45 Depth=1
	s_or_b64 exec, exec, s[80:81]
	s_and_saveexec_b64 s[80:81], s[50:51]
	s_cbranch_execnz .LBB103_104
.LBB103_72:                             ;   in Loop: Header=BB103_45 Depth=1
	s_or_b64 exec, exec, s[80:81]
	s_and_saveexec_b64 s[80:81], s[52:53]
	s_cbranch_execnz .LBB103_105
.LBB103_73:                             ;   in Loop: Header=BB103_45 Depth=1
	s_or_b64 exec, exec, s[80:81]
	s_and_saveexec_b64 s[80:81], s[54:55]
	s_cbranch_execnz .LBB103_106
.LBB103_74:                             ;   in Loop: Header=BB103_45 Depth=1
	s_or_b64 exec, exec, s[80:81]
	s_and_saveexec_b64 s[80:81], s[56:57]
	s_cbranch_execnz .LBB103_107
.LBB103_75:                             ;   in Loop: Header=BB103_45 Depth=1
	s_or_b64 exec, exec, s[80:81]
	s_and_saveexec_b64 s[80:81], s[58:59]
	s_cbranch_execnz .LBB103_108
.LBB103_76:                             ;   in Loop: Header=BB103_45 Depth=1
	s_or_b64 exec, exec, s[80:81]
	v_ashrrev_i32_e32 v11, 31, v10
	s_and_saveexec_b64 s[80:81], s[64:65]
	s_cbranch_execnz .LBB103_109
.LBB103_77:                             ;   in Loop: Header=BB103_45 Depth=1
	s_or_b64 exec, exec, s[80:81]
	s_and_saveexec_b64 s[64:65], vcc
	s_cbranch_execz .LBB103_44
	s_branch .LBB103_110
.LBB103_78:                             ;   in Loop: Header=BB103_45 Depth=1
	v_readlane_b32 s88, v25, 12
	v_mov_b32_e32 v2, s88
	ds_read_b32 v2, v2
	s_waitcnt lgkmcnt(0)
	v_add_u32_e32 v10, v2, v10
	s_or_b64 exec, exec, s[80:81]
	s_and_saveexec_b64 s[80:81], s[62:63]
	s_cbranch_execz .LBB103_47
.LBB103_79:                             ;   in Loop: Header=BB103_45 Depth=1
	v_readlane_b32 s88, v25, 13
	v_mov_b32_e32 v2, s88
	ds_read_b32 v2, v2
	s_waitcnt lgkmcnt(0)
	v_add_u32_e32 v10, v10, v2
	s_or_b64 exec, exec, s[80:81]
	s_and_saveexec_b64 s[80:81], s[0:1]
	s_cbranch_execz .LBB103_48
.LBB103_80:                             ;   in Loop: Header=BB103_45 Depth=1
	v_readlane_b32 s88, v25, 14
	v_mov_b32_e32 v2, s88
	ds_read_b32 v2, v2
	s_waitcnt lgkmcnt(0)
	v_add_u32_e32 v10, v10, v2
	s_or_b64 exec, exec, s[80:81]
	s_and_saveexec_b64 s[80:81], s[2:3]
	s_cbranch_execz .LBB103_49
.LBB103_81:                             ;   in Loop: Header=BB103_45 Depth=1
	v_readlane_b32 s88, v25, 15
	v_mov_b32_e32 v2, s88
	ds_read_b32 v2, v2
	s_waitcnt lgkmcnt(0)
	v_add_u32_e32 v10, v10, v2
	s_or_b64 exec, exec, s[80:81]
	s_and_saveexec_b64 s[80:81], s[4:5]
	s_cbranch_execz .LBB103_50
.LBB103_82:                             ;   in Loop: Header=BB103_45 Depth=1
	v_readlane_b32 s88, v25, 16
	v_mov_b32_e32 v2, s88
	ds_read_b32 v2, v2
	s_waitcnt lgkmcnt(0)
	v_add_u32_e32 v10, v10, v2
	s_or_b64 exec, exec, s[80:81]
	s_and_saveexec_b64 s[80:81], s[6:7]
	s_cbranch_execz .LBB103_51
.LBB103_83:                             ;   in Loop: Header=BB103_45 Depth=1
	v_readlane_b32 s88, v25, 17
	v_mov_b32_e32 v2, s88
	ds_read_b32 v2, v2
	s_waitcnt lgkmcnt(0)
	v_add_u32_e32 v10, v10, v2
	s_or_b64 exec, exec, s[80:81]
	s_and_saveexec_b64 s[80:81], s[8:9]
	s_cbranch_execz .LBB103_52
.LBB103_84:                             ;   in Loop: Header=BB103_45 Depth=1
	v_readlane_b32 s88, v25, 18
	v_mov_b32_e32 v2, s88
	ds_read_b32 v2, v2
	s_waitcnt lgkmcnt(0)
	v_add_u32_e32 v10, v10, v2
	s_or_b64 exec, exec, s[80:81]
	s_and_saveexec_b64 s[80:81], s[10:11]
	s_cbranch_execz .LBB103_53
.LBB103_85:                             ;   in Loop: Header=BB103_45 Depth=1
	v_readlane_b32 s88, v25, 19
	v_mov_b32_e32 v2, s88
	ds_read_b32 v2, v2
	s_waitcnt lgkmcnt(0)
	v_add_u32_e32 v10, v10, v2
	s_or_b64 exec, exec, s[80:81]
	s_and_saveexec_b64 s[80:81], s[12:13]
	s_cbranch_execz .LBB103_54
.LBB103_86:                             ;   in Loop: Header=BB103_45 Depth=1
	v_readlane_b32 s88, v25, 20
	v_mov_b32_e32 v2, s88
	ds_read_b32 v2, v2
	s_waitcnt lgkmcnt(0)
	v_add_u32_e32 v10, v10, v2
	s_or_b64 exec, exec, s[80:81]
	s_and_saveexec_b64 s[80:81], s[14:15]
	s_cbranch_execz .LBB103_55
.LBB103_87:                             ;   in Loop: Header=BB103_45 Depth=1
	v_readlane_b32 s88, v25, 21
	v_mov_b32_e32 v2, s88
	ds_read_b32 v2, v2
	s_waitcnt lgkmcnt(0)
	v_add_u32_e32 v10, v10, v2
	s_or_b64 exec, exec, s[80:81]
	s_and_saveexec_b64 s[80:81], s[16:17]
	s_cbranch_execz .LBB103_56
.LBB103_88:                             ;   in Loop: Header=BB103_45 Depth=1
	v_mov_b32_e32 v2, s90
	ds_read_b32 v2, v2
	s_waitcnt lgkmcnt(0)
	v_add_u32_e32 v10, v10, v2
	s_or_b64 exec, exec, s[80:81]
	s_and_saveexec_b64 s[80:81], s[18:19]
	s_cbranch_execz .LBB103_57
.LBB103_89:                             ;   in Loop: Header=BB103_45 Depth=1
	v_mov_b32_e32 v2, s91
	ds_read_b32 v2, v2
	s_waitcnt lgkmcnt(0)
	v_add_u32_e32 v10, v10, v2
	s_or_b64 exec, exec, s[80:81]
	s_and_saveexec_b64 s[80:81], s[20:21]
	s_cbranch_execz .LBB103_58
.LBB103_90:                             ;   in Loop: Header=BB103_45 Depth=1
	v_mov_b32_e32 v2, s92
	ds_read_b32 v2, v2
	s_waitcnt lgkmcnt(0)
	v_add_u32_e32 v10, v10, v2
	s_or_b64 exec, exec, s[80:81]
	s_and_saveexec_b64 s[80:81], s[22:23]
	s_cbranch_execz .LBB103_59
.LBB103_91:                             ;   in Loop: Header=BB103_45 Depth=1
	v_mov_b32_e32 v2, s93
	ds_read_b32 v2, v2
	s_waitcnt lgkmcnt(0)
	v_add_u32_e32 v10, v10, v2
	s_or_b64 exec, exec, s[80:81]
	s_and_saveexec_b64 s[80:81], s[24:25]
	s_cbranch_execz .LBB103_60
.LBB103_92:                             ;   in Loop: Header=BB103_45 Depth=1
	v_mov_b32_e32 v2, s94
	ds_read_b32 v2, v2
	s_waitcnt lgkmcnt(0)
	v_add_u32_e32 v10, v10, v2
	s_or_b64 exec, exec, s[80:81]
	s_and_saveexec_b64 s[80:81], s[26:27]
	s_cbranch_execz .LBB103_61
.LBB103_93:                             ;   in Loop: Header=BB103_45 Depth=1
	v_mov_b32_e32 v2, s95
	ds_read_b32 v2, v2
	s_waitcnt lgkmcnt(0)
	v_add_u32_e32 v10, v10, v2
	s_or_b64 exec, exec, s[80:81]
	s_and_saveexec_b64 s[80:81], s[28:29]
	s_cbranch_execz .LBB103_62
.LBB103_94:                             ;   in Loop: Header=BB103_45 Depth=1
	v_mov_b32_e32 v2, s74
	ds_read_b32 v2, v2
	s_waitcnt lgkmcnt(0)
	v_add_u32_e32 v10, v10, v2
	s_or_b64 exec, exec, s[80:81]
	s_and_saveexec_b64 s[80:81], s[30:31]
	s_cbranch_execz .LBB103_63
.LBB103_95:                             ;   in Loop: Header=BB103_45 Depth=1
	v_mov_b32_e32 v2, s75
	ds_read_b32 v2, v2
	s_waitcnt lgkmcnt(0)
	v_add_u32_e32 v10, v10, v2
	s_or_b64 exec, exec, s[80:81]
	s_and_saveexec_b64 s[80:81], s[34:35]
	s_cbranch_execz .LBB103_64
.LBB103_96:                             ;   in Loop: Header=BB103_45 Depth=1
	v_mov_b32_e32 v2, s66
	ds_read_b32 v2, v2
	s_waitcnt lgkmcnt(0)
	v_add_u32_e32 v10, v10, v2
	s_or_b64 exec, exec, s[80:81]
	s_and_saveexec_b64 s[80:81], s[36:37]
	s_cbranch_execz .LBB103_65
.LBB103_97:                             ;   in Loop: Header=BB103_45 Depth=1
	v_mov_b32_e32 v2, s76
	ds_read_b32 v2, v2
	s_waitcnt lgkmcnt(0)
	v_add_u32_e32 v10, v10, v2
	s_or_b64 exec, exec, s[80:81]
	s_and_saveexec_b64 s[80:81], s[38:39]
	s_cbranch_execz .LBB103_66
.LBB103_98:                             ;   in Loop: Header=BB103_45 Depth=1
	v_mov_b32_e32 v2, s77
	ds_read_b32 v2, v2
	s_waitcnt lgkmcnt(0)
	v_add_u32_e32 v10, v10, v2
	s_or_b64 exec, exec, s[80:81]
	s_and_saveexec_b64 s[80:81], s[40:41]
	s_cbranch_execz .LBB103_67
.LBB103_99:                             ;   in Loop: Header=BB103_45 Depth=1
	v_mov_b32_e32 v2, s68
	ds_read_b32 v2, v2
	s_waitcnt lgkmcnt(0)
	v_add_u32_e32 v10, v10, v2
	s_or_b64 exec, exec, s[80:81]
	s_and_saveexec_b64 s[80:81], s[42:43]
	s_cbranch_execz .LBB103_68
.LBB103_100:                            ;   in Loop: Header=BB103_45 Depth=1
	v_mov_b32_e32 v2, s69
	ds_read_b32 v2, v2
	s_waitcnt lgkmcnt(0)
	v_add_u32_e32 v10, v10, v2
	s_or_b64 exec, exec, s[80:81]
	s_and_saveexec_b64 s[80:81], s[44:45]
	s_cbranch_execz .LBB103_69
.LBB103_101:                            ;   in Loop: Header=BB103_45 Depth=1
	v_mov_b32_e32 v2, s70
	ds_read_b32 v2, v2
	s_waitcnt lgkmcnt(0)
	v_add_u32_e32 v10, v10, v2
	s_or_b64 exec, exec, s[80:81]
	s_and_saveexec_b64 s[80:81], s[46:47]
	s_cbranch_execz .LBB103_70
.LBB103_102:                            ;   in Loop: Header=BB103_45 Depth=1
	v_mov_b32_e32 v2, s71
	ds_read_b32 v2, v2
	s_waitcnt lgkmcnt(0)
	v_add_u32_e32 v10, v10, v2
	s_or_b64 exec, exec, s[80:81]
	s_and_saveexec_b64 s[80:81], s[48:49]
	s_cbranch_execz .LBB103_71
.LBB103_103:                            ;   in Loop: Header=BB103_45 Depth=1
	v_mov_b32_e32 v2, s33
	ds_read_b32 v2, v2
	s_waitcnt lgkmcnt(0)
	v_add_u32_e32 v10, v10, v2
	s_or_b64 exec, exec, s[80:81]
	s_and_saveexec_b64 s[80:81], s[50:51]
	s_cbranch_execz .LBB103_72
.LBB103_104:                            ;   in Loop: Header=BB103_45 Depth=1
	v_mov_b32_e32 v2, s67
	ds_read_b32 v2, v2
	s_waitcnt lgkmcnt(0)
	v_add_u32_e32 v10, v10, v2
	s_or_b64 exec, exec, s[80:81]
	s_and_saveexec_b64 s[80:81], s[52:53]
	s_cbranch_execz .LBB103_73
.LBB103_105:                            ;   in Loop: Header=BB103_45 Depth=1
	v_mov_b32_e32 v2, s82
	ds_read_b32 v2, v2
	s_waitcnt lgkmcnt(0)
	v_add_u32_e32 v10, v10, v2
	s_or_b64 exec, exec, s[80:81]
	s_and_saveexec_b64 s[80:81], s[54:55]
	s_cbranch_execz .LBB103_74
.LBB103_106:                            ;   in Loop: Header=BB103_45 Depth=1
	v_mov_b32_e32 v2, s83
	ds_read_b32 v2, v2
	s_waitcnt lgkmcnt(0)
	v_add_u32_e32 v10, v10, v2
	s_or_b64 exec, exec, s[80:81]
	s_and_saveexec_b64 s[80:81], s[56:57]
	s_cbranch_execz .LBB103_75
.LBB103_107:                            ;   in Loop: Header=BB103_45 Depth=1
	v_mov_b32_e32 v2, s84
	ds_read_b32 v2, v2
	s_waitcnt lgkmcnt(0)
	v_add_u32_e32 v10, v10, v2
	s_or_b64 exec, exec, s[80:81]
	s_and_saveexec_b64 s[80:81], s[58:59]
	s_cbranch_execz .LBB103_76
.LBB103_108:                            ;   in Loop: Header=BB103_45 Depth=1
	v_mov_b32_e32 v2, s85
	ds_read_b32 v2, v2
	s_waitcnt lgkmcnt(0)
	v_add_u32_e32 v10, v10, v2
	s_or_b64 exec, exec, s[80:81]
	v_ashrrev_i32_e32 v11, 31, v10
	s_and_saveexec_b64 s[80:81], s[64:65]
	s_cbranch_execz .LBB103_77
.LBB103_109:                            ;   in Loop: Header=BB103_45 Depth=1
	v_add3_u32 v2, v6, -1, v10
	v_lshl_add_u32 v16, v2, 3, 0
	v_lshl_add_u32 v2, v2, 2, 0
	v_add_u32_e32 v2, 0x10000, v2
	ds_write_b64 v16, v[8:9]
	ds_write_b32 v2, v15
	s_or_b64 exec, exec, s[80:81]
	s_and_saveexec_b64 s[64:65], vcc
	s_cbranch_execz .LBB103_44
.LBB103_110:                            ;   in Loop: Header=BB103_45 Depth=1
	v_mov_b32_e32 v2, s86
	ds_write_b64 v2, v[10:11]
	s_branch .LBB103_44
.LBB103_111:
	s_or_b64 exec, exec, s[78:79]
	v_readlane_b32 s0, v25, 6
	v_readlane_b32 s1, v25, 7
	s_lshl_b64 s[0:1], s[0:1], 3
	v_readlane_b32 s4, v25, 0
	v_readlane_b32 s5, v25, 1
	s_add_u32 s0, s4, s0
	s_addc_u32 s1, s5, s1
	s_load_dwordx4 s[0:3], s[0:1], 0x0
	v_mov_b32_e32 v1, 0
	v_readlane_b32 s6, v25, 2
	v_readlane_b32 s7, v25, 3
	s_waitcnt lgkmcnt(0)
	s_sub_u32 s4, s2, s0
	s_subb_u32 s5, s3, s1
	v_cmp_gt_i64_e32 vcc, s[4:5], v[0:1]
	s_and_saveexec_b64 s[6:7], vcc
	v_readlane_b32 s16, v25, 8
	v_readlane_b32 s20, v25, 4
	;; [unrolled: 1-line block ×6, first 2 shown]
	s_cbranch_execz .LBB103_121
; %bb.112:
	s_sub_u32 s6, s0, s18
	s_subb_u32 s7, s1, 0
	s_and_b32 s8, s4, 7
	s_sub_u32 s0, s0, s2
	s_mov_b32 s16, 0
	s_subb_u32 s1, s1, s3
	s_mov_b32 s9, s16
	s_and_b32 s2, s4, -8
	v_cmp_lt_u64_e64 s[0:1], s[0:1], -7
	s_cmp_lg_u64 s[8:9], 0
	v_cndmask_b32_e64 v2, 0, 1, s[0:1]
	s_mov_b32 s3, s5
	s_mov_b64 s[10:11], 0
	s_cselect_b64 s[12:13], -1, 0
	v_cmp_ne_u32_e64 s[0:1], 1, v2
	s_branch .LBB103_114
.LBB103_113:                            ;   in Loop: Header=BB103_114 Depth=1
	v_readlane_b32 s24, v25, 0
	v_mov_b32_e32 v7, s16
	s_waitcnt lgkmcnt(1)
	v_add_co_u32_e32 v2, vcc, s18, v2
	v_readlane_b32 s26, v25, 2
	v_readlane_b32 s27, v25, 3
	v_addc_co_u32_e32 v3, vcc, v3, v7, vcc
	v_lshlrev_b64 v[8:9], 3, v[4:5]
	s_mov_b64 s[14:15], s[26:27]
	v_mov_b32_e32 v7, s15
	v_add_co_u32_e32 v8, vcc, s14, v8
	v_addc_co_u32_e32 v9, vcc, v7, v9, vcc
	global_store_dwordx2 v[8:9], v[2:3], off
	v_lshlrev_b64 v[2:3], 2, v[4:5]
	v_mov_b32_e32 v4, s21
	v_add_co_u32_e32 v2, vcc, s20, v2
	v_addc_co_u32_e32 v3, vcc, v4, v3, vcc
	v_add_co_u32_e32 v0, vcc, 0x400, v0
	v_addc_co_u32_e32 v1, vcc, 0, v1, vcc
	v_cmp_le_i64_e32 vcc, s[4:5], v[0:1]
	s_or_b64 s[10:11], vcc, s[10:11]
	v_readlane_b32 s25, v25, 1
	s_waitcnt lgkmcnt(0)
	global_store_dword v[2:3], v6, off
	s_andn2_b64 exec, exec, s[10:11]
	s_cbranch_execz .LBB103_121
.LBB103_114:                            ; =>This Loop Header: Depth=1
                                        ;     Child Loop BB103_116 Depth 2
                                        ;     Child Loop BB103_120 Depth 2
	v_lshl_add_u32 v2, v0, 3, 0
	v_lshl_add_u32 v3, v0, 2, 0
	v_add_u32_e32 v4, 0x10000, v3
	ds_read_b64 v[2:3], v2
	ds_read_b32 v6, v4
	s_and_b64 vcc, exec, s[0:1]
	v_pk_mov_b32 v[4:5], s[6:7], s[6:7] op_sel:[0,1]
	s_mov_b64 s[14:15], 0
	s_cbranch_vccnz .LBB103_118
; %bb.115:                              ;   in Loop: Header=BB103_114 Depth=1
	s_mov_b32 s17, 0
	v_pk_mov_b32 v[4:5], s[6:7], s[6:7] op_sel:[0,1]
.LBB103_116:                            ;   Parent Loop BB103_114 Depth=1
                                        ; =>  This Inner Loop Header: Depth=2
	v_mov_b32_e32 v7, s17
	ds_read2_b64 v[8:11], v7 offset1:1
	ds_read2_b64 v[12:15], v7 offset0:2 offset1:3
	ds_read2_b64 v[16:19], v7 offset0:4 offset1:5
	;; [unrolled: 1-line block ×3, first 2 shown]
	s_add_u32 s14, s14, 8
	s_waitcnt lgkmcnt(3)
	v_cmp_gt_i64_e32 vcc, v[2:3], v[8:9]
	v_cndmask_b32_e64 v7, 0, 1, vcc
	v_cmp_gt_i64_e32 vcc, v[2:3], v[10:11]
	v_cndmask_b32_e64 v8, 0, 1, vcc
	s_waitcnt lgkmcnt(2)
	v_cmp_gt_i64_e32 vcc, v[2:3], v[12:13]
	v_cndmask_b32_e64 v9, 0, 1, vcc
	v_cmp_gt_i64_e32 vcc, v[2:3], v[14:15]
	v_cndmask_b32_e64 v10, 0, 1, vcc
	;; [unrolled: 5-line block ×4, first 2 shown]
	v_add_co_u32_e32 v4, vcc, v4, v7
	v_addc_co_u32_e32 v5, vcc, 0, v5, vcc
	v_add_co_u32_e32 v4, vcc, v4, v8
	v_addc_co_u32_e32 v5, vcc, 0, v5, vcc
	;; [unrolled: 2-line block ×7, first 2 shown]
	s_addc_u32 s15, s15, 0
	s_add_i32 s17, s17, 64
	v_add_co_u32_e32 v4, vcc, v4, v14
	s_cmp_eq_u64 s[2:3], s[14:15]
	v_addc_co_u32_e32 v5, vcc, 0, v5, vcc
	s_cbranch_scc0 .LBB103_116
; %bb.117:                              ;   in Loop: Header=BB103_114 Depth=1
	s_mov_b64 s[14:15], s[2:3]
.LBB103_118:                            ;   in Loop: Header=BB103_114 Depth=1
	s_andn2_b64 vcc, exec, s[12:13]
	s_cbranch_vccnz .LBB103_113
; %bb.119:                              ;   in Loop: Header=BB103_114 Depth=1
	s_lshl_b32 s14, s14, 3
	s_add_i32 s17, s14, 0
	s_mov_b64 s[14:15], s[8:9]
.LBB103_120:                            ;   Parent Loop BB103_114 Depth=1
                                        ; =>  This Inner Loop Header: Depth=2
	v_mov_b32_e32 v7, s17
	ds_read_b64 v[8:9], v7
	s_add_i32 s17, s17, 8
	s_add_u32 s14, s14, -1
	s_addc_u32 s15, s15, -1
	s_cmp_lg_u64 s[14:15], 0
	s_waitcnt lgkmcnt(0)
	v_cmp_gt_i64_e32 vcc, v[2:3], v[8:9]
	v_cndmask_b32_e64 v7, 0, 1, vcc
	v_add_co_u32_e32 v4, vcc, v4, v7
	v_addc_co_u32_e32 v5, vcc, 0, v5, vcc
	s_cbranch_scc1 .LBB103_120
	s_branch .LBB103_113
.LBB103_121:
	s_endpgm
	.section	.rodata,"a",@progbits
	.p2align	6, 0x0
	.amdhsa_kernel _ZN9rocsparseL26csrgemm_fill_block_per_rowILj1024ELj64ELj8192ELj137ELj32EllfEEvT5_PKS1_S3_NS_24const_host_device_scalarIT6_EEPKT4_S3_PKS5_S9_S3_SB_S6_S9_S3_SB_S9_PS1_PS5_21rocsparse_index_base_SE_SE_SE_bbb
		.amdhsa_group_segment_fixed_size 0
		.amdhsa_private_segment_fixed_size 0
		.amdhsa_kernarg_size 156
		.amdhsa_user_sgpr_count 6
		.amdhsa_user_sgpr_private_segment_buffer 1
		.amdhsa_user_sgpr_dispatch_ptr 0
		.amdhsa_user_sgpr_queue_ptr 0
		.amdhsa_user_sgpr_kernarg_segment_ptr 1
		.amdhsa_user_sgpr_dispatch_id 0
		.amdhsa_user_sgpr_flat_scratch_init 0
		.amdhsa_user_sgpr_kernarg_preload_length 0
		.amdhsa_user_sgpr_kernarg_preload_offset 0
		.amdhsa_user_sgpr_private_segment_size 0
		.amdhsa_uses_dynamic_stack 0
		.amdhsa_system_sgpr_private_segment_wavefront_offset 0
		.amdhsa_system_sgpr_workgroup_id_x 1
		.amdhsa_system_sgpr_workgroup_id_y 0
		.amdhsa_system_sgpr_workgroup_id_z 0
		.amdhsa_system_sgpr_workgroup_info 0
		.amdhsa_system_vgpr_workitem_id 0
		.amdhsa_next_free_vgpr 26
		.amdhsa_next_free_sgpr 96
		.amdhsa_accum_offset 28
		.amdhsa_reserve_vcc 1
		.amdhsa_reserve_flat_scratch 0
		.amdhsa_float_round_mode_32 0
		.amdhsa_float_round_mode_16_64 0
		.amdhsa_float_denorm_mode_32 3
		.amdhsa_float_denorm_mode_16_64 3
		.amdhsa_dx10_clamp 1
		.amdhsa_ieee_mode 1
		.amdhsa_fp16_overflow 0
		.amdhsa_tg_split 0
		.amdhsa_exception_fp_ieee_invalid_op 0
		.amdhsa_exception_fp_denorm_src 0
		.amdhsa_exception_fp_ieee_div_zero 0
		.amdhsa_exception_fp_ieee_overflow 0
		.amdhsa_exception_fp_ieee_underflow 0
		.amdhsa_exception_fp_ieee_inexact 0
		.amdhsa_exception_int_div_zero 0
	.end_amdhsa_kernel
	.section	.text._ZN9rocsparseL26csrgemm_fill_block_per_rowILj1024ELj64ELj8192ELj137ELj32EllfEEvT5_PKS1_S3_NS_24const_host_device_scalarIT6_EEPKT4_S3_PKS5_S9_S3_SB_S6_S9_S3_SB_S9_PS1_PS5_21rocsparse_index_base_SE_SE_SE_bbb,"axG",@progbits,_ZN9rocsparseL26csrgemm_fill_block_per_rowILj1024ELj64ELj8192ELj137ELj32EllfEEvT5_PKS1_S3_NS_24const_host_device_scalarIT6_EEPKT4_S3_PKS5_S9_S3_SB_S6_S9_S3_SB_S9_PS1_PS5_21rocsparse_index_base_SE_SE_SE_bbb,comdat
.Lfunc_end103:
	.size	_ZN9rocsparseL26csrgemm_fill_block_per_rowILj1024ELj64ELj8192ELj137ELj32EllfEEvT5_PKS1_S3_NS_24const_host_device_scalarIT6_EEPKT4_S3_PKS5_S9_S3_SB_S6_S9_S3_SB_S9_PS1_PS5_21rocsparse_index_base_SE_SE_SE_bbb, .Lfunc_end103-_ZN9rocsparseL26csrgemm_fill_block_per_rowILj1024ELj64ELj8192ELj137ELj32EllfEEvT5_PKS1_S3_NS_24const_host_device_scalarIT6_EEPKT4_S3_PKS5_S9_S3_SB_S6_S9_S3_SB_S9_PS1_PS5_21rocsparse_index_base_SE_SE_SE_bbb
                                        ; -- End function
	.section	.AMDGPU.csdata,"",@progbits
; Kernel info:
; codeLenInByte = 4904
; NumSgprs: 100
; NumVgprs: 26
; NumAgprs: 0
; TotalNumVgprs: 26
; ScratchSize: 0
; MemoryBound: 0
; FloatMode: 240
; IeeeMode: 1
; LDSByteSize: 0 bytes/workgroup (compile time only)
; SGPRBlocks: 12
; VGPRBlocks: 3
; NumSGPRsForWavesPerEU: 100
; NumVGPRsForWavesPerEU: 26
; AccumOffset: 28
; Occupancy: 8
; WaveLimiterHint : 1
; COMPUTE_PGM_RSRC2:SCRATCH_EN: 0
; COMPUTE_PGM_RSRC2:USER_SGPR: 6
; COMPUTE_PGM_RSRC2:TRAP_HANDLER: 0
; COMPUTE_PGM_RSRC2:TGID_X_EN: 1
; COMPUTE_PGM_RSRC2:TGID_Y_EN: 0
; COMPUTE_PGM_RSRC2:TGID_Z_EN: 0
; COMPUTE_PGM_RSRC2:TIDIG_COMP_CNT: 0
; COMPUTE_PGM_RSRC3_GFX90A:ACCUM_OFFSET: 6
; COMPUTE_PGM_RSRC3_GFX90A:TG_SPLIT: 0
	.section	.text._ZN9rocsparseL26csrgemm_fill_block_per_rowILj1024ELj64ELj8192ELj137ELj64EllfEEvT5_PKS1_S3_NS_24const_host_device_scalarIT6_EEPKT4_S3_PKS5_S9_S3_SB_S6_S9_S3_SB_S9_PS1_PS5_21rocsparse_index_base_SE_SE_SE_bbb,"axG",@progbits,_ZN9rocsparseL26csrgemm_fill_block_per_rowILj1024ELj64ELj8192ELj137ELj64EllfEEvT5_PKS1_S3_NS_24const_host_device_scalarIT6_EEPKT4_S3_PKS5_S9_S3_SB_S6_S9_S3_SB_S9_PS1_PS5_21rocsparse_index_base_SE_SE_SE_bbb,comdat
	.globl	_ZN9rocsparseL26csrgemm_fill_block_per_rowILj1024ELj64ELj8192ELj137ELj64EllfEEvT5_PKS1_S3_NS_24const_host_device_scalarIT6_EEPKT4_S3_PKS5_S9_S3_SB_S6_S9_S3_SB_S9_PS1_PS5_21rocsparse_index_base_SE_SE_SE_bbb ; -- Begin function _ZN9rocsparseL26csrgemm_fill_block_per_rowILj1024ELj64ELj8192ELj137ELj64EllfEEvT5_PKS1_S3_NS_24const_host_device_scalarIT6_EEPKT4_S3_PKS5_S9_S3_SB_S6_S9_S3_SB_S9_PS1_PS5_21rocsparse_index_base_SE_SE_SE_bbb
	.p2align	8
	.type	_ZN9rocsparseL26csrgemm_fill_block_per_rowILj1024ELj64ELj8192ELj137ELj64EllfEEvT5_PKS1_S3_NS_24const_host_device_scalarIT6_EEPKT4_S3_PKS5_S9_S3_SB_S6_S9_S3_SB_S9_PS1_PS5_21rocsparse_index_base_SE_SE_SE_bbb,@function
_ZN9rocsparseL26csrgemm_fill_block_per_rowILj1024ELj64ELj8192ELj137ELj64EllfEEvT5_PKS1_S3_NS_24const_host_device_scalarIT6_EEPKT4_S3_PKS5_S9_S3_SB_S6_S9_S3_SB_S9_PS1_PS5_21rocsparse_index_base_SE_SE_SE_bbb: ; @_ZN9rocsparseL26csrgemm_fill_block_per_rowILj1024ELj64ELj8192ELj137ELj64EllfEEvT5_PKS1_S3_NS_24const_host_device_scalarIT6_EEPKT4_S3_PKS5_S9_S3_SB_S6_S9_S3_SB_S9_PS1_PS5_21rocsparse_index_base_SE_SE_SE_bbb
; %bb.0:
	s_load_dword s7, s[4:5], 0x98
	s_load_dwordx4 s[8:11], s[4:5], 0x8
	s_load_dwordx2 s[0:1], s[4:5], 0x18
	s_load_dwordx4 s[36:39], s[4:5], 0x88
	s_load_dwordx2 s[12:13], s[4:5], 0x50
	s_waitcnt lgkmcnt(0)
	s_bitcmp1_b32 s7, 0
	s_cselect_b64 s[2:3], -1, 0
	s_bitcmp1_b32 s7, 16
	s_cselect_b64 s[14:15], -1, 0
	s_xor_b64 s[16:17], s[2:3], -1
	s_or_b64 s[16:17], s[16:17], s[14:15]
	s_and_b64 vcc, exec, s[16:17]
	s_cbranch_vccnz .LBB104_2
; %bb.1:
	s_load_dword s0, s[0:1], 0x0
	s_waitcnt lgkmcnt(0)
	v_mov_b32_e32 v16, s0
	s_branch .LBB104_3
.LBB104_2:
	v_mov_b32_e32 v1, s0
	v_cndmask_b32_e64 v16, 0, v1, s[2:3]
.LBB104_3:
	s_bitcmp1_b32 s7, 8
	s_cselect_b64 s[0:1], -1, 0
	s_xor_b64 s[16:17], s[0:1], -1
	s_or_b64 s[14:15], s[16:17], s[14:15]
	s_and_b64 vcc, exec, s[14:15]
	s_cbranch_vccnz .LBB104_5
; %bb.4:
	s_load_dword s7, s[12:13], 0x0
	s_waitcnt lgkmcnt(0)
	v_mov_b32_e32 v14, s7
	s_branch .LBB104_6
.LBB104_5:
	v_mov_b32_e32 v1, s12
	v_cndmask_b32_e64 v14, 0, v1, s[0:1]
.LBB104_6:
	s_load_dwordx2 s[34:35], s[4:5], 0x0
	v_lshl_add_u32 v1, v0, 3, 0
	v_lshl_add_u32 v11, v0, 2, 0
	v_mov_b32_e32 v6, 0
	v_add_u32_e32 v7, 0x10000, v11
	s_waitcnt lgkmcnt(0)
	v_pk_mov_b32 v[2:3], s[34:35], s[34:35] op_sel:[0,1]
	v_pk_mov_b32 v[4:5], s[34:35], s[34:35] op_sel:[0,1]
	ds_write2st64_b64 v1, v[2:3], v[4:5] offset1:16
	ds_write2st64_b32 v7, v6, v6 offset1:16
	ds_write2st64_b64 v1, v[2:3], v[4:5] offset0:32 offset1:48
	ds_write2st64_b32 v7, v6, v6 offset0:32 offset1:48
	ds_write2st64_b64 v1, v[2:3], v[4:5] offset0:64 offset1:80
	ds_write2st64_b32 v7, v6, v6 offset0:64 offset1:80
	;; [unrolled: 2-line block ×3, first 2 shown]
	s_waitcnt lgkmcnt(0)
	s_barrier
	s_load_dwordx2 s[8:9], s[8:9], 0x0
	s_mov_b32 s7, 0
	v_lshrrev_b32_e32 v15, 6, v0
	s_waitcnt lgkmcnt(0)
	s_lshl_b64 s[8:9], s[8:9], 3
	s_add_u32 s10, s10, s8
	s_addc_u32 s11, s11, s9
	s_lshl_b64 s[8:9], s[6:7], 3
	s_add_u32 s8, s10, s8
	s_addc_u32 s9, s11, s9
	s_load_dwordx2 s[44:45], s[8:9], 0x0
	s_andn2_b64 vcc, exec, s[2:3]
	s_cbranch_vccnz .LBB104_26
; %bb.7:
	s_load_dwordx2 s[2:3], s[4:5], 0x20
	s_waitcnt lgkmcnt(0)
	s_lshl_b64 s[8:9], s[44:45], 3
	v_subrev_co_u32_e32 v2, vcc, s36, v15
	s_add_u32 s2, s2, s8
	s_addc_u32 s3, s3, s9
	s_load_dwordx4 s[8:11], s[2:3], 0x0
	v_subb_co_u32_e64 v3, s[2:3], 0, 0, vcc
	s_waitcnt lgkmcnt(0)
	s_sub_u32 s2, s10, s36
	v_mov_b32_e32 v4, s9
	v_add_co_u32_e32 v2, vcc, s8, v2
	s_subb_u32 s3, s11, 0
	v_addc_co_u32_e32 v3, vcc, v4, v3, vcc
	v_cmp_gt_i64_e32 vcc, s[2:3], v[2:3]
	s_and_saveexec_b64 s[16:17], vcc
	s_cbranch_execz .LBB104_25
; %bb.8:
	s_load_dwordx2 s[18:19], s[4:5], 0x48
	s_load_dwordx8 s[8:15], s[4:5], 0x28
	v_and_b32_e32 v4, 63, v0
	v_subrev_co_u32_e32 v17, vcc, s37, v4
	s_mov_b32 s6, 0
	v_subb_co_u32_e64 v18, s[20:21], 0, 0, vcc
	s_mov_b32 s33, s36
	s_mov_b32 s42, s37
	s_mov_b64 s[20:21], 0
	s_waitcnt lgkmcnt(0)
	v_mov_b32_e32 v19, s9
	v_mov_b32_e32 v20, s7
	;; [unrolled: 1-line block ×4, first 2 shown]
	s_movk_i32 s9, 0x89
	s_branch .LBB104_10
.LBB104_9:                              ;   in Loop: Header=BB104_10 Depth=1
	s_or_b64 exec, exec, s[6:7]
	v_add_co_u32_e32 v2, vcc, 16, v2
	v_addc_co_u32_e32 v3, vcc, 0, v3, vcc
	v_cmp_le_i64_e32 vcc, s[2:3], v[2:3]
	s_or_b64 s[20:21], vcc, s[20:21]
	s_andn2_b64 exec, exec, s[20:21]
	s_cbranch_execz .LBB104_25
.LBB104_10:                             ; =>This Loop Header: Depth=1
                                        ;     Child Loop BB104_13 Depth 2
                                        ;       Child Loop BB104_15 Depth 3
	v_lshlrev_b64 v[4:5], 3, v[2:3]
	v_add_co_u32_e32 v4, vcc, s8, v4
	v_addc_co_u32_e32 v5, vcc, v19, v5, vcc
	global_load_dwordx2 v[4:5], v[4:5], off
	s_waitcnt vmcnt(0)
	v_subrev_co_u32_e32 v4, vcc, s33, v4
	v_subb_co_u32_e32 v5, vcc, v5, v20, vcc
	v_lshlrev_b64 v[4:5], 3, v[4:5]
	v_add_co_u32_e32 v4, vcc, s12, v4
	v_addc_co_u32_e32 v5, vcc, v21, v5, vcc
	global_load_dwordx4 v[6:9], v[4:5], off
	s_waitcnt vmcnt(0)
	v_subrev_co_u32_e32 v4, vcc, s42, v8
	v_subb_co_u32_e32 v5, vcc, v9, v22, vcc
	v_add_co_u32_e32 v6, vcc, v6, v17
	v_addc_co_u32_e32 v7, vcc, v7, v18, vcc
	v_cmp_lt_i64_e32 vcc, v[6:7], v[4:5]
	s_and_saveexec_b64 s[6:7], vcc
	s_cbranch_execz .LBB104_9
; %bb.11:                               ;   in Loop: Header=BB104_10 Depth=1
	v_lshlrev_b64 v[8:9], 2, v[2:3]
	v_mov_b32_e32 v10, s11
	v_add_co_u32_e32 v8, vcc, s10, v8
	v_addc_co_u32_e32 v9, vcc, v10, v9, vcc
	global_load_dword v8, v[8:9], off
	s_mov_b64 s[22:23], 0
	s_waitcnt vmcnt(0)
	v_mul_f32_e32 v23, v16, v8
	s_branch .LBB104_13
.LBB104_12:                             ;   in Loop: Header=BB104_13 Depth=2
	s_or_b64 exec, exec, s[24:25]
	v_add_co_u32_e32 v6, vcc, 64, v6
	v_addc_co_u32_e32 v7, vcc, 0, v7, vcc
	v_cmp_ge_i64_e32 vcc, v[6:7], v[4:5]
	s_or_b64 s[22:23], vcc, s[22:23]
	s_andn2_b64 exec, exec, s[22:23]
	s_cbranch_execz .LBB104_9
.LBB104_13:                             ;   Parent Loop BB104_10 Depth=1
                                        ; =>  This Loop Header: Depth=2
                                        ;       Child Loop BB104_15 Depth 3
	v_lshlrev_b64 v[8:9], 3, v[6:7]
	v_mov_b32_e32 v10, s15
	v_add_co_u32_e32 v8, vcc, s14, v8
	v_addc_co_u32_e32 v9, vcc, v10, v9, vcc
	v_lshlrev_b64 v[12:13], 2, v[6:7]
	v_mov_b32_e32 v10, s19
	v_add_co_u32_e32 v12, vcc, s18, v12
	global_load_dwordx2 v[8:9], v[8:9], off
	v_addc_co_u32_e32 v13, vcc, v10, v13, vcc
	global_load_dword v10, v[12:13], off
	s_mov_b64 s[24:25], 0
	s_waitcnt vmcnt(1)
	v_subrev_co_u32_e32 v8, vcc, s42, v8
	v_subb_co_u32_e32 v9, vcc, v9, v22, vcc
	s_waitcnt vmcnt(0)
	v_mul_f32_e32 v24, v23, v10
	v_mul_lo_u32 v10, v8, s9
	v_and_b32_e32 v10, 0x1fff, v10
	s_branch .LBB104_15
.LBB104_14:                             ;   in Loop: Header=BB104_15 Depth=3
	s_or_b64 exec, exec, s[26:27]
	s_xor_b64 s[26:27], s[28:29], -1
	s_and_b64 s[26:27], exec, s[26:27]
	s_or_b64 s[24:25], s[26:27], s[24:25]
	s_andn2_b64 exec, exec, s[24:25]
	s_cbranch_execz .LBB104_12
.LBB104_15:                             ;   Parent Loop BB104_10 Depth=1
                                        ;     Parent Loop BB104_13 Depth=2
                                        ; =>    This Inner Loop Header: Depth=3
	v_lshl_add_u32 v25, v10, 3, 0
	ds_read_b64 v[12:13], v25
                                        ; implicit-def: $sgpr28_sgpr29
	s_waitcnt lgkmcnt(0)
	v_cmp_ne_u64_e32 vcc, v[12:13], v[8:9]
	s_and_saveexec_b64 s[26:27], vcc
	s_xor_b64 s[26:27], exec, s[26:27]
	s_cbranch_execz .LBB104_23
; %bb.16:                               ;   in Loop: Header=BB104_15 Depth=3
	v_cmp_ne_u64_e32 vcc, s[34:35], v[12:13]
                                        ; implicit-def: $sgpr28_sgpr29
	s_and_saveexec_b64 s[30:31], vcc
	s_xor_b64 s[30:31], exec, s[30:31]
; %bb.17:                               ;   in Loop: Header=BB104_15 Depth=3
	v_add_u32_e32 v10, 1, v10
	v_and_b32_e32 v10, 0x1fff, v10
	s_mov_b64 s[28:29], -1
                                        ; implicit-def: $vgpr25
; %bb.18:                               ;   in Loop: Header=BB104_15 Depth=3
	s_andn2_saveexec_b64 s[30:31], s[30:31]
	s_cbranch_execz .LBB104_22
; %bb.19:                               ;   in Loop: Header=BB104_15 Depth=3
	v_pk_mov_b32 v[12:13], s[34:35], s[34:35] op_sel:[0,1]
	ds_cmpst_rtn_b64 v[12:13], v25, v[12:13], v[8:9]
	s_mov_b64 s[36:37], -1
	s_waitcnt lgkmcnt(0)
	v_cmp_eq_u64_e32 vcc, s[34:35], v[12:13]
	s_and_saveexec_b64 s[40:41], vcc
	s_cbranch_execz .LBB104_21
; %bb.20:                               ;   in Loop: Header=BB104_15 Depth=3
	v_lshl_add_u32 v12, v10, 2, 0
	v_add_u32_e32 v12, 0x10000, v12
	ds_add_f32 v12, v24
	s_xor_b64 s[36:37], exec, -1
.LBB104_21:                             ;   in Loop: Header=BB104_15 Depth=3
	s_or_b64 exec, exec, s[40:41]
	s_andn2_b64 s[28:29], s[28:29], exec
	s_and_b64 s[36:37], s[36:37], exec
	s_or_b64 s[28:29], s[28:29], s[36:37]
.LBB104_22:                             ;   in Loop: Header=BB104_15 Depth=3
	s_or_b64 exec, exec, s[30:31]
	s_and_b64 s[28:29], s[28:29], exec
.LBB104_23:                             ;   in Loop: Header=BB104_15 Depth=3
	s_andn2_saveexec_b64 s[26:27], s[26:27]
	s_cbranch_execz .LBB104_14
; %bb.24:                               ;   in Loop: Header=BB104_15 Depth=3
	v_lshl_add_u32 v12, v10, 2, 0
	v_add_u32_e32 v12, 0x10000, v12
	ds_add_f32 v12, v24
	s_andn2_b64 s[28:29], s[28:29], exec
	s_branch .LBB104_14
.LBB104_25:
	s_or_b64 exec, exec, s[16:17]
.LBB104_26:
	s_load_dwordx2 s[36:37], s[4:5], 0x80
	s_load_dwordx4 s[40:43], s[4:5], 0x70
	s_andn2_b64 vcc, exec, s[0:1]
	s_cbranch_vccnz .LBB104_43
; %bb.27:
	s_load_dwordx2 s[0:1], s[4:5], 0x58
	s_waitcnt lgkmcnt(0)
	s_lshl_b64 s[2:3], s[44:45], 3
	v_subrev_co_u32_e32 v2, vcc, s39, v0
	v_subb_co_u32_e64 v3, s[6:7], 0, 0, vcc
	s_add_u32 s0, s0, s2
	s_addc_u32 s1, s1, s3
	s_load_dwordx4 s[0:3], s[0:1], 0x0
	s_mov_b32 s10, 0
	s_waitcnt lgkmcnt(0)
	s_sub_u32 s6, s2, s39
	v_mov_b32_e32 v4, s1
	v_add_co_u32_e32 v2, vcc, s0, v2
	s_subb_u32 s7, s3, 0
	v_addc_co_u32_e32 v3, vcc, v4, v3, vcc
	v_cmp_gt_i64_e32 vcc, s[6:7], v[2:3]
	s_and_saveexec_b64 s[8:9], vcc
	s_cbranch_execz .LBB104_42
; %bb.28:
	s_load_dwordx4 s[0:3], s[4:5], 0x60
	s_mov_b32 s22, s39
	s_mov_b64 s[4:5], 0
	v_mov_b32_e32 v7, s10
	s_waitcnt lgkmcnt(0)
	v_mov_b32_e32 v10, s1
	v_mov_b32_e32 v12, s3
	s_movk_i32 s1, 0x89
	s_branch .LBB104_30
.LBB104_29:                             ;   in Loop: Header=BB104_30 Depth=1
	s_or_b64 exec, exec, s[10:11]
	v_add_co_u32_e32 v2, vcc, 0x400, v2
	v_addc_co_u32_e32 v3, vcc, 0, v3, vcc
	v_cmp_le_i64_e32 vcc, s[6:7], v[2:3]
	s_or_b64 s[4:5], vcc, s[4:5]
	s_andn2_b64 exec, exec, s[4:5]
	s_cbranch_execz .LBB104_42
.LBB104_30:                             ; =>This Loop Header: Depth=1
                                        ;     Child Loop BB104_32 Depth 2
	v_lshlrev_b64 v[4:5], 3, v[2:3]
	v_add_co_u32_e32 v4, vcc, s0, v4
	v_addc_co_u32_e32 v5, vcc, v10, v5, vcc
	v_lshlrev_b64 v[8:9], 2, v[2:3]
	v_add_co_u32_e32 v8, vcc, s2, v8
	global_load_dwordx2 v[4:5], v[4:5], off
	v_addc_co_u32_e32 v9, vcc, v12, v9, vcc
	global_load_dword v6, v[8:9], off
	s_mov_b64 s[10:11], 0
	s_waitcnt vmcnt(1)
	v_subrev_co_u32_e32 v4, vcc, s22, v4
	v_subb_co_u32_e32 v5, vcc, v5, v7, vcc
	s_waitcnt vmcnt(0)
	v_mul_f32_e32 v13, v14, v6
	v_mul_lo_u32 v6, v4, s1
	v_and_b32_e32 v6, 0x1fff, v6
	s_branch .LBB104_32
.LBB104_31:                             ;   in Loop: Header=BB104_32 Depth=2
	s_or_b64 exec, exec, s[12:13]
	s_xor_b64 s[12:13], s[14:15], -1
	s_and_b64 s[12:13], exec, s[12:13]
	s_or_b64 s[10:11], s[12:13], s[10:11]
	s_andn2_b64 exec, exec, s[10:11]
	s_cbranch_execz .LBB104_29
.LBB104_32:                             ;   Parent Loop BB104_30 Depth=1
                                        ; =>  This Inner Loop Header: Depth=2
	v_lshl_add_u32 v16, v6, 3, 0
	ds_read_b64 v[8:9], v16
                                        ; implicit-def: $sgpr14_sgpr15
	s_waitcnt lgkmcnt(0)
	v_cmp_ne_u64_e32 vcc, v[8:9], v[4:5]
	s_and_saveexec_b64 s[12:13], vcc
	s_xor_b64 s[12:13], exec, s[12:13]
	s_cbranch_execz .LBB104_40
; %bb.33:                               ;   in Loop: Header=BB104_32 Depth=2
	v_cmp_ne_u64_e32 vcc, s[34:35], v[8:9]
                                        ; implicit-def: $sgpr14_sgpr15
	s_and_saveexec_b64 s[16:17], vcc
	s_xor_b64 s[16:17], exec, s[16:17]
; %bb.34:                               ;   in Loop: Header=BB104_32 Depth=2
	v_add_u32_e32 v6, 1, v6
	v_and_b32_e32 v6, 0x1fff, v6
	s_mov_b64 s[14:15], -1
                                        ; implicit-def: $vgpr16
; %bb.35:                               ;   in Loop: Header=BB104_32 Depth=2
	s_andn2_saveexec_b64 s[16:17], s[16:17]
	s_cbranch_execz .LBB104_39
; %bb.36:                               ;   in Loop: Header=BB104_32 Depth=2
	v_pk_mov_b32 v[8:9], s[34:35], s[34:35] op_sel:[0,1]
	ds_cmpst_rtn_b64 v[8:9], v16, v[8:9], v[4:5]
	s_mov_b64 s[18:19], -1
	s_waitcnt lgkmcnt(0)
	v_cmp_eq_u64_e32 vcc, s[34:35], v[8:9]
	s_and_saveexec_b64 s[20:21], vcc
	s_cbranch_execz .LBB104_38
; %bb.37:                               ;   in Loop: Header=BB104_32 Depth=2
	v_lshl_add_u32 v8, v6, 2, 0
	v_add_u32_e32 v8, 0x10000, v8
	ds_add_f32 v8, v13
	s_xor_b64 s[18:19], exec, -1
.LBB104_38:                             ;   in Loop: Header=BB104_32 Depth=2
	s_or_b64 exec, exec, s[20:21]
	s_andn2_b64 s[14:15], s[14:15], exec
	s_and_b64 s[18:19], s[18:19], exec
	s_or_b64 s[14:15], s[14:15], s[18:19]
.LBB104_39:                             ;   in Loop: Header=BB104_32 Depth=2
	s_or_b64 exec, exec, s[16:17]
	s_and_b64 s[14:15], s[14:15], exec
.LBB104_40:                             ;   in Loop: Header=BB104_32 Depth=2
	s_andn2_saveexec_b64 s[12:13], s[12:13]
	s_cbranch_execz .LBB104_31
; %bb.41:                               ;   in Loop: Header=BB104_32 Depth=2
	v_lshl_add_u32 v8, v6, 2, 0
	v_add_u32_e32 v8, 0x10000, v8
	ds_add_f32 v8, v13
	s_andn2_b64 s[14:15], s[14:15], exec
	s_branch .LBB104_31
.LBB104_42:
	s_or_b64 exec, exec, s[8:9]
.LBB104_43:
	v_mbcnt_lo_u32_b32 v2, -1, 0
	v_mbcnt_hi_u32_b32 v2, -1, v2
	v_sub_u32_e32 v2, 63, v2
	s_add_i32 s33, 0, 0x18000
	s_movk_i32 s0, 0x3ff
	s_movk_i32 s2, 0x7f
	;; [unrolled: 1-line block ×15, first 2 shown]
	s_add_i32 s63, 0, 0x18078
	v_mov_b32_e32 v3, 0
	v_lshrrev_b64 v[4:5], v2, -1
	v_lshl_add_u32 v12, v15, 3, s33
	v_cmp_eq_u32_e32 vcc, s0, v0
	v_cmp_lt_u32_e64 s[0:1], 63, v0
	v_cmp_lt_u32_e64 s[2:3], s2, v0
	;; [unrolled: 1-line block ×15, first 2 shown]
	v_or_b32_e32 v13, 0xfffffc00, v0
	v_add_u32_e32 v14, 0x10000, v11
	s_mov_b64 s[46:47], 0
	v_pk_mov_b32 v[6:7], 0, 0
	s_add_i32 s39, 0, 0x18008
	s_add_i32 s50, 0, 0x18010
	;; [unrolled: 1-line block ×14, first 2 shown]
	v_mov_b32_e32 v15, s63
	s_movk_i32 s64, 0x1bff
	s_waitcnt lgkmcnt(0)
	s_barrier
	s_branch .LBB104_45
.LBB104_44:                             ;   in Loop: Header=BB104_45 Depth=1
	s_or_b64 exec, exec, s[30:31]
	s_waitcnt lgkmcnt(0)
	s_barrier
	ds_read_b64 v[8:9], v15
	v_add_u32_e32 v13, 0x400, v13
	v_add_u32_e32 v14, 0x1000, v14
	;; [unrolled: 1-line block ×3, first 2 shown]
	s_waitcnt lgkmcnt(0)
	v_add_co_u32_e64 v6, s[30:31], v8, v6
	v_addc_co_u32_e64 v7, s[30:31], v9, v7, s[30:31]
	v_cmp_lt_u32_e64 s[30:31], s64, v13
	s_or_b64 s[46:47], s[30:31], s[46:47]
	s_andn2_b64 exec, exec, s[46:47]
	s_cbranch_execz .LBB104_79
.LBB104_45:                             ; =>This Inner Loop Header: Depth=1
	ds_read_b64 v[8:9], v1
	ds_read_b32 v16, v14
	s_waitcnt lgkmcnt(0)
	s_barrier
	v_cmp_gt_i64_e64 s[30:31], s[34:35], v[8:9]
	v_and_b32_e32 v11, s30, v4
	s_bcnt1_i32_b64 s48, s[30:31]
	v_and_b32_e32 v10, s31, v5
	v_bcnt_u32_b32 v11, v11, 0
	v_mov_b32_e32 v2, s48
	v_bcnt_u32_b32 v10, v10, v11
	ds_write_b64 v12, v[2:3]
	s_waitcnt lgkmcnt(0)
	s_barrier
	s_and_saveexec_b64 s[48:49], s[0:1]
	s_cbranch_execnz .LBB104_62
; %bb.46:                               ;   in Loop: Header=BB104_45 Depth=1
	s_or_b64 exec, exec, s[48:49]
	s_and_saveexec_b64 s[48:49], s[2:3]
	s_cbranch_execnz .LBB104_63
.LBB104_47:                             ;   in Loop: Header=BB104_45 Depth=1
	s_or_b64 exec, exec, s[48:49]
	s_and_saveexec_b64 s[48:49], s[4:5]
	s_cbranch_execnz .LBB104_64
.LBB104_48:                             ;   in Loop: Header=BB104_45 Depth=1
	s_or_b64 exec, exec, s[48:49]
	s_and_saveexec_b64 s[48:49], s[6:7]
	s_cbranch_execnz .LBB104_65
.LBB104_49:                             ;   in Loop: Header=BB104_45 Depth=1
	s_or_b64 exec, exec, s[48:49]
	s_and_saveexec_b64 s[48:49], s[8:9]
	s_cbranch_execnz .LBB104_66
.LBB104_50:                             ;   in Loop: Header=BB104_45 Depth=1
	s_or_b64 exec, exec, s[48:49]
	s_and_saveexec_b64 s[48:49], s[10:11]
	s_cbranch_execnz .LBB104_67
.LBB104_51:                             ;   in Loop: Header=BB104_45 Depth=1
	s_or_b64 exec, exec, s[48:49]
	s_and_saveexec_b64 s[48:49], s[12:13]
	s_cbranch_execnz .LBB104_68
.LBB104_52:                             ;   in Loop: Header=BB104_45 Depth=1
	s_or_b64 exec, exec, s[48:49]
	s_and_saveexec_b64 s[48:49], s[14:15]
	s_cbranch_execnz .LBB104_69
.LBB104_53:                             ;   in Loop: Header=BB104_45 Depth=1
	s_or_b64 exec, exec, s[48:49]
	s_and_saveexec_b64 s[48:49], s[16:17]
	s_cbranch_execnz .LBB104_70
.LBB104_54:                             ;   in Loop: Header=BB104_45 Depth=1
	s_or_b64 exec, exec, s[48:49]
	s_and_saveexec_b64 s[48:49], s[18:19]
	s_cbranch_execnz .LBB104_71
.LBB104_55:                             ;   in Loop: Header=BB104_45 Depth=1
	s_or_b64 exec, exec, s[48:49]
	s_and_saveexec_b64 s[48:49], s[20:21]
	s_cbranch_execnz .LBB104_72
.LBB104_56:                             ;   in Loop: Header=BB104_45 Depth=1
	s_or_b64 exec, exec, s[48:49]
	s_and_saveexec_b64 s[48:49], s[22:23]
	s_cbranch_execnz .LBB104_73
.LBB104_57:                             ;   in Loop: Header=BB104_45 Depth=1
	s_or_b64 exec, exec, s[48:49]
	s_and_saveexec_b64 s[48:49], s[24:25]
	s_cbranch_execnz .LBB104_74
.LBB104_58:                             ;   in Loop: Header=BB104_45 Depth=1
	s_or_b64 exec, exec, s[48:49]
	s_and_saveexec_b64 s[48:49], s[26:27]
	s_cbranch_execnz .LBB104_75
.LBB104_59:                             ;   in Loop: Header=BB104_45 Depth=1
	s_or_b64 exec, exec, s[48:49]
	s_and_saveexec_b64 s[48:49], s[28:29]
	s_cbranch_execnz .LBB104_76
.LBB104_60:                             ;   in Loop: Header=BB104_45 Depth=1
	s_or_b64 exec, exec, s[48:49]
	v_ashrrev_i32_e32 v11, 31, v10
	s_and_saveexec_b64 s[48:49], s[30:31]
	s_cbranch_execnz .LBB104_77
.LBB104_61:                             ;   in Loop: Header=BB104_45 Depth=1
	s_or_b64 exec, exec, s[48:49]
	s_and_saveexec_b64 s[30:31], vcc
	s_cbranch_execz .LBB104_44
	s_branch .LBB104_78
.LBB104_62:                             ;   in Loop: Header=BB104_45 Depth=1
	v_mov_b32_e32 v2, s33
	ds_read_b32 v2, v2
	s_waitcnt lgkmcnt(0)
	v_add_u32_e32 v10, v2, v10
	s_or_b64 exec, exec, s[48:49]
	s_and_saveexec_b64 s[48:49], s[2:3]
	s_cbranch_execz .LBB104_47
.LBB104_63:                             ;   in Loop: Header=BB104_45 Depth=1
	v_mov_b32_e32 v2, s39
	ds_read_b32 v2, v2
	s_waitcnt lgkmcnt(0)
	v_add_u32_e32 v10, v10, v2
	s_or_b64 exec, exec, s[48:49]
	s_and_saveexec_b64 s[48:49], s[4:5]
	s_cbranch_execz .LBB104_48
.LBB104_64:                             ;   in Loop: Header=BB104_45 Depth=1
	v_mov_b32_e32 v2, s50
	ds_read_b32 v2, v2
	s_waitcnt lgkmcnt(0)
	v_add_u32_e32 v10, v10, v2
	s_or_b64 exec, exec, s[48:49]
	s_and_saveexec_b64 s[48:49], s[6:7]
	s_cbranch_execz .LBB104_49
.LBB104_65:                             ;   in Loop: Header=BB104_45 Depth=1
	v_mov_b32_e32 v2, s51
	ds_read_b32 v2, v2
	s_waitcnt lgkmcnt(0)
	v_add_u32_e32 v10, v10, v2
	s_or_b64 exec, exec, s[48:49]
	s_and_saveexec_b64 s[48:49], s[8:9]
	s_cbranch_execz .LBB104_50
.LBB104_66:                             ;   in Loop: Header=BB104_45 Depth=1
	v_mov_b32_e32 v2, s52
	ds_read_b32 v2, v2
	s_waitcnt lgkmcnt(0)
	v_add_u32_e32 v10, v10, v2
	s_or_b64 exec, exec, s[48:49]
	s_and_saveexec_b64 s[48:49], s[10:11]
	s_cbranch_execz .LBB104_51
.LBB104_67:                             ;   in Loop: Header=BB104_45 Depth=1
	v_mov_b32_e32 v2, s53
	ds_read_b32 v2, v2
	s_waitcnt lgkmcnt(0)
	v_add_u32_e32 v10, v10, v2
	s_or_b64 exec, exec, s[48:49]
	s_and_saveexec_b64 s[48:49], s[12:13]
	s_cbranch_execz .LBB104_52
.LBB104_68:                             ;   in Loop: Header=BB104_45 Depth=1
	v_mov_b32_e32 v2, s54
	ds_read_b32 v2, v2
	s_waitcnt lgkmcnt(0)
	v_add_u32_e32 v10, v10, v2
	s_or_b64 exec, exec, s[48:49]
	s_and_saveexec_b64 s[48:49], s[14:15]
	s_cbranch_execz .LBB104_53
.LBB104_69:                             ;   in Loop: Header=BB104_45 Depth=1
	v_mov_b32_e32 v2, s55
	ds_read_b32 v2, v2
	s_waitcnt lgkmcnt(0)
	v_add_u32_e32 v10, v10, v2
	s_or_b64 exec, exec, s[48:49]
	s_and_saveexec_b64 s[48:49], s[16:17]
	s_cbranch_execz .LBB104_54
.LBB104_70:                             ;   in Loop: Header=BB104_45 Depth=1
	v_mov_b32_e32 v2, s56
	ds_read_b32 v2, v2
	s_waitcnt lgkmcnt(0)
	v_add_u32_e32 v10, v10, v2
	s_or_b64 exec, exec, s[48:49]
	s_and_saveexec_b64 s[48:49], s[18:19]
	s_cbranch_execz .LBB104_55
.LBB104_71:                             ;   in Loop: Header=BB104_45 Depth=1
	v_mov_b32_e32 v2, s57
	ds_read_b32 v2, v2
	s_waitcnt lgkmcnt(0)
	v_add_u32_e32 v10, v10, v2
	s_or_b64 exec, exec, s[48:49]
	s_and_saveexec_b64 s[48:49], s[20:21]
	s_cbranch_execz .LBB104_56
.LBB104_72:                             ;   in Loop: Header=BB104_45 Depth=1
	v_mov_b32_e32 v2, s58
	ds_read_b32 v2, v2
	s_waitcnt lgkmcnt(0)
	v_add_u32_e32 v10, v10, v2
	s_or_b64 exec, exec, s[48:49]
	s_and_saveexec_b64 s[48:49], s[22:23]
	s_cbranch_execz .LBB104_57
.LBB104_73:                             ;   in Loop: Header=BB104_45 Depth=1
	v_mov_b32_e32 v2, s59
	ds_read_b32 v2, v2
	s_waitcnt lgkmcnt(0)
	v_add_u32_e32 v10, v10, v2
	s_or_b64 exec, exec, s[48:49]
	s_and_saveexec_b64 s[48:49], s[24:25]
	s_cbranch_execz .LBB104_58
.LBB104_74:                             ;   in Loop: Header=BB104_45 Depth=1
	v_mov_b32_e32 v2, s60
	ds_read_b32 v2, v2
	s_waitcnt lgkmcnt(0)
	v_add_u32_e32 v10, v10, v2
	s_or_b64 exec, exec, s[48:49]
	s_and_saveexec_b64 s[48:49], s[26:27]
	s_cbranch_execz .LBB104_59
.LBB104_75:                             ;   in Loop: Header=BB104_45 Depth=1
	v_mov_b32_e32 v2, s61
	ds_read_b32 v2, v2
	s_waitcnt lgkmcnt(0)
	v_add_u32_e32 v10, v10, v2
	s_or_b64 exec, exec, s[48:49]
	s_and_saveexec_b64 s[48:49], s[28:29]
	s_cbranch_execz .LBB104_60
.LBB104_76:                             ;   in Loop: Header=BB104_45 Depth=1
	v_mov_b32_e32 v2, s62
	ds_read_b32 v2, v2
	s_waitcnt lgkmcnt(0)
	v_add_u32_e32 v10, v10, v2
	s_or_b64 exec, exec, s[48:49]
	v_ashrrev_i32_e32 v11, 31, v10
	s_and_saveexec_b64 s[48:49], s[30:31]
	s_cbranch_execz .LBB104_61
.LBB104_77:                             ;   in Loop: Header=BB104_45 Depth=1
	v_add3_u32 v2, v6, -1, v10
	v_lshl_add_u32 v17, v2, 3, 0
	v_lshl_add_u32 v2, v2, 2, 0
	v_add_u32_e32 v2, 0x10000, v2
	ds_write_b64 v17, v[8:9]
	ds_write_b32 v2, v16
	s_or_b64 exec, exec, s[48:49]
	s_and_saveexec_b64 s[30:31], vcc
	s_cbranch_execz .LBB104_44
.LBB104_78:                             ;   in Loop: Header=BB104_45 Depth=1
	v_mov_b32_e32 v2, s63
	ds_write_b64 v2, v[10:11]
	s_branch .LBB104_44
.LBB104_79:
	s_or_b64 exec, exec, s[46:47]
	s_lshl_b64 s[0:1], s[44:45], 3
	s_add_u32 s0, s40, s0
	s_addc_u32 s1, s41, s1
	s_load_dwordx4 s[0:3], s[0:1], 0x0
	v_mov_b32_e32 v1, 0
	s_waitcnt lgkmcnt(0)
	s_sub_u32 s4, s2, s0
	s_subb_u32 s5, s3, s1
	v_cmp_gt_i64_e32 vcc, s[4:5], v[0:1]
	s_and_saveexec_b64 s[6:7], vcc
	s_cbranch_execz .LBB104_89
; %bb.80:
	s_sub_u32 s6, s0, s38
	s_subb_u32 s7, s1, 0
	s_and_b32 s8, s4, 7
	s_sub_u32 s0, s0, s2
	s_mov_b32 s16, 0
	s_subb_u32 s1, s1, s3
	s_mov_b32 s9, s16
	s_and_b32 s2, s4, -8
	v_cmp_lt_u64_e64 s[0:1], s[0:1], -7
	s_cmp_lg_u64 s[8:9], 0
	v_cndmask_b32_e64 v2, 0, 1, s[0:1]
	s_mov_b32 s3, s5
	s_mov_b64 s[10:11], 0
	s_cselect_b64 s[12:13], -1, 0
	v_cmp_ne_u32_e64 s[0:1], 1, v2
	s_branch .LBB104_82
.LBB104_81:                             ;   in Loop: Header=BB104_82 Depth=1
	v_mov_b32_e32 v7, s16
	s_waitcnt lgkmcnt(1)
	v_add_co_u32_e32 v2, vcc, s38, v2
	v_addc_co_u32_e32 v3, vcc, v3, v7, vcc
	v_lshlrev_b64 v[8:9], 3, v[4:5]
	v_mov_b32_e32 v7, s43
	v_add_co_u32_e32 v8, vcc, s42, v8
	v_addc_co_u32_e32 v9, vcc, v7, v9, vcc
	global_store_dwordx2 v[8:9], v[2:3], off
	v_lshlrev_b64 v[2:3], 2, v[4:5]
	v_mov_b32_e32 v4, s37
	v_add_co_u32_e32 v2, vcc, s36, v2
	v_addc_co_u32_e32 v3, vcc, v4, v3, vcc
	v_add_co_u32_e32 v0, vcc, 0x400, v0
	v_addc_co_u32_e32 v1, vcc, 0, v1, vcc
	v_cmp_le_i64_e32 vcc, s[4:5], v[0:1]
	s_or_b64 s[10:11], vcc, s[10:11]
	s_waitcnt lgkmcnt(0)
	global_store_dword v[2:3], v6, off
	s_andn2_b64 exec, exec, s[10:11]
	s_cbranch_execz .LBB104_89
.LBB104_82:                             ; =>This Loop Header: Depth=1
                                        ;     Child Loop BB104_84 Depth 2
                                        ;     Child Loop BB104_88 Depth 2
	v_lshl_add_u32 v2, v0, 3, 0
	v_lshl_add_u32 v3, v0, 2, 0
	v_add_u32_e32 v4, 0x10000, v3
	ds_read_b64 v[2:3], v2
	ds_read_b32 v6, v4
	s_and_b64 vcc, exec, s[0:1]
	v_pk_mov_b32 v[4:5], s[6:7], s[6:7] op_sel:[0,1]
	s_mov_b64 s[14:15], 0
	s_cbranch_vccnz .LBB104_86
; %bb.83:                               ;   in Loop: Header=BB104_82 Depth=1
	s_mov_b32 s17, 0
	v_pk_mov_b32 v[4:5], s[6:7], s[6:7] op_sel:[0,1]
.LBB104_84:                             ;   Parent Loop BB104_82 Depth=1
                                        ; =>  This Inner Loop Header: Depth=2
	v_mov_b32_e32 v7, s17
	ds_read2_b64 v[8:11], v7 offset1:1
	ds_read2_b64 v[12:15], v7 offset0:2 offset1:3
	ds_read2_b64 v[16:19], v7 offset0:4 offset1:5
	;; [unrolled: 1-line block ×3, first 2 shown]
	s_add_u32 s14, s14, 8
	s_waitcnt lgkmcnt(3)
	v_cmp_gt_i64_e32 vcc, v[2:3], v[8:9]
	v_cndmask_b32_e64 v7, 0, 1, vcc
	v_cmp_gt_i64_e32 vcc, v[2:3], v[10:11]
	v_cndmask_b32_e64 v8, 0, 1, vcc
	s_waitcnt lgkmcnt(2)
	v_cmp_gt_i64_e32 vcc, v[2:3], v[12:13]
	v_cndmask_b32_e64 v9, 0, 1, vcc
	v_cmp_gt_i64_e32 vcc, v[2:3], v[14:15]
	v_cndmask_b32_e64 v10, 0, 1, vcc
	;; [unrolled: 5-line block ×4, first 2 shown]
	v_add_co_u32_e32 v4, vcc, v4, v7
	v_addc_co_u32_e32 v5, vcc, 0, v5, vcc
	v_add_co_u32_e32 v4, vcc, v4, v8
	v_addc_co_u32_e32 v5, vcc, 0, v5, vcc
	;; [unrolled: 2-line block ×7, first 2 shown]
	s_addc_u32 s15, s15, 0
	s_add_i32 s17, s17, 64
	v_add_co_u32_e32 v4, vcc, v4, v14
	s_cmp_eq_u64 s[2:3], s[14:15]
	v_addc_co_u32_e32 v5, vcc, 0, v5, vcc
	s_cbranch_scc0 .LBB104_84
; %bb.85:                               ;   in Loop: Header=BB104_82 Depth=1
	s_mov_b64 s[14:15], s[2:3]
.LBB104_86:                             ;   in Loop: Header=BB104_82 Depth=1
	s_andn2_b64 vcc, exec, s[12:13]
	s_cbranch_vccnz .LBB104_81
; %bb.87:                               ;   in Loop: Header=BB104_82 Depth=1
	s_lshl_b32 s14, s14, 3
	s_add_i32 s17, s14, 0
	s_mov_b64 s[14:15], s[8:9]
.LBB104_88:                             ;   Parent Loop BB104_82 Depth=1
                                        ; =>  This Inner Loop Header: Depth=2
	v_mov_b32_e32 v7, s17
	ds_read_b64 v[8:9], v7
	s_add_i32 s17, s17, 8
	s_add_u32 s14, s14, -1
	s_addc_u32 s15, s15, -1
	s_cmp_lg_u64 s[14:15], 0
	s_waitcnt lgkmcnt(0)
	v_cmp_gt_i64_e32 vcc, v[2:3], v[8:9]
	v_cndmask_b32_e64 v7, 0, 1, vcc
	v_add_co_u32_e32 v4, vcc, v4, v7
	v_addc_co_u32_e32 v5, vcc, 0, v5, vcc
	s_cbranch_scc1 .LBB104_88
	s_branch .LBB104_81
.LBB104_89:
	s_endpgm
	.section	.rodata,"a",@progbits
	.p2align	6, 0x0
	.amdhsa_kernel _ZN9rocsparseL26csrgemm_fill_block_per_rowILj1024ELj64ELj8192ELj137ELj64EllfEEvT5_PKS1_S3_NS_24const_host_device_scalarIT6_EEPKT4_S3_PKS5_S9_S3_SB_S6_S9_S3_SB_S9_PS1_PS5_21rocsparse_index_base_SE_SE_SE_bbb
		.amdhsa_group_segment_fixed_size 0
		.amdhsa_private_segment_fixed_size 0
		.amdhsa_kernarg_size 156
		.amdhsa_user_sgpr_count 6
		.amdhsa_user_sgpr_private_segment_buffer 1
		.amdhsa_user_sgpr_dispatch_ptr 0
		.amdhsa_user_sgpr_queue_ptr 0
		.amdhsa_user_sgpr_kernarg_segment_ptr 1
		.amdhsa_user_sgpr_dispatch_id 0
		.amdhsa_user_sgpr_flat_scratch_init 0
		.amdhsa_user_sgpr_kernarg_preload_length 0
		.amdhsa_user_sgpr_kernarg_preload_offset 0
		.amdhsa_user_sgpr_private_segment_size 0
		.amdhsa_uses_dynamic_stack 0
		.amdhsa_system_sgpr_private_segment_wavefront_offset 0
		.amdhsa_system_sgpr_workgroup_id_x 1
		.amdhsa_system_sgpr_workgroup_id_y 0
		.amdhsa_system_sgpr_workgroup_id_z 0
		.amdhsa_system_sgpr_workgroup_info 0
		.amdhsa_system_vgpr_workitem_id 0
		.amdhsa_next_free_vgpr 26
		.amdhsa_next_free_sgpr 65
		.amdhsa_accum_offset 28
		.amdhsa_reserve_vcc 1
		.amdhsa_reserve_flat_scratch 0
		.amdhsa_float_round_mode_32 0
		.amdhsa_float_round_mode_16_64 0
		.amdhsa_float_denorm_mode_32 3
		.amdhsa_float_denorm_mode_16_64 3
		.amdhsa_dx10_clamp 1
		.amdhsa_ieee_mode 1
		.amdhsa_fp16_overflow 0
		.amdhsa_tg_split 0
		.amdhsa_exception_fp_ieee_invalid_op 0
		.amdhsa_exception_fp_denorm_src 0
		.amdhsa_exception_fp_ieee_div_zero 0
		.amdhsa_exception_fp_ieee_overflow 0
		.amdhsa_exception_fp_ieee_underflow 0
		.amdhsa_exception_fp_ieee_inexact 0
		.amdhsa_exception_int_div_zero 0
	.end_amdhsa_kernel
	.section	.text._ZN9rocsparseL26csrgemm_fill_block_per_rowILj1024ELj64ELj8192ELj137ELj64EllfEEvT5_PKS1_S3_NS_24const_host_device_scalarIT6_EEPKT4_S3_PKS5_S9_S3_SB_S6_S9_S3_SB_S9_PS1_PS5_21rocsparse_index_base_SE_SE_SE_bbb,"axG",@progbits,_ZN9rocsparseL26csrgemm_fill_block_per_rowILj1024ELj64ELj8192ELj137ELj64EllfEEvT5_PKS1_S3_NS_24const_host_device_scalarIT6_EEPKT4_S3_PKS5_S9_S3_SB_S6_S9_S3_SB_S9_PS1_PS5_21rocsparse_index_base_SE_SE_SE_bbb,comdat
.Lfunc_end104:
	.size	_ZN9rocsparseL26csrgemm_fill_block_per_rowILj1024ELj64ELj8192ELj137ELj64EllfEEvT5_PKS1_S3_NS_24const_host_device_scalarIT6_EEPKT4_S3_PKS5_S9_S3_SB_S6_S9_S3_SB_S9_PS1_PS5_21rocsparse_index_base_SE_SE_SE_bbb, .Lfunc_end104-_ZN9rocsparseL26csrgemm_fill_block_per_rowILj1024ELj64ELj8192ELj137ELj64EllfEEvT5_PKS1_S3_NS_24const_host_device_scalarIT6_EEPKT4_S3_PKS5_S9_S3_SB_S6_S9_S3_SB_S9_PS1_PS5_21rocsparse_index_base_SE_SE_SE_bbb
                                        ; -- End function
	.section	.AMDGPU.csdata,"",@progbits
; Kernel info:
; codeLenInByte = 3484
; NumSgprs: 69
; NumVgprs: 26
; NumAgprs: 0
; TotalNumVgprs: 26
; ScratchSize: 0
; MemoryBound: 0
; FloatMode: 240
; IeeeMode: 1
; LDSByteSize: 0 bytes/workgroup (compile time only)
; SGPRBlocks: 8
; VGPRBlocks: 3
; NumSGPRsForWavesPerEU: 69
; NumVGPRsForWavesPerEU: 26
; AccumOffset: 28
; Occupancy: 8
; WaveLimiterHint : 1
; COMPUTE_PGM_RSRC2:SCRATCH_EN: 0
; COMPUTE_PGM_RSRC2:USER_SGPR: 6
; COMPUTE_PGM_RSRC2:TRAP_HANDLER: 0
; COMPUTE_PGM_RSRC2:TGID_X_EN: 1
; COMPUTE_PGM_RSRC2:TGID_Y_EN: 0
; COMPUTE_PGM_RSRC2:TGID_Z_EN: 0
; COMPUTE_PGM_RSRC2:TIDIG_COMP_CNT: 0
; COMPUTE_PGM_RSRC3_GFX90A:ACCUM_OFFSET: 6
; COMPUTE_PGM_RSRC3_GFX90A:TG_SPLIT: 0
	.section	.text._ZN9rocsparseL26csrgemm_fill_block_per_rowILj1024ELj64ELj16384ELj137ELj32EllfEEvT5_PKS1_S3_NS_24const_host_device_scalarIT6_EEPKT4_S3_PKS5_S9_S3_SB_S6_S9_S3_SB_S9_PS1_PS5_21rocsparse_index_base_SE_SE_SE_bbb,"axG",@progbits,_ZN9rocsparseL26csrgemm_fill_block_per_rowILj1024ELj64ELj16384ELj137ELj32EllfEEvT5_PKS1_S3_NS_24const_host_device_scalarIT6_EEPKT4_S3_PKS5_S9_S3_SB_S6_S9_S3_SB_S9_PS1_PS5_21rocsparse_index_base_SE_SE_SE_bbb,comdat
	.globl	_ZN9rocsparseL26csrgemm_fill_block_per_rowILj1024ELj64ELj16384ELj137ELj32EllfEEvT5_PKS1_S3_NS_24const_host_device_scalarIT6_EEPKT4_S3_PKS5_S9_S3_SB_S6_S9_S3_SB_S9_PS1_PS5_21rocsparse_index_base_SE_SE_SE_bbb ; -- Begin function _ZN9rocsparseL26csrgemm_fill_block_per_rowILj1024ELj64ELj16384ELj137ELj32EllfEEvT5_PKS1_S3_NS_24const_host_device_scalarIT6_EEPKT4_S3_PKS5_S9_S3_SB_S6_S9_S3_SB_S9_PS1_PS5_21rocsparse_index_base_SE_SE_SE_bbb
	.p2align	8
	.type	_ZN9rocsparseL26csrgemm_fill_block_per_rowILj1024ELj64ELj16384ELj137ELj32EllfEEvT5_PKS1_S3_NS_24const_host_device_scalarIT6_EEPKT4_S3_PKS5_S9_S3_SB_S6_S9_S3_SB_S9_PS1_PS5_21rocsparse_index_base_SE_SE_SE_bbb,@function
_ZN9rocsparseL26csrgemm_fill_block_per_rowILj1024ELj64ELj16384ELj137ELj32EllfEEvT5_PKS1_S3_NS_24const_host_device_scalarIT6_EEPKT4_S3_PKS5_S9_S3_SB_S6_S9_S3_SB_S9_PS1_PS5_21rocsparse_index_base_SE_SE_SE_bbb: ; @_ZN9rocsparseL26csrgemm_fill_block_per_rowILj1024ELj64ELj16384ELj137ELj32EllfEEvT5_PKS1_S3_NS_24const_host_device_scalarIT6_EEPKT4_S3_PKS5_S9_S3_SB_S6_S9_S3_SB_S9_PS1_PS5_21rocsparse_index_base_SE_SE_SE_bbb
; %bb.0:
	s_load_dword s7, s[4:5], 0x98
	s_load_dwordx4 s[40:43], s[4:5], 0x88
	s_load_dwordx2 s[0:1], s[4:5], 0x18
	s_load_dwordx2 s[24:25], s[4:5], 0x50
	s_waitcnt lgkmcnt(0)
	s_bitcmp1_b32 s7, 0
	s_cselect_b64 s[2:3], -1, 0
	s_bitcmp1_b32 s7, 16
	s_cselect_b64 s[26:27], -1, 0
	s_xor_b64 s[8:9], s[2:3], -1
	s_or_b64 s[8:9], s[8:9], s[26:27]
	s_and_b64 vcc, exec, s[8:9]
	s_cbranch_vccnz .LBB105_2
; %bb.1:
	s_load_dword s0, s[0:1], 0x0
	s_waitcnt lgkmcnt(0)
	v_mov_b32_e32 v16, s0
	s_branch .LBB105_3
.LBB105_2:
	v_mov_b32_e32 v1, s0
	v_cndmask_b32_e64 v16, 0, v1, s[2:3]
.LBB105_3:
	s_load_dwordx4 s[8:11], s[4:5], 0x78
                                        ; implicit-def: $vgpr26 : SGPR spill to VGPR lane
	s_bitcmp1_b32 s7, 8
	s_cselect_b64 s[0:1], -1, 0
	s_xor_b64 s[28:29], s[0:1], -1
	s_or_b64 s[26:27], s[28:29], s[26:27]
	s_waitcnt lgkmcnt(0)
	v_writelane_b32 v26, s8, 0
	v_writelane_b32 v26, s9, 1
	;; [unrolled: 1-line block ×4, first 2 shown]
	s_load_dwordx8 s[44:51], s[4:5], 0x58
	s_load_dwordx4 s[16:19], s[4:5], 0x40
	s_load_dwordx4 s[20:23], s[4:5], 0x8
	s_load_dwordx8 s[8:15], s[4:5], 0x20
	s_and_b64 vcc, exec, s[26:27]
	s_cbranch_vccnz .LBB105_5
; %bb.4:
	s_load_dword s7, s[24:25], 0x0
	s_waitcnt lgkmcnt(0)
	v_mov_b32_e32 v11, s7
	s_branch .LBB105_6
.LBB105_5:
	v_mov_b32_e32 v1, s24
	v_cndmask_b32_e64 v11, 0, v1, s[0:1]
.LBB105_6:
	s_load_dwordx2 s[76:77], s[4:5], 0x0
	v_lshl_add_u32 v2, v0, 2, 0
	v_or_b32_e32 v1, 0xfffffc00, v0
	v_add_u32_e32 v14, 0x20000, v2
	v_lshl_add_u32 v15, v0, 3, 0
	s_mov_b64 s[4:5], 0
	s_waitcnt lgkmcnt(0)
	v_pk_mov_b32 v[2:3], s[76:77], s[76:77] op_sel:[0,1]
	v_mov_b32_e32 v4, 0
	s_movk_i32 s7, 0x3bff
	v_mov_b32_e32 v5, v15
	v_mov_b32_e32 v6, v14
	;; [unrolled: 1-line block ×3, first 2 shown]
.LBB105_7:                              ; =>This Inner Loop Header: Depth=1
	v_add_u32_e32 v7, 0x400, v7
	v_cmp_lt_u32_e32 vcc, s7, v7
	ds_write_b64 v5, v[2:3]
	ds_write_b32 v6, v4
	v_add_u32_e32 v6, 0x1000, v6
	s_or_b64 s[4:5], vcc, s[4:5]
	v_add_u32_e32 v5, 0x2000, v5
	s_andn2_b64 exec, exec, s[4:5]
	s_cbranch_execnz .LBB105_7
; %bb.8:
	s_or_b64 exec, exec, s[4:5]
	s_waitcnt lgkmcnt(0)
	s_barrier
	s_load_dwordx2 s[4:5], s[20:21], 0x0
	s_mov_b32 s7, 0
	s_waitcnt lgkmcnt(0)
	s_lshl_b64 s[4:5], s[4:5], 3
	s_add_u32 s20, s22, s4
	s_addc_u32 s21, s23, s5
	s_lshl_b64 s[4:5], s[6:7], 3
	s_add_u32 s4, s20, s4
	s_addc_u32 s5, s21, s5
	s_load_dwordx2 s[52:53], s[4:5], 0x0
	s_and_b64 vcc, exec, s[2:3]
	s_cbranch_vccz .LBB105_28
; %bb.9:
	s_waitcnt lgkmcnt(0)
	s_lshl_b64 s[2:3], s[52:53], 3
	s_add_u32 s2, s8, s2
	s_addc_u32 s3, s9, s3
	s_load_dwordx4 s[20:23], s[2:3], 0x0
	v_lshrrev_b32_e32 v2, 6, v0
	v_subrev_co_u32_e32 v2, vcc, s40, v2
	v_subb_co_u32_e64 v3, s[4:5], 0, 0, vcc
	s_waitcnt lgkmcnt(0)
	s_sub_u32 s2, s22, s40
	v_mov_b32_e32 v4, s21
	v_add_co_u32_e32 v2, vcc, s20, v2
	s_subb_u32 s3, s23, 0
	v_addc_co_u32_e32 v3, vcc, v4, v3, vcc
	v_cmp_gt_i64_e32 vcc, s[2:3], v[2:3]
	s_and_saveexec_b64 s[4:5], vcc
	s_cbranch_execz .LBB105_27
; %bb.10:
	v_and_b32_e32 v4, 63, v0
	v_subrev_co_u32_e32 v17, vcc, s41, v4
	s_mov_b32 s6, 0
	v_subb_co_u32_e64 v18, s[8:9], 0, 0, vcc
	s_mov_b32 s33, s40
	s_mov_b32 s36, s41
	s_mov_b64 s[8:9], 0
	v_mov_b32_e32 v19, s11
	v_mov_b32_e32 v20, s7
	v_mov_b32_e32 v21, s15
	v_mov_b32_e32 v22, s6
	s_movk_i32 s11, 0x89
	s_branch .LBB105_12
.LBB105_11:                             ;   in Loop: Header=BB105_12 Depth=1
	s_or_b64 exec, exec, s[6:7]
	v_add_co_u32_e32 v2, vcc, 16, v2
	v_addc_co_u32_e32 v3, vcc, 0, v3, vcc
	v_cmp_le_i64_e32 vcc, s[2:3], v[2:3]
	s_or_b64 s[8:9], vcc, s[8:9]
	s_andn2_b64 exec, exec, s[8:9]
	s_cbranch_execz .LBB105_27
.LBB105_12:                             ; =>This Loop Header: Depth=1
                                        ;     Child Loop BB105_15 Depth 2
                                        ;       Child Loop BB105_17 Depth 3
	v_lshlrev_b64 v[4:5], 3, v[2:3]
	v_add_co_u32_e32 v4, vcc, s10, v4
	v_addc_co_u32_e32 v5, vcc, v19, v5, vcc
	global_load_dwordx2 v[4:5], v[4:5], off
	s_waitcnt vmcnt(0)
	v_subrev_co_u32_e32 v4, vcc, s33, v4
	v_subb_co_u32_e32 v5, vcc, v5, v20, vcc
	v_lshlrev_b64 v[4:5], 3, v[4:5]
	v_add_co_u32_e32 v4, vcc, s14, v4
	v_addc_co_u32_e32 v5, vcc, v21, v5, vcc
	global_load_dwordx4 v[6:9], v[4:5], off
	s_waitcnt vmcnt(0)
	v_subrev_co_u32_e32 v4, vcc, s36, v8
	v_subb_co_u32_e32 v5, vcc, v9, v22, vcc
	v_add_co_u32_e32 v6, vcc, v6, v17
	v_addc_co_u32_e32 v7, vcc, v7, v18, vcc
	v_cmp_lt_i64_e32 vcc, v[6:7], v[4:5]
	s_and_saveexec_b64 s[6:7], vcc
	s_cbranch_execz .LBB105_11
; %bb.13:                               ;   in Loop: Header=BB105_12 Depth=1
	v_lshlrev_b64 v[8:9], 2, v[2:3]
	v_mov_b32_e32 v10, s13
	v_add_co_u32_e32 v8, vcc, s12, v8
	v_addc_co_u32_e32 v9, vcc, v10, v9, vcc
	global_load_dword v8, v[8:9], off
	s_mov_b64 s[20:21], 0
	s_waitcnt vmcnt(0)
	v_mul_f32_e32 v23, v16, v8
	s_branch .LBB105_15
.LBB105_14:                             ;   in Loop: Header=BB105_15 Depth=2
	s_or_b64 exec, exec, s[22:23]
	v_add_co_u32_e32 v6, vcc, 64, v6
	v_addc_co_u32_e32 v7, vcc, 0, v7, vcc
	v_cmp_ge_i64_e32 vcc, v[6:7], v[4:5]
	s_or_b64 s[20:21], vcc, s[20:21]
	s_andn2_b64 exec, exec, s[20:21]
	s_cbranch_execz .LBB105_11
.LBB105_15:                             ;   Parent Loop BB105_12 Depth=1
                                        ; =>  This Loop Header: Depth=2
                                        ;       Child Loop BB105_17 Depth 3
	v_lshlrev_b64 v[8:9], 3, v[6:7]
	v_mov_b32_e32 v10, s17
	v_add_co_u32_e32 v8, vcc, s16, v8
	v_addc_co_u32_e32 v9, vcc, v10, v9, vcc
	v_lshlrev_b64 v[12:13], 2, v[6:7]
	v_mov_b32_e32 v10, s19
	v_add_co_u32_e32 v12, vcc, s18, v12
	global_load_dwordx2 v[8:9], v[8:9], off
	v_addc_co_u32_e32 v13, vcc, v10, v13, vcc
	global_load_dword v10, v[12:13], off
	s_mov_b64 s[22:23], 0
	s_waitcnt vmcnt(1)
	v_subrev_co_u32_e32 v8, vcc, s36, v8
	v_subb_co_u32_e32 v9, vcc, v9, v22, vcc
	s_waitcnt vmcnt(0)
	v_mul_f32_e32 v24, v23, v10
	v_mul_lo_u32 v10, v8, s11
	v_and_b32_e32 v10, 0x3fff, v10
	s_branch .LBB105_17
.LBB105_16:                             ;   in Loop: Header=BB105_17 Depth=3
	s_or_b64 exec, exec, s[24:25]
	s_xor_b64 s[24:25], s[26:27], -1
	s_and_b64 s[24:25], exec, s[24:25]
	s_or_b64 s[22:23], s[24:25], s[22:23]
	s_andn2_b64 exec, exec, s[22:23]
	s_cbranch_execz .LBB105_14
.LBB105_17:                             ;   Parent Loop BB105_12 Depth=1
                                        ;     Parent Loop BB105_15 Depth=2
                                        ; =>    This Inner Loop Header: Depth=3
	v_lshl_add_u32 v25, v10, 3, 0
	ds_read_b64 v[12:13], v25
                                        ; implicit-def: $sgpr26_sgpr27
	s_waitcnt lgkmcnt(0)
	v_cmp_ne_u64_e32 vcc, v[12:13], v[8:9]
	s_and_saveexec_b64 s[24:25], vcc
	s_xor_b64 s[24:25], exec, s[24:25]
	s_cbranch_execz .LBB105_25
; %bb.18:                               ;   in Loop: Header=BB105_17 Depth=3
	v_cmp_ne_u64_e32 vcc, s[76:77], v[12:13]
                                        ; implicit-def: $sgpr26_sgpr27
	s_and_saveexec_b64 s[28:29], vcc
	s_xor_b64 s[28:29], exec, s[28:29]
; %bb.19:                               ;   in Loop: Header=BB105_17 Depth=3
	v_add_u32_e32 v10, 1, v10
	v_and_b32_e32 v10, 0x3fff, v10
	s_mov_b64 s[26:27], -1
                                        ; implicit-def: $vgpr25
; %bb.20:                               ;   in Loop: Header=BB105_17 Depth=3
	s_andn2_saveexec_b64 s[28:29], s[28:29]
	s_cbranch_execz .LBB105_24
; %bb.21:                               ;   in Loop: Header=BB105_17 Depth=3
	v_pk_mov_b32 v[12:13], s[76:77], s[76:77] op_sel:[0,1]
	ds_cmpst_rtn_b64 v[12:13], v25, v[12:13], v[8:9]
	s_mov_b64 s[30:31], -1
	s_waitcnt lgkmcnt(0)
	v_cmp_eq_u64_e32 vcc, s[76:77], v[12:13]
	s_and_saveexec_b64 s[34:35], vcc
	s_cbranch_execz .LBB105_23
; %bb.22:                               ;   in Loop: Header=BB105_17 Depth=3
	v_lshl_add_u32 v12, v10, 2, 0
	v_add_u32_e32 v12, 0x20000, v12
	ds_add_f32 v12, v24
	s_xor_b64 s[30:31], exec, -1
.LBB105_23:                             ;   in Loop: Header=BB105_17 Depth=3
	s_or_b64 exec, exec, s[34:35]
	s_andn2_b64 s[26:27], s[26:27], exec
	s_and_b64 s[30:31], s[30:31], exec
	s_or_b64 s[26:27], s[26:27], s[30:31]
.LBB105_24:                             ;   in Loop: Header=BB105_17 Depth=3
	s_or_b64 exec, exec, s[28:29]
	s_and_b64 s[26:27], s[26:27], exec
.LBB105_25:                             ;   in Loop: Header=BB105_17 Depth=3
	s_andn2_saveexec_b64 s[24:25], s[24:25]
	s_cbranch_execz .LBB105_16
; %bb.26:                               ;   in Loop: Header=BB105_17 Depth=3
	v_lshl_add_u32 v12, v10, 2, 0
	v_add_u32_e32 v12, 0x20000, v12
	ds_add_f32 v12, v24
	s_andn2_b64 s[26:27], s[26:27], exec
	s_branch .LBB105_16
.LBB105_27:
	s_or_b64 exec, exec, s[4:5]
.LBB105_28:
	s_andn2_b64 vcc, exec, s[0:1]
	s_cbranch_vccnz .LBB105_45
; %bb.29:
	s_waitcnt lgkmcnt(0)
	s_lshl_b64 s[0:1], s[52:53], 3
	s_add_u32 s0, s44, s0
	s_addc_u32 s1, s45, s1
	s_load_dwordx4 s[8:11], s[0:1], 0x0
	v_subrev_co_u32_e32 v2, vcc, s43, v0
	v_subb_co_u32_e64 v3, s[2:3], 0, 0, vcc
	s_waitcnt lgkmcnt(0)
	s_sub_u32 s0, s10, s43
	v_mov_b32_e32 v4, s9
	v_add_co_u32_e32 v2, vcc, s8, v2
	s_subb_u32 s1, s11, 0
	v_addc_co_u32_e32 v3, vcc, v4, v3, vcc
	s_mov_b32 s6, 0
	v_cmp_gt_i64_e32 vcc, s[0:1], v[2:3]
	s_and_saveexec_b64 s[2:3], vcc
	s_cbranch_execz .LBB105_44
; %bb.30:
	s_mov_b32 s18, s43
	s_mov_b64 s[4:5], 0
	v_mov_b32_e32 v7, s47
	v_mov_b32_e32 v10, s6
	;; [unrolled: 1-line block ×3, first 2 shown]
	s_movk_i32 s19, 0x89
	s_branch .LBB105_32
.LBB105_31:                             ;   in Loop: Header=BB105_32 Depth=1
	s_or_b64 exec, exec, s[6:7]
	v_add_co_u32_e32 v2, vcc, 0x400, v2
	v_addc_co_u32_e32 v3, vcc, 0, v3, vcc
	v_cmp_le_i64_e32 vcc, s[0:1], v[2:3]
	s_or_b64 s[4:5], vcc, s[4:5]
	s_andn2_b64 exec, exec, s[4:5]
	s_cbranch_execz .LBB105_44
.LBB105_32:                             ; =>This Loop Header: Depth=1
                                        ;     Child Loop BB105_34 Depth 2
	v_lshlrev_b64 v[4:5], 3, v[2:3]
	v_add_co_u32_e32 v4, vcc, s46, v4
	v_addc_co_u32_e32 v5, vcc, v7, v5, vcc
	v_lshlrev_b64 v[8:9], 2, v[2:3]
	v_add_co_u32_e32 v8, vcc, s48, v8
	global_load_dwordx2 v[4:5], v[4:5], off
	v_addc_co_u32_e32 v9, vcc, v12, v9, vcc
	global_load_dword v6, v[8:9], off
	s_mov_b64 s[6:7], 0
	s_waitcnt vmcnt(1)
	v_subrev_co_u32_e32 v4, vcc, s18, v4
	v_subb_co_u32_e32 v5, vcc, v5, v10, vcc
	s_waitcnt vmcnt(0)
	v_mul_f32_e32 v13, v11, v6
	v_mul_lo_u32 v6, v4, s19
	v_and_b32_e32 v6, 0x3fff, v6
	s_branch .LBB105_34
.LBB105_33:                             ;   in Loop: Header=BB105_34 Depth=2
	s_or_b64 exec, exec, s[8:9]
	s_xor_b64 s[8:9], s[10:11], -1
	s_and_b64 s[8:9], exec, s[8:9]
	s_or_b64 s[6:7], s[8:9], s[6:7]
	s_andn2_b64 exec, exec, s[6:7]
	s_cbranch_execz .LBB105_31
.LBB105_34:                             ;   Parent Loop BB105_32 Depth=1
                                        ; =>  This Inner Loop Header: Depth=2
	v_lshl_add_u32 v16, v6, 3, 0
	ds_read_b64 v[8:9], v16
                                        ; implicit-def: $sgpr10_sgpr11
	s_waitcnt lgkmcnt(0)
	v_cmp_ne_u64_e32 vcc, v[8:9], v[4:5]
	s_and_saveexec_b64 s[8:9], vcc
	s_xor_b64 s[8:9], exec, s[8:9]
	s_cbranch_execz .LBB105_42
; %bb.35:                               ;   in Loop: Header=BB105_34 Depth=2
	v_cmp_ne_u64_e32 vcc, s[76:77], v[8:9]
                                        ; implicit-def: $sgpr10_sgpr11
	s_and_saveexec_b64 s[12:13], vcc
	s_xor_b64 s[12:13], exec, s[12:13]
; %bb.36:                               ;   in Loop: Header=BB105_34 Depth=2
	v_add_u32_e32 v6, 1, v6
	v_and_b32_e32 v6, 0x3fff, v6
	s_mov_b64 s[10:11], -1
                                        ; implicit-def: $vgpr16
; %bb.37:                               ;   in Loop: Header=BB105_34 Depth=2
	s_andn2_saveexec_b64 s[12:13], s[12:13]
	s_cbranch_execz .LBB105_41
; %bb.38:                               ;   in Loop: Header=BB105_34 Depth=2
	v_pk_mov_b32 v[8:9], s[76:77], s[76:77] op_sel:[0,1]
	ds_cmpst_rtn_b64 v[8:9], v16, v[8:9], v[4:5]
	s_mov_b64 s[14:15], -1
	s_waitcnt lgkmcnt(0)
	v_cmp_eq_u64_e32 vcc, s[76:77], v[8:9]
	s_and_saveexec_b64 s[16:17], vcc
	s_cbranch_execz .LBB105_40
; %bb.39:                               ;   in Loop: Header=BB105_34 Depth=2
	v_lshl_add_u32 v8, v6, 2, 0
	v_add_u32_e32 v8, 0x20000, v8
	ds_add_f32 v8, v13
	s_xor_b64 s[14:15], exec, -1
.LBB105_40:                             ;   in Loop: Header=BB105_34 Depth=2
	s_or_b64 exec, exec, s[16:17]
	s_andn2_b64 s[10:11], s[10:11], exec
	s_and_b64 s[14:15], s[14:15], exec
	s_or_b64 s[10:11], s[10:11], s[14:15]
.LBB105_41:                             ;   in Loop: Header=BB105_34 Depth=2
	s_or_b64 exec, exec, s[12:13]
	s_and_b64 s[10:11], s[10:11], exec
.LBB105_42:                             ;   in Loop: Header=BB105_34 Depth=2
	s_andn2_saveexec_b64 s[8:9], s[8:9]
	s_cbranch_execz .LBB105_33
; %bb.43:                               ;   in Loop: Header=BB105_34 Depth=2
	v_lshl_add_u32 v8, v6, 2, 0
	v_add_u32_e32 v8, 0x20000, v8
	ds_add_f32 v8, v13
	s_andn2_b64 s[10:11], s[10:11], exec
	s_branch .LBB105_33
.LBB105_44:
	s_or_b64 exec, exec, s[2:3]
.LBB105_45:
	s_waitcnt lgkmcnt(0)
	v_writelane_b32 v26, s52, 4
	v_writelane_b32 v26, s53, 5
	;; [unrolled: 1-line block ×10, first 2 shown]
	s_movk_i32 s33, 0x25f
	v_writelane_b32 v26, s40, 14
	v_cmp_lt_u32_e64 s[34:35], s33, v0
	s_movk_i32 s33, 0x27f
	v_writelane_b32 v26, s41, 15
	v_cmp_lt_u32_e64 s[36:37], s33, v0
	;; [unrolled: 3-line block ×4, first 2 shown]
	s_movk_i32 s33, 0x2df
	v_cmp_lt_u32_e64 s[42:43], s33, v0
	s_movk_i32 s33, 0x2ff
	v_cmp_lt_u32_e64 s[44:45], s33, v0
	;; [unrolled: 2-line block ×7, first 2 shown]
	s_movk_i32 s33, 0x3bf
	s_add_i32 s0, 0, 0x30000
	v_cmp_lt_u32_e64 s[56:57], s33, v0
	s_movk_i32 s33, 0x3df
	v_writelane_b32 v26, s0, 18
	v_cmp_lt_u32_e64 s[58:59], s33, v0
	s_add_i32 s33, 0, 0x30008
	v_writelane_b32 v26, s33, 19
	s_add_i32 s33, 0, 0x30010
	v_mbcnt_lo_u32_b32 v2, -1, 0
	v_writelane_b32 v26, s33, 20
	s_add_i32 s33, 0, 0x30018
	v_mbcnt_hi_u32_b32 v2, -1, v2
	v_writelane_b32 v26, s33, 21
	s_add_i32 s33, 0, 0x30020
	v_sub_u32_e32 v2, 63, v2
	v_writelane_b32 v26, s33, 22
	s_add_i32 s33, 0, 0x30028
	v_lshrrev_b64 v[4:5], v2, -1
	v_lshrrev_b32_e32 v2, 2, v0
	v_writelane_b32 v26, s33, 23
	s_add_i32 s33, 0, 0x30030
	v_and_b32_e32 v2, 0xf8, v2
	v_writelane_b32 v26, s33, 24
	s_add_i32 s33, 0, 0x30038
	v_add_u32_e32 v12, s0, v2
	s_movk_i32 s0, 0x3ff
	v_writelane_b32 v26, s33, 25
	s_add_i32 s33, 0, 0x30040
	v_cmp_eq_u32_e32 vcc, s0, v0
	s_movk_i32 s0, 0x5f
	s_movk_i32 s2, 0x7f
	;; [unrolled: 1-line block ×16, first 2 shown]
	v_writelane_b32 v26, s33, 26
	s_add_i32 s33, 0, 0x30048
	v_mov_b32_e32 v3, 0
	v_cmp_lt_u32_e64 s[0:1], s0, v0
	v_cmp_lt_u32_e64 s[2:3], s2, v0
	;; [unrolled: 1-line block ×16, first 2 shown]
	v_pk_mov_b32 v[6:7], 0, 0
	v_writelane_b32 v26, s33, 27
	s_add_i32 s90, 0, 0x30050
	s_add_i32 s91, 0, 0x30058
	;; [unrolled: 1-line block ×22, first 2 shown]
	s_movk_i32 s87, 0x3bff
	v_cmp_lt_u32_e64 s[60:61], 31, v0
	v_cmp_lt_u32_e64 s[62:63], 63, v0
	s_mov_b64 s[68:69], 0
	s_barrier
	s_branch .LBB105_47
.LBB105_46:                             ;   in Loop: Header=BB105_47 Depth=1
	s_or_b64 exec, exec, s[64:65]
	v_mov_b32_e32 v2, s86
	s_waitcnt lgkmcnt(0)
	s_barrier
	ds_read_b64 v[8:9], v2
	v_add_u32_e32 v1, 0x400, v1
	v_add_u32_e32 v14, 0x1000, v14
	;; [unrolled: 1-line block ×3, first 2 shown]
	s_waitcnt lgkmcnt(0)
	v_add_co_u32_e64 v6, s[64:65], v8, v6
	v_addc_co_u32_e64 v7, s[64:65], v9, v7, s[64:65]
	v_cmp_lt_u32_e64 s[64:65], s87, v1
	s_or_b64 s[68:69], s[64:65], s[68:69]
	s_andn2_b64 exec, exec, s[68:69]
	s_cbranch_execz .LBB105_113
.LBB105_47:                             ; =>This Inner Loop Header: Depth=1
	ds_read_b64 v[8:9], v15
	ds_read_b32 v13, v14
	s_waitcnt lgkmcnt(0)
	s_barrier
	v_cmp_gt_i64_e64 s[64:65], s[76:77], v[8:9]
	v_and_b32_e32 v11, s64, v4
	s_bcnt1_i32_b64 s80, s[64:65]
	v_and_b32_e32 v10, s65, v5
	v_bcnt_u32_b32 v11, v11, 0
	v_mov_b32_e32 v2, s80
	v_bcnt_u32_b32 v10, v10, v11
	ds_write_b64 v12, v[2:3]
	s_waitcnt lgkmcnt(0)
	s_barrier
	s_and_saveexec_b64 s[80:81], s[60:61]
	s_cbranch_execnz .LBB105_80
; %bb.48:                               ;   in Loop: Header=BB105_47 Depth=1
	s_or_b64 exec, exec, s[80:81]
	s_and_saveexec_b64 s[80:81], s[62:63]
	s_cbranch_execnz .LBB105_81
.LBB105_49:                             ;   in Loop: Header=BB105_47 Depth=1
	s_or_b64 exec, exec, s[80:81]
	s_and_saveexec_b64 s[80:81], s[0:1]
	s_cbranch_execnz .LBB105_82
.LBB105_50:                             ;   in Loop: Header=BB105_47 Depth=1
	s_or_b64 exec, exec, s[80:81]
	s_and_saveexec_b64 s[80:81], s[2:3]
	s_cbranch_execnz .LBB105_83
.LBB105_51:                             ;   in Loop: Header=BB105_47 Depth=1
	s_or_b64 exec, exec, s[80:81]
	s_and_saveexec_b64 s[80:81], s[4:5]
	s_cbranch_execnz .LBB105_84
.LBB105_52:                             ;   in Loop: Header=BB105_47 Depth=1
	s_or_b64 exec, exec, s[80:81]
	s_and_saveexec_b64 s[80:81], s[6:7]
	s_cbranch_execnz .LBB105_85
.LBB105_53:                             ;   in Loop: Header=BB105_47 Depth=1
	s_or_b64 exec, exec, s[80:81]
	s_and_saveexec_b64 s[80:81], s[8:9]
	s_cbranch_execnz .LBB105_86
.LBB105_54:                             ;   in Loop: Header=BB105_47 Depth=1
	s_or_b64 exec, exec, s[80:81]
	s_and_saveexec_b64 s[80:81], s[10:11]
	s_cbranch_execnz .LBB105_87
.LBB105_55:                             ;   in Loop: Header=BB105_47 Depth=1
	s_or_b64 exec, exec, s[80:81]
	s_and_saveexec_b64 s[80:81], s[12:13]
	s_cbranch_execnz .LBB105_88
.LBB105_56:                             ;   in Loop: Header=BB105_47 Depth=1
	s_or_b64 exec, exec, s[80:81]
	s_and_saveexec_b64 s[80:81], s[14:15]
	s_cbranch_execnz .LBB105_89
.LBB105_57:                             ;   in Loop: Header=BB105_47 Depth=1
	s_or_b64 exec, exec, s[80:81]
	s_and_saveexec_b64 s[80:81], s[16:17]
	s_cbranch_execnz .LBB105_90
.LBB105_58:                             ;   in Loop: Header=BB105_47 Depth=1
	s_or_b64 exec, exec, s[80:81]
	s_and_saveexec_b64 s[80:81], s[18:19]
	s_cbranch_execnz .LBB105_91
.LBB105_59:                             ;   in Loop: Header=BB105_47 Depth=1
	s_or_b64 exec, exec, s[80:81]
	s_and_saveexec_b64 s[80:81], s[20:21]
	s_cbranch_execnz .LBB105_92
.LBB105_60:                             ;   in Loop: Header=BB105_47 Depth=1
	s_or_b64 exec, exec, s[80:81]
	s_and_saveexec_b64 s[80:81], s[22:23]
	s_cbranch_execnz .LBB105_93
.LBB105_61:                             ;   in Loop: Header=BB105_47 Depth=1
	s_or_b64 exec, exec, s[80:81]
	s_and_saveexec_b64 s[80:81], s[24:25]
	s_cbranch_execnz .LBB105_94
.LBB105_62:                             ;   in Loop: Header=BB105_47 Depth=1
	s_or_b64 exec, exec, s[80:81]
	s_and_saveexec_b64 s[80:81], s[26:27]
	s_cbranch_execnz .LBB105_95
.LBB105_63:                             ;   in Loop: Header=BB105_47 Depth=1
	s_or_b64 exec, exec, s[80:81]
	s_and_saveexec_b64 s[80:81], s[28:29]
	s_cbranch_execnz .LBB105_96
.LBB105_64:                             ;   in Loop: Header=BB105_47 Depth=1
	s_or_b64 exec, exec, s[80:81]
	s_and_saveexec_b64 s[80:81], s[30:31]
	s_cbranch_execnz .LBB105_97
.LBB105_65:                             ;   in Loop: Header=BB105_47 Depth=1
	s_or_b64 exec, exec, s[80:81]
	s_and_saveexec_b64 s[80:81], s[34:35]
	s_cbranch_execnz .LBB105_98
.LBB105_66:                             ;   in Loop: Header=BB105_47 Depth=1
	s_or_b64 exec, exec, s[80:81]
	s_and_saveexec_b64 s[80:81], s[36:37]
	s_cbranch_execnz .LBB105_99
.LBB105_67:                             ;   in Loop: Header=BB105_47 Depth=1
	s_or_b64 exec, exec, s[80:81]
	s_and_saveexec_b64 s[80:81], s[38:39]
	s_cbranch_execnz .LBB105_100
.LBB105_68:                             ;   in Loop: Header=BB105_47 Depth=1
	s_or_b64 exec, exec, s[80:81]
	s_and_saveexec_b64 s[80:81], s[40:41]
	s_cbranch_execnz .LBB105_101
.LBB105_69:                             ;   in Loop: Header=BB105_47 Depth=1
	s_or_b64 exec, exec, s[80:81]
	s_and_saveexec_b64 s[80:81], s[42:43]
	s_cbranch_execnz .LBB105_102
.LBB105_70:                             ;   in Loop: Header=BB105_47 Depth=1
	s_or_b64 exec, exec, s[80:81]
	s_and_saveexec_b64 s[80:81], s[44:45]
	s_cbranch_execnz .LBB105_103
.LBB105_71:                             ;   in Loop: Header=BB105_47 Depth=1
	s_or_b64 exec, exec, s[80:81]
	s_and_saveexec_b64 s[80:81], s[46:47]
	s_cbranch_execnz .LBB105_104
.LBB105_72:                             ;   in Loop: Header=BB105_47 Depth=1
	s_or_b64 exec, exec, s[80:81]
	s_and_saveexec_b64 s[80:81], s[48:49]
	s_cbranch_execnz .LBB105_105
.LBB105_73:                             ;   in Loop: Header=BB105_47 Depth=1
	s_or_b64 exec, exec, s[80:81]
	s_and_saveexec_b64 s[80:81], s[50:51]
	s_cbranch_execnz .LBB105_106
.LBB105_74:                             ;   in Loop: Header=BB105_47 Depth=1
	s_or_b64 exec, exec, s[80:81]
	s_and_saveexec_b64 s[80:81], s[52:53]
	s_cbranch_execnz .LBB105_107
.LBB105_75:                             ;   in Loop: Header=BB105_47 Depth=1
	s_or_b64 exec, exec, s[80:81]
	s_and_saveexec_b64 s[80:81], s[54:55]
	s_cbranch_execnz .LBB105_108
.LBB105_76:                             ;   in Loop: Header=BB105_47 Depth=1
	s_or_b64 exec, exec, s[80:81]
	s_and_saveexec_b64 s[80:81], s[56:57]
	s_cbranch_execnz .LBB105_109
.LBB105_77:                             ;   in Loop: Header=BB105_47 Depth=1
	s_or_b64 exec, exec, s[80:81]
	s_and_saveexec_b64 s[80:81], s[58:59]
	s_cbranch_execnz .LBB105_110
.LBB105_78:                             ;   in Loop: Header=BB105_47 Depth=1
	s_or_b64 exec, exec, s[80:81]
	v_ashrrev_i32_e32 v11, 31, v10
	s_and_saveexec_b64 s[80:81], s[64:65]
	s_cbranch_execnz .LBB105_111
.LBB105_79:                             ;   in Loop: Header=BB105_47 Depth=1
	s_or_b64 exec, exec, s[80:81]
	s_and_saveexec_b64 s[64:65], vcc
	s_cbranch_execz .LBB105_46
	s_branch .LBB105_112
.LBB105_80:                             ;   in Loop: Header=BB105_47 Depth=1
	v_readlane_b32 s88, v26, 18
	v_mov_b32_e32 v2, s88
	ds_read_b32 v2, v2
	s_waitcnt lgkmcnt(0)
	v_add_u32_e32 v10, v2, v10
	s_or_b64 exec, exec, s[80:81]
	s_and_saveexec_b64 s[80:81], s[62:63]
	s_cbranch_execz .LBB105_49
.LBB105_81:                             ;   in Loop: Header=BB105_47 Depth=1
	v_readlane_b32 s88, v26, 19
	v_mov_b32_e32 v2, s88
	ds_read_b32 v2, v2
	s_waitcnt lgkmcnt(0)
	v_add_u32_e32 v10, v10, v2
	s_or_b64 exec, exec, s[80:81]
	s_and_saveexec_b64 s[80:81], s[0:1]
	s_cbranch_execz .LBB105_50
.LBB105_82:                             ;   in Loop: Header=BB105_47 Depth=1
	v_readlane_b32 s88, v26, 20
	v_mov_b32_e32 v2, s88
	ds_read_b32 v2, v2
	s_waitcnt lgkmcnt(0)
	v_add_u32_e32 v10, v10, v2
	s_or_b64 exec, exec, s[80:81]
	s_and_saveexec_b64 s[80:81], s[2:3]
	s_cbranch_execz .LBB105_51
.LBB105_83:                             ;   in Loop: Header=BB105_47 Depth=1
	v_readlane_b32 s88, v26, 21
	v_mov_b32_e32 v2, s88
	ds_read_b32 v2, v2
	s_waitcnt lgkmcnt(0)
	v_add_u32_e32 v10, v10, v2
	s_or_b64 exec, exec, s[80:81]
	s_and_saveexec_b64 s[80:81], s[4:5]
	s_cbranch_execz .LBB105_52
.LBB105_84:                             ;   in Loop: Header=BB105_47 Depth=1
	v_readlane_b32 s88, v26, 22
	v_mov_b32_e32 v2, s88
	ds_read_b32 v2, v2
	s_waitcnt lgkmcnt(0)
	v_add_u32_e32 v10, v10, v2
	s_or_b64 exec, exec, s[80:81]
	s_and_saveexec_b64 s[80:81], s[6:7]
	s_cbranch_execz .LBB105_53
.LBB105_85:                             ;   in Loop: Header=BB105_47 Depth=1
	v_readlane_b32 s88, v26, 23
	v_mov_b32_e32 v2, s88
	ds_read_b32 v2, v2
	s_waitcnt lgkmcnt(0)
	v_add_u32_e32 v10, v10, v2
	s_or_b64 exec, exec, s[80:81]
	s_and_saveexec_b64 s[80:81], s[8:9]
	s_cbranch_execz .LBB105_54
.LBB105_86:                             ;   in Loop: Header=BB105_47 Depth=1
	v_readlane_b32 s88, v26, 24
	v_mov_b32_e32 v2, s88
	ds_read_b32 v2, v2
	s_waitcnt lgkmcnt(0)
	v_add_u32_e32 v10, v10, v2
	s_or_b64 exec, exec, s[80:81]
	s_and_saveexec_b64 s[80:81], s[10:11]
	s_cbranch_execz .LBB105_55
.LBB105_87:                             ;   in Loop: Header=BB105_47 Depth=1
	v_readlane_b32 s88, v26, 25
	v_mov_b32_e32 v2, s88
	ds_read_b32 v2, v2
	s_waitcnt lgkmcnt(0)
	v_add_u32_e32 v10, v10, v2
	s_or_b64 exec, exec, s[80:81]
	s_and_saveexec_b64 s[80:81], s[12:13]
	s_cbranch_execz .LBB105_56
.LBB105_88:                             ;   in Loop: Header=BB105_47 Depth=1
	v_readlane_b32 s88, v26, 26
	v_mov_b32_e32 v2, s88
	ds_read_b32 v2, v2
	s_waitcnt lgkmcnt(0)
	v_add_u32_e32 v10, v10, v2
	s_or_b64 exec, exec, s[80:81]
	s_and_saveexec_b64 s[80:81], s[14:15]
	s_cbranch_execz .LBB105_57
.LBB105_89:                             ;   in Loop: Header=BB105_47 Depth=1
	v_readlane_b32 s88, v26, 27
	v_mov_b32_e32 v2, s88
	ds_read_b32 v2, v2
	s_waitcnt lgkmcnt(0)
	v_add_u32_e32 v10, v10, v2
	s_or_b64 exec, exec, s[80:81]
	s_and_saveexec_b64 s[80:81], s[16:17]
	s_cbranch_execz .LBB105_58
.LBB105_90:                             ;   in Loop: Header=BB105_47 Depth=1
	v_mov_b32_e32 v2, s90
	ds_read_b32 v2, v2
	s_waitcnt lgkmcnt(0)
	v_add_u32_e32 v10, v10, v2
	s_or_b64 exec, exec, s[80:81]
	s_and_saveexec_b64 s[80:81], s[18:19]
	s_cbranch_execz .LBB105_59
.LBB105_91:                             ;   in Loop: Header=BB105_47 Depth=1
	v_mov_b32_e32 v2, s91
	ds_read_b32 v2, v2
	s_waitcnt lgkmcnt(0)
	v_add_u32_e32 v10, v10, v2
	s_or_b64 exec, exec, s[80:81]
	s_and_saveexec_b64 s[80:81], s[20:21]
	s_cbranch_execz .LBB105_60
.LBB105_92:                             ;   in Loop: Header=BB105_47 Depth=1
	v_mov_b32_e32 v2, s92
	ds_read_b32 v2, v2
	s_waitcnt lgkmcnt(0)
	v_add_u32_e32 v10, v10, v2
	s_or_b64 exec, exec, s[80:81]
	s_and_saveexec_b64 s[80:81], s[22:23]
	s_cbranch_execz .LBB105_61
.LBB105_93:                             ;   in Loop: Header=BB105_47 Depth=1
	v_mov_b32_e32 v2, s93
	ds_read_b32 v2, v2
	s_waitcnt lgkmcnt(0)
	v_add_u32_e32 v10, v10, v2
	s_or_b64 exec, exec, s[80:81]
	s_and_saveexec_b64 s[80:81], s[24:25]
	s_cbranch_execz .LBB105_62
.LBB105_94:                             ;   in Loop: Header=BB105_47 Depth=1
	v_mov_b32_e32 v2, s94
	ds_read_b32 v2, v2
	s_waitcnt lgkmcnt(0)
	v_add_u32_e32 v10, v10, v2
	s_or_b64 exec, exec, s[80:81]
	s_and_saveexec_b64 s[80:81], s[26:27]
	s_cbranch_execz .LBB105_63
.LBB105_95:                             ;   in Loop: Header=BB105_47 Depth=1
	v_mov_b32_e32 v2, s95
	ds_read_b32 v2, v2
	s_waitcnt lgkmcnt(0)
	v_add_u32_e32 v10, v10, v2
	s_or_b64 exec, exec, s[80:81]
	s_and_saveexec_b64 s[80:81], s[28:29]
	s_cbranch_execz .LBB105_64
.LBB105_96:                             ;   in Loop: Header=BB105_47 Depth=1
	v_mov_b32_e32 v2, s78
	ds_read_b32 v2, v2
	s_waitcnt lgkmcnt(0)
	v_add_u32_e32 v10, v10, v2
	s_or_b64 exec, exec, s[80:81]
	s_and_saveexec_b64 s[80:81], s[30:31]
	s_cbranch_execz .LBB105_65
.LBB105_97:                             ;   in Loop: Header=BB105_47 Depth=1
	v_mov_b32_e32 v2, s79
	ds_read_b32 v2, v2
	s_waitcnt lgkmcnt(0)
	v_add_u32_e32 v10, v10, v2
	s_or_b64 exec, exec, s[80:81]
	s_and_saveexec_b64 s[80:81], s[34:35]
	s_cbranch_execz .LBB105_66
.LBB105_98:                             ;   in Loop: Header=BB105_47 Depth=1
	v_mov_b32_e32 v2, s70
	ds_read_b32 v2, v2
	s_waitcnt lgkmcnt(0)
	v_add_u32_e32 v10, v10, v2
	s_or_b64 exec, exec, s[80:81]
	s_and_saveexec_b64 s[80:81], s[36:37]
	s_cbranch_execz .LBB105_67
.LBB105_99:                             ;   in Loop: Header=BB105_47 Depth=1
	v_mov_b32_e32 v2, s66
	ds_read_b32 v2, v2
	s_waitcnt lgkmcnt(0)
	v_add_u32_e32 v10, v10, v2
	s_or_b64 exec, exec, s[80:81]
	s_and_saveexec_b64 s[80:81], s[38:39]
	s_cbranch_execz .LBB105_68
.LBB105_100:                            ;   in Loop: Header=BB105_47 Depth=1
	v_mov_b32_e32 v2, s67
	ds_read_b32 v2, v2
	s_waitcnt lgkmcnt(0)
	v_add_u32_e32 v10, v10, v2
	s_or_b64 exec, exec, s[80:81]
	s_and_saveexec_b64 s[80:81], s[40:41]
	s_cbranch_execz .LBB105_69
.LBB105_101:                            ;   in Loop: Header=BB105_47 Depth=1
	v_mov_b32_e32 v2, s72
	ds_read_b32 v2, v2
	s_waitcnt lgkmcnt(0)
	v_add_u32_e32 v10, v10, v2
	s_or_b64 exec, exec, s[80:81]
	s_and_saveexec_b64 s[80:81], s[42:43]
	s_cbranch_execz .LBB105_70
.LBB105_102:                            ;   in Loop: Header=BB105_47 Depth=1
	v_mov_b32_e32 v2, s73
	ds_read_b32 v2, v2
	s_waitcnt lgkmcnt(0)
	v_add_u32_e32 v10, v10, v2
	s_or_b64 exec, exec, s[80:81]
	s_and_saveexec_b64 s[80:81], s[44:45]
	s_cbranch_execz .LBB105_71
.LBB105_103:                            ;   in Loop: Header=BB105_47 Depth=1
	v_mov_b32_e32 v2, s74
	ds_read_b32 v2, v2
	s_waitcnt lgkmcnt(0)
	v_add_u32_e32 v10, v10, v2
	s_or_b64 exec, exec, s[80:81]
	s_and_saveexec_b64 s[80:81], s[46:47]
	s_cbranch_execz .LBB105_72
.LBB105_104:                            ;   in Loop: Header=BB105_47 Depth=1
	v_mov_b32_e32 v2, s75
	ds_read_b32 v2, v2
	s_waitcnt lgkmcnt(0)
	v_add_u32_e32 v10, v10, v2
	s_or_b64 exec, exec, s[80:81]
	s_and_saveexec_b64 s[80:81], s[48:49]
	s_cbranch_execz .LBB105_73
.LBB105_105:                            ;   in Loop: Header=BB105_47 Depth=1
	v_mov_b32_e32 v2, s33
	ds_read_b32 v2, v2
	s_waitcnt lgkmcnt(0)
	v_add_u32_e32 v10, v10, v2
	s_or_b64 exec, exec, s[80:81]
	s_and_saveexec_b64 s[80:81], s[50:51]
	s_cbranch_execz .LBB105_74
.LBB105_106:                            ;   in Loop: Header=BB105_47 Depth=1
	v_mov_b32_e32 v2, s71
	ds_read_b32 v2, v2
	s_waitcnt lgkmcnt(0)
	v_add_u32_e32 v10, v10, v2
	s_or_b64 exec, exec, s[80:81]
	s_and_saveexec_b64 s[80:81], s[52:53]
	s_cbranch_execz .LBB105_75
.LBB105_107:                            ;   in Loop: Header=BB105_47 Depth=1
	v_mov_b32_e32 v2, s82
	ds_read_b32 v2, v2
	s_waitcnt lgkmcnt(0)
	v_add_u32_e32 v10, v10, v2
	s_or_b64 exec, exec, s[80:81]
	s_and_saveexec_b64 s[80:81], s[54:55]
	s_cbranch_execz .LBB105_76
.LBB105_108:                            ;   in Loop: Header=BB105_47 Depth=1
	v_mov_b32_e32 v2, s83
	ds_read_b32 v2, v2
	s_waitcnt lgkmcnt(0)
	v_add_u32_e32 v10, v10, v2
	s_or_b64 exec, exec, s[80:81]
	s_and_saveexec_b64 s[80:81], s[56:57]
	s_cbranch_execz .LBB105_77
.LBB105_109:                            ;   in Loop: Header=BB105_47 Depth=1
	v_mov_b32_e32 v2, s84
	ds_read_b32 v2, v2
	s_waitcnt lgkmcnt(0)
	v_add_u32_e32 v10, v10, v2
	s_or_b64 exec, exec, s[80:81]
	s_and_saveexec_b64 s[80:81], s[58:59]
	s_cbranch_execz .LBB105_78
.LBB105_110:                            ;   in Loop: Header=BB105_47 Depth=1
	v_mov_b32_e32 v2, s85
	ds_read_b32 v2, v2
	s_waitcnt lgkmcnt(0)
	v_add_u32_e32 v10, v10, v2
	s_or_b64 exec, exec, s[80:81]
	v_ashrrev_i32_e32 v11, 31, v10
	s_and_saveexec_b64 s[80:81], s[64:65]
	s_cbranch_execz .LBB105_79
.LBB105_111:                            ;   in Loop: Header=BB105_47 Depth=1
	v_add3_u32 v2, v6, -1, v10
	v_lshl_add_u32 v16, v2, 3, 0
	v_lshl_add_u32 v2, v2, 2, 0
	v_add_u32_e32 v2, 0x20000, v2
	ds_write_b64 v16, v[8:9]
	ds_write_b32 v2, v13
	s_or_b64 exec, exec, s[80:81]
	s_and_saveexec_b64 s[64:65], vcc
	s_cbranch_execz .LBB105_46
.LBB105_112:                            ;   in Loop: Header=BB105_47 Depth=1
	v_mov_b32_e32 v2, s86
	ds_write_b64 v2, v[10:11]
	s_branch .LBB105_46
.LBB105_113:
	s_or_b64 exec, exec, s[68:69]
	v_readlane_b32 s0, v26, 4
	v_readlane_b32 s4, v26, 6
	;; [unrolled: 1-line block ×7, first 2 shown]
	s_lshl_b64 s[0:1], s[0:1], 3
	s_mov_b64 s[6:7], s[10:11]
	s_add_u32 s0, s6, s0
	s_addc_u32 s1, s7, s1
	s_load_dwordx4 s[0:3], s[0:1], 0x0
	v_readlane_b32 s5, v26, 7
	v_mov_b32_e32 v1, 0
	v_readlane_b32 s8, v26, 10
	v_readlane_b32 s9, v26, 11
	s_waitcnt lgkmcnt(0)
	s_sub_u32 s4, s2, s0
	s_subb_u32 s5, s3, s1
	v_cmp_gt_i64_e32 vcc, s[4:5], v[0:1]
	s_and_saveexec_b64 s[6:7], vcc
	v_readlane_b32 s16, v26, 14
	v_readlane_b32 s18, v26, 16
	;; [unrolled: 1-line block ×4, first 2 shown]
	s_cbranch_execz .LBB105_123
; %bb.114:
	s_sub_u32 s6, s0, s18
	s_subb_u32 s7, s1, 0
	s_and_b32 s8, s4, 7
	s_sub_u32 s0, s0, s2
	s_mov_b32 s16, 0
	s_subb_u32 s1, s1, s3
	s_mov_b32 s9, s16
	s_and_b32 s2, s4, -8
	v_cmp_lt_u64_e64 s[0:1], s[0:1], -7
	s_cmp_lg_u64 s[8:9], 0
	v_cndmask_b32_e64 v2, 0, 1, s[0:1]
	s_mov_b32 s3, s5
	s_mov_b64 s[10:11], 0
	s_cselect_b64 s[12:13], -1, 0
	v_cmp_ne_u32_e64 s[0:1], 1, v2
	s_branch .LBB105_116
.LBB105_115:                            ;   in Loop: Header=BB105_116 Depth=1
	v_mov_b32_e32 v7, s16
	s_waitcnt lgkmcnt(1)
	v_add_co_u32_e32 v2, vcc, s18, v2
	v_readlane_b32 s20, v26, 0
	v_addc_co_u32_e32 v3, vcc, v3, v7, vcc
	v_lshlrev_b64 v[8:9], 3, v[4:5]
	v_readlane_b32 s21, v26, 1
	v_mov_b32_e32 v7, s21
	v_add_co_u32_e32 v8, vcc, s20, v8
	v_addc_co_u32_e32 v9, vcc, v7, v9, vcc
	v_readlane_b32 s22, v26, 2
	v_readlane_b32 s23, v26, 3
	global_store_dwordx2 v[8:9], v[2:3], off
	v_lshlrev_b64 v[2:3], 2, v[4:5]
	v_mov_b32_e32 v4, s23
	v_add_co_u32_e32 v2, vcc, s22, v2
	v_addc_co_u32_e32 v3, vcc, v4, v3, vcc
	v_add_co_u32_e32 v0, vcc, 0x400, v0
	v_addc_co_u32_e32 v1, vcc, 0, v1, vcc
	v_cmp_le_i64_e32 vcc, s[4:5], v[0:1]
	s_or_b64 s[10:11], vcc, s[10:11]
	s_waitcnt lgkmcnt(0)
	global_store_dword v[2:3], v6, off
	s_andn2_b64 exec, exec, s[10:11]
	s_cbranch_execz .LBB105_123
.LBB105_116:                            ; =>This Loop Header: Depth=1
                                        ;     Child Loop BB105_118 Depth 2
                                        ;     Child Loop BB105_122 Depth 2
	v_lshl_add_u32 v2, v0, 3, 0
	v_lshl_add_u32 v3, v0, 2, 0
	v_add_u32_e32 v4, 0x20000, v3
	ds_read_b64 v[2:3], v2
	ds_read_b32 v6, v4
	s_and_b64 vcc, exec, s[0:1]
	v_pk_mov_b32 v[4:5], s[6:7], s[6:7] op_sel:[0,1]
	s_mov_b64 s[14:15], 0
	s_cbranch_vccnz .LBB105_120
; %bb.117:                              ;   in Loop: Header=BB105_116 Depth=1
	s_mov_b32 s17, 0
	v_pk_mov_b32 v[4:5], s[6:7], s[6:7] op_sel:[0,1]
.LBB105_118:                            ;   Parent Loop BB105_116 Depth=1
                                        ; =>  This Inner Loop Header: Depth=2
	v_mov_b32_e32 v7, s17
	ds_read2_b64 v[8:11], v7 offset1:1
	ds_read2_b64 v[12:15], v7 offset0:2 offset1:3
	ds_read2_b64 v[16:19], v7 offset0:4 offset1:5
	;; [unrolled: 1-line block ×3, first 2 shown]
	s_add_u32 s14, s14, 8
	s_waitcnt lgkmcnt(3)
	v_cmp_gt_i64_e32 vcc, v[2:3], v[8:9]
	v_cndmask_b32_e64 v7, 0, 1, vcc
	v_cmp_gt_i64_e32 vcc, v[2:3], v[10:11]
	v_cndmask_b32_e64 v8, 0, 1, vcc
	s_waitcnt lgkmcnt(2)
	v_cmp_gt_i64_e32 vcc, v[2:3], v[12:13]
	v_cndmask_b32_e64 v9, 0, 1, vcc
	v_cmp_gt_i64_e32 vcc, v[2:3], v[14:15]
	v_cndmask_b32_e64 v10, 0, 1, vcc
	;; [unrolled: 5-line block ×4, first 2 shown]
	v_add_co_u32_e32 v4, vcc, v4, v7
	v_addc_co_u32_e32 v5, vcc, 0, v5, vcc
	v_add_co_u32_e32 v4, vcc, v4, v8
	v_addc_co_u32_e32 v5, vcc, 0, v5, vcc
	;; [unrolled: 2-line block ×7, first 2 shown]
	s_addc_u32 s15, s15, 0
	s_add_i32 s17, s17, 64
	v_add_co_u32_e32 v4, vcc, v4, v14
	s_cmp_eq_u64 s[2:3], s[14:15]
	v_addc_co_u32_e32 v5, vcc, 0, v5, vcc
	s_cbranch_scc0 .LBB105_118
; %bb.119:                              ;   in Loop: Header=BB105_116 Depth=1
	s_mov_b64 s[14:15], s[2:3]
.LBB105_120:                            ;   in Loop: Header=BB105_116 Depth=1
	s_andn2_b64 vcc, exec, s[12:13]
	s_cbranch_vccnz .LBB105_115
; %bb.121:                              ;   in Loop: Header=BB105_116 Depth=1
	s_lshl_b32 s14, s14, 3
	s_add_i32 s17, s14, 0
	s_mov_b64 s[14:15], s[8:9]
.LBB105_122:                            ;   Parent Loop BB105_116 Depth=1
                                        ; =>  This Inner Loop Header: Depth=2
	v_mov_b32_e32 v7, s17
	ds_read_b64 v[8:9], v7
	s_add_i32 s17, s17, 8
	s_add_u32 s14, s14, -1
	s_addc_u32 s15, s15, -1
	s_cmp_lg_u64 s[14:15], 0
	s_waitcnt lgkmcnt(0)
	v_cmp_gt_i64_e32 vcc, v[2:3], v[8:9]
	v_cndmask_b32_e64 v7, 0, 1, vcc
	v_add_co_u32_e32 v4, vcc, v4, v7
	v_addc_co_u32_e32 v5, vcc, 0, v5, vcc
	s_cbranch_scc1 .LBB105_122
	s_branch .LBB105_115
.LBB105_123:
	s_endpgm
	.section	.rodata,"a",@progbits
	.p2align	6, 0x0
	.amdhsa_kernel _ZN9rocsparseL26csrgemm_fill_block_per_rowILj1024ELj64ELj16384ELj137ELj32EllfEEvT5_PKS1_S3_NS_24const_host_device_scalarIT6_EEPKT4_S3_PKS5_S9_S3_SB_S6_S9_S3_SB_S9_PS1_PS5_21rocsparse_index_base_SE_SE_SE_bbb
		.amdhsa_group_segment_fixed_size 0
		.amdhsa_private_segment_fixed_size 0
		.amdhsa_kernarg_size 156
		.amdhsa_user_sgpr_count 6
		.amdhsa_user_sgpr_private_segment_buffer 1
		.amdhsa_user_sgpr_dispatch_ptr 0
		.amdhsa_user_sgpr_queue_ptr 0
		.amdhsa_user_sgpr_kernarg_segment_ptr 1
		.amdhsa_user_sgpr_dispatch_id 0
		.amdhsa_user_sgpr_flat_scratch_init 0
		.amdhsa_user_sgpr_kernarg_preload_length 0
		.amdhsa_user_sgpr_kernarg_preload_offset 0
		.amdhsa_user_sgpr_private_segment_size 0
		.amdhsa_uses_dynamic_stack 0
		.amdhsa_system_sgpr_private_segment_wavefront_offset 0
		.amdhsa_system_sgpr_workgroup_id_x 1
		.amdhsa_system_sgpr_workgroup_id_y 0
		.amdhsa_system_sgpr_workgroup_id_z 0
		.amdhsa_system_sgpr_workgroup_info 0
		.amdhsa_system_vgpr_workitem_id 0
		.amdhsa_next_free_vgpr 27
		.amdhsa_next_free_sgpr 96
		.amdhsa_accum_offset 28
		.amdhsa_reserve_vcc 1
		.amdhsa_reserve_flat_scratch 0
		.amdhsa_float_round_mode_32 0
		.amdhsa_float_round_mode_16_64 0
		.amdhsa_float_denorm_mode_32 3
		.amdhsa_float_denorm_mode_16_64 3
		.amdhsa_dx10_clamp 1
		.amdhsa_ieee_mode 1
		.amdhsa_fp16_overflow 0
		.amdhsa_tg_split 0
		.amdhsa_exception_fp_ieee_invalid_op 0
		.amdhsa_exception_fp_denorm_src 0
		.amdhsa_exception_fp_ieee_div_zero 0
		.amdhsa_exception_fp_ieee_overflow 0
		.amdhsa_exception_fp_ieee_underflow 0
		.amdhsa_exception_fp_ieee_inexact 0
		.amdhsa_exception_int_div_zero 0
	.end_amdhsa_kernel
	.section	.text._ZN9rocsparseL26csrgemm_fill_block_per_rowILj1024ELj64ELj16384ELj137ELj32EllfEEvT5_PKS1_S3_NS_24const_host_device_scalarIT6_EEPKT4_S3_PKS5_S9_S3_SB_S6_S9_S3_SB_S9_PS1_PS5_21rocsparse_index_base_SE_SE_SE_bbb,"axG",@progbits,_ZN9rocsparseL26csrgemm_fill_block_per_rowILj1024ELj64ELj16384ELj137ELj32EllfEEvT5_PKS1_S3_NS_24const_host_device_scalarIT6_EEPKT4_S3_PKS5_S9_S3_SB_S6_S9_S3_SB_S9_PS1_PS5_21rocsparse_index_base_SE_SE_SE_bbb,comdat
.Lfunc_end105:
	.size	_ZN9rocsparseL26csrgemm_fill_block_per_rowILj1024ELj64ELj16384ELj137ELj32EllfEEvT5_PKS1_S3_NS_24const_host_device_scalarIT6_EEPKT4_S3_PKS5_S9_S3_SB_S6_S9_S3_SB_S9_PS1_PS5_21rocsparse_index_base_SE_SE_SE_bbb, .Lfunc_end105-_ZN9rocsparseL26csrgemm_fill_block_per_rowILj1024ELj64ELj16384ELj137ELj32EllfEEvT5_PKS1_S3_NS_24const_host_device_scalarIT6_EEPKT4_S3_PKS5_S9_S3_SB_S6_S9_S3_SB_S9_PS1_PS5_21rocsparse_index_base_SE_SE_SE_bbb
                                        ; -- End function
	.section	.AMDGPU.csdata,"",@progbits
; Kernel info:
; codeLenInByte = 4936
; NumSgprs: 100
; NumVgprs: 27
; NumAgprs: 0
; TotalNumVgprs: 27
; ScratchSize: 0
; MemoryBound: 0
; FloatMode: 240
; IeeeMode: 1
; LDSByteSize: 0 bytes/workgroup (compile time only)
; SGPRBlocks: 12
; VGPRBlocks: 3
; NumSGPRsForWavesPerEU: 100
; NumVGPRsForWavesPerEU: 27
; AccumOffset: 28
; Occupancy: 8
; WaveLimiterHint : 1
; COMPUTE_PGM_RSRC2:SCRATCH_EN: 0
; COMPUTE_PGM_RSRC2:USER_SGPR: 6
; COMPUTE_PGM_RSRC2:TRAP_HANDLER: 0
; COMPUTE_PGM_RSRC2:TGID_X_EN: 1
; COMPUTE_PGM_RSRC2:TGID_Y_EN: 0
; COMPUTE_PGM_RSRC2:TGID_Z_EN: 0
; COMPUTE_PGM_RSRC2:TIDIG_COMP_CNT: 0
; COMPUTE_PGM_RSRC3_GFX90A:ACCUM_OFFSET: 6
; COMPUTE_PGM_RSRC3_GFX90A:TG_SPLIT: 0
	.section	.text._ZN9rocsparseL26csrgemm_fill_block_per_rowILj1024ELj64ELj16384ELj137ELj64EllfEEvT5_PKS1_S3_NS_24const_host_device_scalarIT6_EEPKT4_S3_PKS5_S9_S3_SB_S6_S9_S3_SB_S9_PS1_PS5_21rocsparse_index_base_SE_SE_SE_bbb,"axG",@progbits,_ZN9rocsparseL26csrgemm_fill_block_per_rowILj1024ELj64ELj16384ELj137ELj64EllfEEvT5_PKS1_S3_NS_24const_host_device_scalarIT6_EEPKT4_S3_PKS5_S9_S3_SB_S6_S9_S3_SB_S9_PS1_PS5_21rocsparse_index_base_SE_SE_SE_bbb,comdat
	.globl	_ZN9rocsparseL26csrgemm_fill_block_per_rowILj1024ELj64ELj16384ELj137ELj64EllfEEvT5_PKS1_S3_NS_24const_host_device_scalarIT6_EEPKT4_S3_PKS5_S9_S3_SB_S6_S9_S3_SB_S9_PS1_PS5_21rocsparse_index_base_SE_SE_SE_bbb ; -- Begin function _ZN9rocsparseL26csrgemm_fill_block_per_rowILj1024ELj64ELj16384ELj137ELj64EllfEEvT5_PKS1_S3_NS_24const_host_device_scalarIT6_EEPKT4_S3_PKS5_S9_S3_SB_S6_S9_S3_SB_S9_PS1_PS5_21rocsparse_index_base_SE_SE_SE_bbb
	.p2align	8
	.type	_ZN9rocsparseL26csrgemm_fill_block_per_rowILj1024ELj64ELj16384ELj137ELj64EllfEEvT5_PKS1_S3_NS_24const_host_device_scalarIT6_EEPKT4_S3_PKS5_S9_S3_SB_S6_S9_S3_SB_S9_PS1_PS5_21rocsparse_index_base_SE_SE_SE_bbb,@function
_ZN9rocsparseL26csrgemm_fill_block_per_rowILj1024ELj64ELj16384ELj137ELj64EllfEEvT5_PKS1_S3_NS_24const_host_device_scalarIT6_EEPKT4_S3_PKS5_S9_S3_SB_S6_S9_S3_SB_S9_PS1_PS5_21rocsparse_index_base_SE_SE_SE_bbb: ; @_ZN9rocsparseL26csrgemm_fill_block_per_rowILj1024ELj64ELj16384ELj137ELj64EllfEEvT5_PKS1_S3_NS_24const_host_device_scalarIT6_EEPKT4_S3_PKS5_S9_S3_SB_S6_S9_S3_SB_S9_PS1_PS5_21rocsparse_index_base_SE_SE_SE_bbb
; %bb.0:
	s_load_dword s7, s[4:5], 0x98
	s_load_dwordx4 s[44:47], s[4:5], 0x88
	s_load_dwordx2 s[0:1], s[4:5], 0x18
	s_load_dwordx2 s[24:25], s[4:5], 0x50
	s_waitcnt lgkmcnt(0)
	s_bitcmp1_b32 s7, 0
	s_cselect_b64 s[2:3], -1, 0
	s_bitcmp1_b32 s7, 16
	s_cselect_b64 s[26:27], -1, 0
	s_xor_b64 s[8:9], s[2:3], -1
	s_or_b64 s[8:9], s[8:9], s[26:27]
	s_and_b64 vcc, exec, s[8:9]
	s_cbranch_vccnz .LBB106_2
; %bb.1:
	s_load_dword s0, s[0:1], 0x0
	s_waitcnt lgkmcnt(0)
	v_mov_b32_e32 v17, s0
	s_branch .LBB106_3
.LBB106_2:
	v_mov_b32_e32 v1, s0
	v_cndmask_b32_e64 v17, 0, v1, s[2:3]
.LBB106_3:
	s_load_dwordx4 s[48:51], s[4:5], 0x78
	s_load_dwordx8 s[36:43], s[4:5], 0x58
	s_load_dwordx4 s[16:19], s[4:5], 0x40
	s_load_dwordx4 s[20:23], s[4:5], 0x8
	s_load_dwordx8 s[8:15], s[4:5], 0x20
	s_bitcmp1_b32 s7, 8
	s_cselect_b64 s[0:1], -1, 0
	s_xor_b64 s[28:29], s[0:1], -1
	s_or_b64 s[26:27], s[28:29], s[26:27]
	s_and_b64 vcc, exec, s[26:27]
	s_cbranch_vccnz .LBB106_5
; %bb.4:
	s_load_dword s7, s[24:25], 0x0
	s_waitcnt lgkmcnt(0)
	v_mov_b32_e32 v11, s7
	s_branch .LBB106_6
.LBB106_5:
	v_mov_b32_e32 v1, s24
	v_cndmask_b32_e64 v11, 0, v1, s[0:1]
.LBB106_6:
	s_load_dwordx2 s[34:35], s[4:5], 0x0
	v_lshl_add_u32 v2, v0, 2, 0
	v_or_b32_e32 v1, 0xfffffc00, v0
	v_add_u32_e32 v14, 0x20000, v2
	v_lshl_add_u32 v15, v0, 3, 0
	s_mov_b64 s[4:5], 0
	s_waitcnt lgkmcnt(0)
	v_pk_mov_b32 v[2:3], s[34:35], s[34:35] op_sel:[0,1]
	v_mov_b32_e32 v4, 0
	s_movk_i32 s7, 0x3bff
	v_mov_b32_e32 v5, v15
	v_mov_b32_e32 v6, v14
	v_mov_b32_e32 v7, v1
.LBB106_7:                              ; =>This Inner Loop Header: Depth=1
	v_add_u32_e32 v7, 0x400, v7
	v_cmp_lt_u32_e32 vcc, s7, v7
	ds_write_b64 v5, v[2:3]
	ds_write_b32 v6, v4
	v_add_u32_e32 v6, 0x1000, v6
	s_or_b64 s[4:5], vcc, s[4:5]
	v_add_u32_e32 v5, 0x2000, v5
	s_andn2_b64 exec, exec, s[4:5]
	s_cbranch_execnz .LBB106_7
; %bb.8:
	s_or_b64 exec, exec, s[4:5]
	s_waitcnt lgkmcnt(0)
	s_barrier
	s_load_dwordx2 s[4:5], s[20:21], 0x0
	s_mov_b32 s7, 0
	v_lshrrev_b32_e32 v16, 6, v0
	s_waitcnt lgkmcnt(0)
	s_lshl_b64 s[4:5], s[4:5], 3
	s_add_u32 s20, s22, s4
	s_addc_u32 s21, s23, s5
	s_lshl_b64 s[4:5], s[6:7], 3
	s_add_u32 s4, s20, s4
	s_addc_u32 s5, s21, s5
	s_load_dwordx2 s[52:53], s[4:5], 0x0
	s_and_b64 vcc, exec, s[2:3]
	s_cbranch_vccz .LBB106_28
; %bb.9:
	s_waitcnt lgkmcnt(0)
	s_lshl_b64 s[2:3], s[52:53], 3
	s_add_u32 s2, s8, s2
	s_addc_u32 s3, s9, s3
	s_load_dwordx4 s[20:23], s[2:3], 0x0
	v_subrev_co_u32_e32 v2, vcc, s44, v16
	v_subb_co_u32_e64 v3, s[4:5], 0, 0, vcc
	s_waitcnt lgkmcnt(0)
	s_sub_u32 s2, s22, s44
	v_mov_b32_e32 v4, s21
	v_add_co_u32_e32 v2, vcc, s20, v2
	s_subb_u32 s3, s23, 0
	v_addc_co_u32_e32 v3, vcc, v4, v3, vcc
	v_cmp_gt_i64_e32 vcc, s[2:3], v[2:3]
	s_and_saveexec_b64 s[4:5], vcc
	s_cbranch_execz .LBB106_27
; %bb.10:
	v_and_b32_e32 v4, 63, v0
	v_subrev_co_u32_e32 v18, vcc, s45, v4
	s_mov_b32 s6, 0
	v_subb_co_u32_e64 v19, s[8:9], 0, 0, vcc
	s_mov_b32 s33, s44
	s_mov_b32 s54, s45
	s_mov_b64 s[8:9], 0
	v_mov_b32_e32 v20, s11
	v_mov_b32_e32 v21, s7
	;; [unrolled: 1-line block ×4, first 2 shown]
	s_movk_i32 s11, 0x89
	s_branch .LBB106_12
.LBB106_11:                             ;   in Loop: Header=BB106_12 Depth=1
	s_or_b64 exec, exec, s[6:7]
	v_add_co_u32_e32 v2, vcc, 16, v2
	v_addc_co_u32_e32 v3, vcc, 0, v3, vcc
	v_cmp_le_i64_e32 vcc, s[2:3], v[2:3]
	s_or_b64 s[8:9], vcc, s[8:9]
	s_andn2_b64 exec, exec, s[8:9]
	s_cbranch_execz .LBB106_27
.LBB106_12:                             ; =>This Loop Header: Depth=1
                                        ;     Child Loop BB106_15 Depth 2
                                        ;       Child Loop BB106_17 Depth 3
	v_lshlrev_b64 v[4:5], 3, v[2:3]
	v_add_co_u32_e32 v4, vcc, s10, v4
	v_addc_co_u32_e32 v5, vcc, v20, v5, vcc
	global_load_dwordx2 v[4:5], v[4:5], off
	s_waitcnt vmcnt(0)
	v_subrev_co_u32_e32 v4, vcc, s33, v4
	v_subb_co_u32_e32 v5, vcc, v5, v21, vcc
	v_lshlrev_b64 v[4:5], 3, v[4:5]
	v_add_co_u32_e32 v4, vcc, s14, v4
	v_addc_co_u32_e32 v5, vcc, v22, v5, vcc
	global_load_dwordx4 v[6:9], v[4:5], off
	s_waitcnt vmcnt(0)
	v_subrev_co_u32_e32 v4, vcc, s54, v8
	v_subb_co_u32_e32 v5, vcc, v9, v23, vcc
	v_add_co_u32_e32 v6, vcc, v6, v18
	v_addc_co_u32_e32 v7, vcc, v7, v19, vcc
	v_cmp_lt_i64_e32 vcc, v[6:7], v[4:5]
	s_and_saveexec_b64 s[6:7], vcc
	s_cbranch_execz .LBB106_11
; %bb.13:                               ;   in Loop: Header=BB106_12 Depth=1
	v_lshlrev_b64 v[8:9], 2, v[2:3]
	v_mov_b32_e32 v10, s13
	v_add_co_u32_e32 v8, vcc, s12, v8
	v_addc_co_u32_e32 v9, vcc, v10, v9, vcc
	global_load_dword v8, v[8:9], off
	s_mov_b64 s[20:21], 0
	s_waitcnt vmcnt(0)
	v_mul_f32_e32 v24, v17, v8
	s_branch .LBB106_15
.LBB106_14:                             ;   in Loop: Header=BB106_15 Depth=2
	s_or_b64 exec, exec, s[22:23]
	v_add_co_u32_e32 v6, vcc, 64, v6
	v_addc_co_u32_e32 v7, vcc, 0, v7, vcc
	v_cmp_ge_i64_e32 vcc, v[6:7], v[4:5]
	s_or_b64 s[20:21], vcc, s[20:21]
	s_andn2_b64 exec, exec, s[20:21]
	s_cbranch_execz .LBB106_11
.LBB106_15:                             ;   Parent Loop BB106_12 Depth=1
                                        ; =>  This Loop Header: Depth=2
                                        ;       Child Loop BB106_17 Depth 3
	v_lshlrev_b64 v[8:9], 3, v[6:7]
	v_mov_b32_e32 v10, s17
	v_add_co_u32_e32 v8, vcc, s16, v8
	v_addc_co_u32_e32 v9, vcc, v10, v9, vcc
	v_lshlrev_b64 v[12:13], 2, v[6:7]
	v_mov_b32_e32 v10, s19
	v_add_co_u32_e32 v12, vcc, s18, v12
	global_load_dwordx2 v[8:9], v[8:9], off
	v_addc_co_u32_e32 v13, vcc, v10, v13, vcc
	global_load_dword v10, v[12:13], off
	s_mov_b64 s[22:23], 0
	s_waitcnt vmcnt(1)
	v_subrev_co_u32_e32 v8, vcc, s54, v8
	v_subb_co_u32_e32 v9, vcc, v9, v23, vcc
	s_waitcnt vmcnt(0)
	v_mul_f32_e32 v25, v24, v10
	v_mul_lo_u32 v10, v8, s11
	v_and_b32_e32 v10, 0x3fff, v10
	s_branch .LBB106_17
.LBB106_16:                             ;   in Loop: Header=BB106_17 Depth=3
	s_or_b64 exec, exec, s[24:25]
	s_xor_b64 s[24:25], s[26:27], -1
	s_and_b64 s[24:25], exec, s[24:25]
	s_or_b64 s[22:23], s[24:25], s[22:23]
	s_andn2_b64 exec, exec, s[22:23]
	s_cbranch_execz .LBB106_14
.LBB106_17:                             ;   Parent Loop BB106_12 Depth=1
                                        ;     Parent Loop BB106_15 Depth=2
                                        ; =>    This Inner Loop Header: Depth=3
	v_lshl_add_u32 v26, v10, 3, 0
	ds_read_b64 v[12:13], v26
                                        ; implicit-def: $sgpr26_sgpr27
	s_waitcnt lgkmcnt(0)
	v_cmp_ne_u64_e32 vcc, v[12:13], v[8:9]
	s_and_saveexec_b64 s[24:25], vcc
	s_xor_b64 s[24:25], exec, s[24:25]
	s_cbranch_execz .LBB106_25
; %bb.18:                               ;   in Loop: Header=BB106_17 Depth=3
	v_cmp_ne_u64_e32 vcc, s[34:35], v[12:13]
                                        ; implicit-def: $sgpr26_sgpr27
	s_and_saveexec_b64 s[28:29], vcc
	s_xor_b64 s[28:29], exec, s[28:29]
; %bb.19:                               ;   in Loop: Header=BB106_17 Depth=3
	v_add_u32_e32 v10, 1, v10
	v_and_b32_e32 v10, 0x3fff, v10
	s_mov_b64 s[26:27], -1
                                        ; implicit-def: $vgpr26
; %bb.20:                               ;   in Loop: Header=BB106_17 Depth=3
	s_andn2_saveexec_b64 s[28:29], s[28:29]
	s_cbranch_execz .LBB106_24
; %bb.21:                               ;   in Loop: Header=BB106_17 Depth=3
	v_pk_mov_b32 v[12:13], s[34:35], s[34:35] op_sel:[0,1]
	ds_cmpst_rtn_b64 v[12:13], v26, v[12:13], v[8:9]
	s_mov_b64 s[30:31], -1
	s_waitcnt lgkmcnt(0)
	v_cmp_eq_u64_e32 vcc, s[34:35], v[12:13]
	s_and_saveexec_b64 s[44:45], vcc
	s_cbranch_execz .LBB106_23
; %bb.22:                               ;   in Loop: Header=BB106_17 Depth=3
	v_lshl_add_u32 v12, v10, 2, 0
	v_add_u32_e32 v12, 0x20000, v12
	ds_add_f32 v12, v25
	s_xor_b64 s[30:31], exec, -1
.LBB106_23:                             ;   in Loop: Header=BB106_17 Depth=3
	s_or_b64 exec, exec, s[44:45]
	s_andn2_b64 s[26:27], s[26:27], exec
	s_and_b64 s[30:31], s[30:31], exec
	s_or_b64 s[26:27], s[26:27], s[30:31]
.LBB106_24:                             ;   in Loop: Header=BB106_17 Depth=3
	s_or_b64 exec, exec, s[28:29]
	s_and_b64 s[26:27], s[26:27], exec
.LBB106_25:                             ;   in Loop: Header=BB106_17 Depth=3
	s_andn2_saveexec_b64 s[24:25], s[24:25]
	s_cbranch_execz .LBB106_16
; %bb.26:                               ;   in Loop: Header=BB106_17 Depth=3
	v_lshl_add_u32 v12, v10, 2, 0
	v_add_u32_e32 v12, 0x20000, v12
	ds_add_f32 v12, v25
	s_andn2_b64 s[26:27], s[26:27], exec
	s_branch .LBB106_16
.LBB106_27:
	s_or_b64 exec, exec, s[4:5]
.LBB106_28:
	s_andn2_b64 vcc, exec, s[0:1]
	s_cbranch_vccnz .LBB106_45
; %bb.29:
	s_waitcnt lgkmcnt(0)
	s_lshl_b64 s[0:1], s[52:53], 3
	s_add_u32 s0, s36, s0
	s_addc_u32 s1, s37, s1
	s_load_dwordx4 s[8:11], s[0:1], 0x0
	v_subrev_co_u32_e32 v2, vcc, s47, v0
	v_subb_co_u32_e64 v3, s[2:3], 0, 0, vcc
	s_waitcnt lgkmcnt(0)
	s_sub_u32 s0, s10, s47
	v_mov_b32_e32 v4, s9
	v_add_co_u32_e32 v2, vcc, s8, v2
	s_subb_u32 s1, s11, 0
	v_addc_co_u32_e32 v3, vcc, v4, v3, vcc
	s_mov_b32 s6, 0
	v_cmp_gt_i64_e32 vcc, s[0:1], v[2:3]
	s_and_saveexec_b64 s[2:3], vcc
	s_cbranch_execz .LBB106_44
; %bb.30:
	s_mov_b32 s18, s47
	s_mov_b64 s[4:5], 0
	v_mov_b32_e32 v7, s39
	v_mov_b32_e32 v10, s6
	;; [unrolled: 1-line block ×3, first 2 shown]
	s_movk_i32 s19, 0x89
	s_branch .LBB106_32
.LBB106_31:                             ;   in Loop: Header=BB106_32 Depth=1
	s_or_b64 exec, exec, s[6:7]
	v_add_co_u32_e32 v2, vcc, 0x400, v2
	v_addc_co_u32_e32 v3, vcc, 0, v3, vcc
	v_cmp_le_i64_e32 vcc, s[0:1], v[2:3]
	s_or_b64 s[4:5], vcc, s[4:5]
	s_andn2_b64 exec, exec, s[4:5]
	s_cbranch_execz .LBB106_44
.LBB106_32:                             ; =>This Loop Header: Depth=1
                                        ;     Child Loop BB106_34 Depth 2
	v_lshlrev_b64 v[4:5], 3, v[2:3]
	v_add_co_u32_e32 v4, vcc, s38, v4
	v_addc_co_u32_e32 v5, vcc, v7, v5, vcc
	v_lshlrev_b64 v[8:9], 2, v[2:3]
	v_add_co_u32_e32 v8, vcc, s40, v8
	global_load_dwordx2 v[4:5], v[4:5], off
	v_addc_co_u32_e32 v9, vcc, v12, v9, vcc
	global_load_dword v6, v[8:9], off
	s_mov_b64 s[6:7], 0
	s_waitcnt vmcnt(1)
	v_subrev_co_u32_e32 v4, vcc, s18, v4
	v_subb_co_u32_e32 v5, vcc, v5, v10, vcc
	s_waitcnt vmcnt(0)
	v_mul_f32_e32 v13, v11, v6
	v_mul_lo_u32 v6, v4, s19
	v_and_b32_e32 v6, 0x3fff, v6
	s_branch .LBB106_34
.LBB106_33:                             ;   in Loop: Header=BB106_34 Depth=2
	s_or_b64 exec, exec, s[8:9]
	s_xor_b64 s[8:9], s[10:11], -1
	s_and_b64 s[8:9], exec, s[8:9]
	s_or_b64 s[6:7], s[8:9], s[6:7]
	s_andn2_b64 exec, exec, s[6:7]
	s_cbranch_execz .LBB106_31
.LBB106_34:                             ;   Parent Loop BB106_32 Depth=1
                                        ; =>  This Inner Loop Header: Depth=2
	v_lshl_add_u32 v17, v6, 3, 0
	ds_read_b64 v[8:9], v17
                                        ; implicit-def: $sgpr10_sgpr11
	s_waitcnt lgkmcnt(0)
	v_cmp_ne_u64_e32 vcc, v[8:9], v[4:5]
	s_and_saveexec_b64 s[8:9], vcc
	s_xor_b64 s[8:9], exec, s[8:9]
	s_cbranch_execz .LBB106_42
; %bb.35:                               ;   in Loop: Header=BB106_34 Depth=2
	v_cmp_ne_u64_e32 vcc, s[34:35], v[8:9]
                                        ; implicit-def: $sgpr10_sgpr11
	s_and_saveexec_b64 s[12:13], vcc
	s_xor_b64 s[12:13], exec, s[12:13]
; %bb.36:                               ;   in Loop: Header=BB106_34 Depth=2
	v_add_u32_e32 v6, 1, v6
	v_and_b32_e32 v6, 0x3fff, v6
	s_mov_b64 s[10:11], -1
                                        ; implicit-def: $vgpr17
; %bb.37:                               ;   in Loop: Header=BB106_34 Depth=2
	s_andn2_saveexec_b64 s[12:13], s[12:13]
	s_cbranch_execz .LBB106_41
; %bb.38:                               ;   in Loop: Header=BB106_34 Depth=2
	v_pk_mov_b32 v[8:9], s[34:35], s[34:35] op_sel:[0,1]
	ds_cmpst_rtn_b64 v[8:9], v17, v[8:9], v[4:5]
	s_mov_b64 s[14:15], -1
	s_waitcnt lgkmcnt(0)
	v_cmp_eq_u64_e32 vcc, s[34:35], v[8:9]
	s_and_saveexec_b64 s[16:17], vcc
	s_cbranch_execz .LBB106_40
; %bb.39:                               ;   in Loop: Header=BB106_34 Depth=2
	v_lshl_add_u32 v8, v6, 2, 0
	v_add_u32_e32 v8, 0x20000, v8
	ds_add_f32 v8, v13
	s_xor_b64 s[14:15], exec, -1
.LBB106_40:                             ;   in Loop: Header=BB106_34 Depth=2
	s_or_b64 exec, exec, s[16:17]
	s_andn2_b64 s[10:11], s[10:11], exec
	s_and_b64 s[14:15], s[14:15], exec
	s_or_b64 s[10:11], s[10:11], s[14:15]
.LBB106_41:                             ;   in Loop: Header=BB106_34 Depth=2
	s_or_b64 exec, exec, s[12:13]
	s_and_b64 s[10:11], s[10:11], exec
.LBB106_42:                             ;   in Loop: Header=BB106_34 Depth=2
	s_andn2_saveexec_b64 s[8:9], s[8:9]
	s_cbranch_execz .LBB106_33
; %bb.43:                               ;   in Loop: Header=BB106_34 Depth=2
	v_lshl_add_u32 v8, v6, 2, 0
	v_add_u32_e32 v8, 0x20000, v8
	ds_add_f32 v8, v13
	s_andn2_b64 s[10:11], s[10:11], exec
	s_branch .LBB106_33
.LBB106_44:
	s_or_b64 exec, exec, s[2:3]
.LBB106_45:
	v_mbcnt_lo_u32_b32 v2, -1, 0
	v_mbcnt_hi_u32_b32 v2, -1, v2
	v_sub_u32_e32 v2, 63, v2
	s_add_i32 s33, 0, 0x30000
	s_movk_i32 s0, 0x3ff
	s_movk_i32 s2, 0x7f
	;; [unrolled: 1-line block ×15, first 2 shown]
	s_add_i32 s63, 0, 0x30078
	v_mov_b32_e32 v3, 0
	v_lshrrev_b64 v[4:5], v2, -1
	v_lshl_add_u32 v12, v16, 3, s33
	v_cmp_eq_u32_e32 vcc, s0, v0
	v_cmp_lt_u32_e64 s[0:1], 63, v0
	v_cmp_lt_u32_e64 s[2:3], s2, v0
	;; [unrolled: 1-line block ×15, first 2 shown]
	s_mov_b64 s[36:37], 0
	v_pk_mov_b32 v[6:7], 0, 0
	s_add_i32 s40, 0, 0x30008
	s_add_i32 s41, 0, 0x30010
	;; [unrolled: 1-line block ×14, first 2 shown]
	v_mov_b32_e32 v13, s63
	s_movk_i32 s64, 0x3bff
	s_waitcnt lgkmcnt(0)
	s_barrier
	s_branch .LBB106_47
.LBB106_46:                             ;   in Loop: Header=BB106_47 Depth=1
	s_or_b64 exec, exec, s[30:31]
	s_waitcnt lgkmcnt(0)
	s_barrier
	ds_read_b64 v[8:9], v13
	v_add_u32_e32 v1, 0x400, v1
	v_add_u32_e32 v14, 0x1000, v14
	;; [unrolled: 1-line block ×3, first 2 shown]
	s_waitcnt lgkmcnt(0)
	v_add_co_u32_e64 v6, s[30:31], v8, v6
	v_addc_co_u32_e64 v7, s[30:31], v9, v7, s[30:31]
	v_cmp_lt_u32_e64 s[30:31], s64, v1
	s_or_b64 s[36:37], s[30:31], s[36:37]
	s_andn2_b64 exec, exec, s[36:37]
	s_cbranch_execz .LBB106_81
.LBB106_47:                             ; =>This Inner Loop Header: Depth=1
	ds_read_b64 v[8:9], v15
	ds_read_b32 v16, v14
	s_waitcnt lgkmcnt(0)
	s_barrier
	v_cmp_gt_i64_e64 s[30:31], s[34:35], v[8:9]
	v_and_b32_e32 v11, s30, v4
	s_bcnt1_i32_b64 s38, s[30:31]
	v_and_b32_e32 v10, s31, v5
	v_bcnt_u32_b32 v11, v11, 0
	v_mov_b32_e32 v2, s38
	v_bcnt_u32_b32 v10, v10, v11
	ds_write_b64 v12, v[2:3]
	s_waitcnt lgkmcnt(0)
	s_barrier
	s_and_saveexec_b64 s[38:39], s[0:1]
	s_cbranch_execnz .LBB106_64
; %bb.48:                               ;   in Loop: Header=BB106_47 Depth=1
	s_or_b64 exec, exec, s[38:39]
	s_and_saveexec_b64 s[38:39], s[2:3]
	s_cbranch_execnz .LBB106_65
.LBB106_49:                             ;   in Loop: Header=BB106_47 Depth=1
	s_or_b64 exec, exec, s[38:39]
	s_and_saveexec_b64 s[38:39], s[4:5]
	s_cbranch_execnz .LBB106_66
.LBB106_50:                             ;   in Loop: Header=BB106_47 Depth=1
	s_or_b64 exec, exec, s[38:39]
	s_and_saveexec_b64 s[38:39], s[6:7]
	s_cbranch_execnz .LBB106_67
.LBB106_51:                             ;   in Loop: Header=BB106_47 Depth=1
	s_or_b64 exec, exec, s[38:39]
	s_and_saveexec_b64 s[38:39], s[8:9]
	s_cbranch_execnz .LBB106_68
.LBB106_52:                             ;   in Loop: Header=BB106_47 Depth=1
	s_or_b64 exec, exec, s[38:39]
	s_and_saveexec_b64 s[38:39], s[10:11]
	s_cbranch_execnz .LBB106_69
.LBB106_53:                             ;   in Loop: Header=BB106_47 Depth=1
	s_or_b64 exec, exec, s[38:39]
	s_and_saveexec_b64 s[38:39], s[12:13]
	s_cbranch_execnz .LBB106_70
.LBB106_54:                             ;   in Loop: Header=BB106_47 Depth=1
	s_or_b64 exec, exec, s[38:39]
	s_and_saveexec_b64 s[38:39], s[14:15]
	s_cbranch_execnz .LBB106_71
.LBB106_55:                             ;   in Loop: Header=BB106_47 Depth=1
	s_or_b64 exec, exec, s[38:39]
	s_and_saveexec_b64 s[38:39], s[16:17]
	s_cbranch_execnz .LBB106_72
.LBB106_56:                             ;   in Loop: Header=BB106_47 Depth=1
	s_or_b64 exec, exec, s[38:39]
	s_and_saveexec_b64 s[38:39], s[18:19]
	s_cbranch_execnz .LBB106_73
.LBB106_57:                             ;   in Loop: Header=BB106_47 Depth=1
	s_or_b64 exec, exec, s[38:39]
	s_and_saveexec_b64 s[38:39], s[20:21]
	s_cbranch_execnz .LBB106_74
.LBB106_58:                             ;   in Loop: Header=BB106_47 Depth=1
	s_or_b64 exec, exec, s[38:39]
	s_and_saveexec_b64 s[38:39], s[22:23]
	s_cbranch_execnz .LBB106_75
.LBB106_59:                             ;   in Loop: Header=BB106_47 Depth=1
	s_or_b64 exec, exec, s[38:39]
	s_and_saveexec_b64 s[38:39], s[24:25]
	s_cbranch_execnz .LBB106_76
.LBB106_60:                             ;   in Loop: Header=BB106_47 Depth=1
	s_or_b64 exec, exec, s[38:39]
	s_and_saveexec_b64 s[38:39], s[26:27]
	s_cbranch_execnz .LBB106_77
.LBB106_61:                             ;   in Loop: Header=BB106_47 Depth=1
	s_or_b64 exec, exec, s[38:39]
	s_and_saveexec_b64 s[38:39], s[28:29]
	s_cbranch_execnz .LBB106_78
.LBB106_62:                             ;   in Loop: Header=BB106_47 Depth=1
	s_or_b64 exec, exec, s[38:39]
	v_ashrrev_i32_e32 v11, 31, v10
	s_and_saveexec_b64 s[38:39], s[30:31]
	s_cbranch_execnz .LBB106_79
.LBB106_63:                             ;   in Loop: Header=BB106_47 Depth=1
	s_or_b64 exec, exec, s[38:39]
	s_and_saveexec_b64 s[30:31], vcc
	s_cbranch_execz .LBB106_46
	s_branch .LBB106_80
.LBB106_64:                             ;   in Loop: Header=BB106_47 Depth=1
	v_mov_b32_e32 v2, s33
	ds_read_b32 v2, v2
	s_waitcnt lgkmcnt(0)
	v_add_u32_e32 v10, v2, v10
	s_or_b64 exec, exec, s[38:39]
	s_and_saveexec_b64 s[38:39], s[2:3]
	s_cbranch_execz .LBB106_49
.LBB106_65:                             ;   in Loop: Header=BB106_47 Depth=1
	v_mov_b32_e32 v2, s40
	ds_read_b32 v2, v2
	s_waitcnt lgkmcnt(0)
	v_add_u32_e32 v10, v10, v2
	s_or_b64 exec, exec, s[38:39]
	s_and_saveexec_b64 s[38:39], s[4:5]
	s_cbranch_execz .LBB106_50
.LBB106_66:                             ;   in Loop: Header=BB106_47 Depth=1
	v_mov_b32_e32 v2, s41
	ds_read_b32 v2, v2
	s_waitcnt lgkmcnt(0)
	v_add_u32_e32 v10, v10, v2
	s_or_b64 exec, exec, s[38:39]
	s_and_saveexec_b64 s[38:39], s[6:7]
	s_cbranch_execz .LBB106_51
.LBB106_67:                             ;   in Loop: Header=BB106_47 Depth=1
	v_mov_b32_e32 v2, s44
	ds_read_b32 v2, v2
	s_waitcnt lgkmcnt(0)
	v_add_u32_e32 v10, v10, v2
	s_or_b64 exec, exec, s[38:39]
	s_and_saveexec_b64 s[38:39], s[8:9]
	s_cbranch_execz .LBB106_52
.LBB106_68:                             ;   in Loop: Header=BB106_47 Depth=1
	v_mov_b32_e32 v2, s45
	ds_read_b32 v2, v2
	s_waitcnt lgkmcnt(0)
	v_add_u32_e32 v10, v10, v2
	s_or_b64 exec, exec, s[38:39]
	s_and_saveexec_b64 s[38:39], s[10:11]
	s_cbranch_execz .LBB106_53
.LBB106_69:                             ;   in Loop: Header=BB106_47 Depth=1
	v_mov_b32_e32 v2, s47
	ds_read_b32 v2, v2
	s_waitcnt lgkmcnt(0)
	v_add_u32_e32 v10, v10, v2
	s_or_b64 exec, exec, s[38:39]
	s_and_saveexec_b64 s[38:39], s[12:13]
	s_cbranch_execz .LBB106_54
.LBB106_70:                             ;   in Loop: Header=BB106_47 Depth=1
	v_mov_b32_e32 v2, s54
	ds_read_b32 v2, v2
	s_waitcnt lgkmcnt(0)
	v_add_u32_e32 v10, v10, v2
	s_or_b64 exec, exec, s[38:39]
	s_and_saveexec_b64 s[38:39], s[14:15]
	s_cbranch_execz .LBB106_55
.LBB106_71:                             ;   in Loop: Header=BB106_47 Depth=1
	v_mov_b32_e32 v2, s55
	ds_read_b32 v2, v2
	s_waitcnt lgkmcnt(0)
	v_add_u32_e32 v10, v10, v2
	s_or_b64 exec, exec, s[38:39]
	s_and_saveexec_b64 s[38:39], s[16:17]
	s_cbranch_execz .LBB106_56
.LBB106_72:                             ;   in Loop: Header=BB106_47 Depth=1
	v_mov_b32_e32 v2, s56
	ds_read_b32 v2, v2
	s_waitcnt lgkmcnt(0)
	v_add_u32_e32 v10, v10, v2
	s_or_b64 exec, exec, s[38:39]
	s_and_saveexec_b64 s[38:39], s[18:19]
	s_cbranch_execz .LBB106_57
.LBB106_73:                             ;   in Loop: Header=BB106_47 Depth=1
	v_mov_b32_e32 v2, s57
	ds_read_b32 v2, v2
	s_waitcnt lgkmcnt(0)
	v_add_u32_e32 v10, v10, v2
	s_or_b64 exec, exec, s[38:39]
	s_and_saveexec_b64 s[38:39], s[20:21]
	s_cbranch_execz .LBB106_58
.LBB106_74:                             ;   in Loop: Header=BB106_47 Depth=1
	v_mov_b32_e32 v2, s58
	ds_read_b32 v2, v2
	s_waitcnt lgkmcnt(0)
	v_add_u32_e32 v10, v10, v2
	s_or_b64 exec, exec, s[38:39]
	s_and_saveexec_b64 s[38:39], s[22:23]
	s_cbranch_execz .LBB106_59
.LBB106_75:                             ;   in Loop: Header=BB106_47 Depth=1
	v_mov_b32_e32 v2, s59
	ds_read_b32 v2, v2
	s_waitcnt lgkmcnt(0)
	v_add_u32_e32 v10, v10, v2
	s_or_b64 exec, exec, s[38:39]
	s_and_saveexec_b64 s[38:39], s[24:25]
	s_cbranch_execz .LBB106_60
.LBB106_76:                             ;   in Loop: Header=BB106_47 Depth=1
	v_mov_b32_e32 v2, s60
	ds_read_b32 v2, v2
	s_waitcnt lgkmcnt(0)
	v_add_u32_e32 v10, v10, v2
	s_or_b64 exec, exec, s[38:39]
	s_and_saveexec_b64 s[38:39], s[26:27]
	s_cbranch_execz .LBB106_61
.LBB106_77:                             ;   in Loop: Header=BB106_47 Depth=1
	v_mov_b32_e32 v2, s61
	ds_read_b32 v2, v2
	s_waitcnt lgkmcnt(0)
	v_add_u32_e32 v10, v10, v2
	s_or_b64 exec, exec, s[38:39]
	s_and_saveexec_b64 s[38:39], s[28:29]
	s_cbranch_execz .LBB106_62
.LBB106_78:                             ;   in Loop: Header=BB106_47 Depth=1
	v_mov_b32_e32 v2, s62
	ds_read_b32 v2, v2
	s_waitcnt lgkmcnt(0)
	v_add_u32_e32 v10, v10, v2
	s_or_b64 exec, exec, s[38:39]
	v_ashrrev_i32_e32 v11, 31, v10
	s_and_saveexec_b64 s[38:39], s[30:31]
	s_cbranch_execz .LBB106_63
.LBB106_79:                             ;   in Loop: Header=BB106_47 Depth=1
	v_add3_u32 v2, v6, -1, v10
	v_lshl_add_u32 v17, v2, 3, 0
	v_lshl_add_u32 v2, v2, 2, 0
	v_add_u32_e32 v2, 0x20000, v2
	ds_write_b64 v17, v[8:9]
	ds_write_b32 v2, v16
	s_or_b64 exec, exec, s[38:39]
	s_and_saveexec_b64 s[30:31], vcc
	s_cbranch_execz .LBB106_46
.LBB106_80:                             ;   in Loop: Header=BB106_47 Depth=1
	v_mov_b32_e32 v2, s63
	ds_write_b64 v2, v[10:11]
	s_branch .LBB106_46
.LBB106_81:
	s_or_b64 exec, exec, s[36:37]
	s_lshl_b64 s[0:1], s[52:53], 3
	s_add_u32 s0, s42, s0
	s_addc_u32 s1, s43, s1
	s_load_dwordx4 s[0:3], s[0:1], 0x0
	v_mov_b32_e32 v1, 0
	s_waitcnt lgkmcnt(0)
	s_sub_u32 s4, s2, s0
	s_subb_u32 s5, s3, s1
	v_cmp_gt_i64_e32 vcc, s[4:5], v[0:1]
	s_and_saveexec_b64 s[6:7], vcc
	s_cbranch_execz .LBB106_91
; %bb.82:
	s_sub_u32 s6, s0, s46
	s_subb_u32 s7, s1, 0
	s_and_b32 s8, s4, 7
	s_sub_u32 s0, s0, s2
	s_mov_b32 s16, 0
	s_subb_u32 s1, s1, s3
	s_mov_b32 s9, s16
	s_and_b32 s2, s4, -8
	v_cmp_lt_u64_e64 s[0:1], s[0:1], -7
	s_cmp_lg_u64 s[8:9], 0
	v_cndmask_b32_e64 v2, 0, 1, s[0:1]
	s_mov_b32 s3, s5
	s_mov_b64 s[10:11], 0
	s_cselect_b64 s[12:13], -1, 0
	v_cmp_ne_u32_e64 s[0:1], 1, v2
	s_branch .LBB106_84
.LBB106_83:                             ;   in Loop: Header=BB106_84 Depth=1
	v_mov_b32_e32 v7, s16
	s_waitcnt lgkmcnt(1)
	v_add_co_u32_e32 v2, vcc, s46, v2
	v_addc_co_u32_e32 v3, vcc, v3, v7, vcc
	v_lshlrev_b64 v[8:9], 3, v[4:5]
	v_mov_b32_e32 v7, s49
	v_add_co_u32_e32 v8, vcc, s48, v8
	v_addc_co_u32_e32 v9, vcc, v7, v9, vcc
	global_store_dwordx2 v[8:9], v[2:3], off
	v_lshlrev_b64 v[2:3], 2, v[4:5]
	v_mov_b32_e32 v4, s51
	v_add_co_u32_e32 v2, vcc, s50, v2
	v_addc_co_u32_e32 v3, vcc, v4, v3, vcc
	v_add_co_u32_e32 v0, vcc, 0x400, v0
	v_addc_co_u32_e32 v1, vcc, 0, v1, vcc
	v_cmp_le_i64_e32 vcc, s[4:5], v[0:1]
	s_or_b64 s[10:11], vcc, s[10:11]
	s_waitcnt lgkmcnt(0)
	global_store_dword v[2:3], v6, off
	s_andn2_b64 exec, exec, s[10:11]
	s_cbranch_execz .LBB106_91
.LBB106_84:                             ; =>This Loop Header: Depth=1
                                        ;     Child Loop BB106_86 Depth 2
                                        ;     Child Loop BB106_90 Depth 2
	v_lshl_add_u32 v2, v0, 3, 0
	v_lshl_add_u32 v3, v0, 2, 0
	v_add_u32_e32 v4, 0x20000, v3
	ds_read_b64 v[2:3], v2
	ds_read_b32 v6, v4
	s_and_b64 vcc, exec, s[0:1]
	v_pk_mov_b32 v[4:5], s[6:7], s[6:7] op_sel:[0,1]
	s_mov_b64 s[14:15], 0
	s_cbranch_vccnz .LBB106_88
; %bb.85:                               ;   in Loop: Header=BB106_84 Depth=1
	s_mov_b32 s17, 0
	v_pk_mov_b32 v[4:5], s[6:7], s[6:7] op_sel:[0,1]
.LBB106_86:                             ;   Parent Loop BB106_84 Depth=1
                                        ; =>  This Inner Loop Header: Depth=2
	v_mov_b32_e32 v7, s17
	ds_read2_b64 v[8:11], v7 offset1:1
	ds_read2_b64 v[12:15], v7 offset0:2 offset1:3
	ds_read2_b64 v[16:19], v7 offset0:4 offset1:5
	;; [unrolled: 1-line block ×3, first 2 shown]
	s_add_u32 s14, s14, 8
	s_waitcnt lgkmcnt(3)
	v_cmp_gt_i64_e32 vcc, v[2:3], v[8:9]
	v_cndmask_b32_e64 v7, 0, 1, vcc
	v_cmp_gt_i64_e32 vcc, v[2:3], v[10:11]
	v_cndmask_b32_e64 v8, 0, 1, vcc
	s_waitcnt lgkmcnt(2)
	v_cmp_gt_i64_e32 vcc, v[2:3], v[12:13]
	v_cndmask_b32_e64 v9, 0, 1, vcc
	v_cmp_gt_i64_e32 vcc, v[2:3], v[14:15]
	v_cndmask_b32_e64 v10, 0, 1, vcc
	s_waitcnt lgkmcnt(1)
	v_cmp_gt_i64_e32 vcc, v[2:3], v[16:17]
	v_cndmask_b32_e64 v11, 0, 1, vcc
	v_cmp_gt_i64_e32 vcc, v[2:3], v[18:19]
	v_cndmask_b32_e64 v12, 0, 1, vcc
	s_waitcnt lgkmcnt(0)
	v_cmp_gt_i64_e32 vcc, v[2:3], v[20:21]
	v_cndmask_b32_e64 v13, 0, 1, vcc
	v_cmp_gt_i64_e32 vcc, v[2:3], v[22:23]
	v_cndmask_b32_e64 v14, 0, 1, vcc
	v_add_co_u32_e32 v4, vcc, v4, v7
	v_addc_co_u32_e32 v5, vcc, 0, v5, vcc
	v_add_co_u32_e32 v4, vcc, v4, v8
	v_addc_co_u32_e32 v5, vcc, 0, v5, vcc
	;; [unrolled: 2-line block ×7, first 2 shown]
	s_addc_u32 s15, s15, 0
	s_add_i32 s17, s17, 64
	v_add_co_u32_e32 v4, vcc, v4, v14
	s_cmp_eq_u64 s[2:3], s[14:15]
	v_addc_co_u32_e32 v5, vcc, 0, v5, vcc
	s_cbranch_scc0 .LBB106_86
; %bb.87:                               ;   in Loop: Header=BB106_84 Depth=1
	s_mov_b64 s[14:15], s[2:3]
.LBB106_88:                             ;   in Loop: Header=BB106_84 Depth=1
	s_andn2_b64 vcc, exec, s[12:13]
	s_cbranch_vccnz .LBB106_83
; %bb.89:                               ;   in Loop: Header=BB106_84 Depth=1
	s_lshl_b32 s14, s14, 3
	s_add_i32 s17, s14, 0
	s_mov_b64 s[14:15], s[8:9]
.LBB106_90:                             ;   Parent Loop BB106_84 Depth=1
                                        ; =>  This Inner Loop Header: Depth=2
	v_mov_b32_e32 v7, s17
	ds_read_b64 v[8:9], v7
	s_add_i32 s17, s17, 8
	s_add_u32 s14, s14, -1
	s_addc_u32 s15, s15, -1
	s_cmp_lg_u64 s[14:15], 0
	s_waitcnt lgkmcnt(0)
	v_cmp_gt_i64_e32 vcc, v[2:3], v[8:9]
	v_cndmask_b32_e64 v7, 0, 1, vcc
	v_add_co_u32_e32 v4, vcc, v4, v7
	v_addc_co_u32_e32 v5, vcc, 0, v5, vcc
	s_cbranch_scc1 .LBB106_90
	s_branch .LBB106_83
.LBB106_91:
	s_endpgm
	.section	.rodata,"a",@progbits
	.p2align	6, 0x0
	.amdhsa_kernel _ZN9rocsparseL26csrgemm_fill_block_per_rowILj1024ELj64ELj16384ELj137ELj64EllfEEvT5_PKS1_S3_NS_24const_host_device_scalarIT6_EEPKT4_S3_PKS5_S9_S3_SB_S6_S9_S3_SB_S9_PS1_PS5_21rocsparse_index_base_SE_SE_SE_bbb
		.amdhsa_group_segment_fixed_size 0
		.amdhsa_private_segment_fixed_size 0
		.amdhsa_kernarg_size 156
		.amdhsa_user_sgpr_count 6
		.amdhsa_user_sgpr_private_segment_buffer 1
		.amdhsa_user_sgpr_dispatch_ptr 0
		.amdhsa_user_sgpr_queue_ptr 0
		.amdhsa_user_sgpr_kernarg_segment_ptr 1
		.amdhsa_user_sgpr_dispatch_id 0
		.amdhsa_user_sgpr_flat_scratch_init 0
		.amdhsa_user_sgpr_kernarg_preload_length 0
		.amdhsa_user_sgpr_kernarg_preload_offset 0
		.amdhsa_user_sgpr_private_segment_size 0
		.amdhsa_uses_dynamic_stack 0
		.amdhsa_system_sgpr_private_segment_wavefront_offset 0
		.amdhsa_system_sgpr_workgroup_id_x 1
		.amdhsa_system_sgpr_workgroup_id_y 0
		.amdhsa_system_sgpr_workgroup_id_z 0
		.amdhsa_system_sgpr_workgroup_info 0
		.amdhsa_system_vgpr_workitem_id 0
		.amdhsa_next_free_vgpr 27
		.amdhsa_next_free_sgpr 65
		.amdhsa_accum_offset 28
		.amdhsa_reserve_vcc 1
		.amdhsa_reserve_flat_scratch 0
		.amdhsa_float_round_mode_32 0
		.amdhsa_float_round_mode_16_64 0
		.amdhsa_float_denorm_mode_32 3
		.amdhsa_float_denorm_mode_16_64 3
		.amdhsa_dx10_clamp 1
		.amdhsa_ieee_mode 1
		.amdhsa_fp16_overflow 0
		.amdhsa_tg_split 0
		.amdhsa_exception_fp_ieee_invalid_op 0
		.amdhsa_exception_fp_denorm_src 0
		.amdhsa_exception_fp_ieee_div_zero 0
		.amdhsa_exception_fp_ieee_overflow 0
		.amdhsa_exception_fp_ieee_underflow 0
		.amdhsa_exception_fp_ieee_inexact 0
		.amdhsa_exception_int_div_zero 0
	.end_amdhsa_kernel
	.section	.text._ZN9rocsparseL26csrgemm_fill_block_per_rowILj1024ELj64ELj16384ELj137ELj64EllfEEvT5_PKS1_S3_NS_24const_host_device_scalarIT6_EEPKT4_S3_PKS5_S9_S3_SB_S6_S9_S3_SB_S9_PS1_PS5_21rocsparse_index_base_SE_SE_SE_bbb,"axG",@progbits,_ZN9rocsparseL26csrgemm_fill_block_per_rowILj1024ELj64ELj16384ELj137ELj64EllfEEvT5_PKS1_S3_NS_24const_host_device_scalarIT6_EEPKT4_S3_PKS5_S9_S3_SB_S6_S9_S3_SB_S9_PS1_PS5_21rocsparse_index_base_SE_SE_SE_bbb,comdat
.Lfunc_end106:
	.size	_ZN9rocsparseL26csrgemm_fill_block_per_rowILj1024ELj64ELj16384ELj137ELj64EllfEEvT5_PKS1_S3_NS_24const_host_device_scalarIT6_EEPKT4_S3_PKS5_S9_S3_SB_S6_S9_S3_SB_S9_PS1_PS5_21rocsparse_index_base_SE_SE_SE_bbb, .Lfunc_end106-_ZN9rocsparseL26csrgemm_fill_block_per_rowILj1024ELj64ELj16384ELj137ELj64EllfEEvT5_PKS1_S3_NS_24const_host_device_scalarIT6_EEPKT4_S3_PKS5_S9_S3_SB_S6_S9_S3_SB_S9_PS1_PS5_21rocsparse_index_base_SE_SE_SE_bbb
                                        ; -- End function
	.section	.AMDGPU.csdata,"",@progbits
; Kernel info:
; codeLenInByte = 3452
; NumSgprs: 69
; NumVgprs: 27
; NumAgprs: 0
; TotalNumVgprs: 27
; ScratchSize: 0
; MemoryBound: 0
; FloatMode: 240
; IeeeMode: 1
; LDSByteSize: 0 bytes/workgroup (compile time only)
; SGPRBlocks: 8
; VGPRBlocks: 3
; NumSGPRsForWavesPerEU: 69
; NumVGPRsForWavesPerEU: 27
; AccumOffset: 28
; Occupancy: 8
; WaveLimiterHint : 1
; COMPUTE_PGM_RSRC2:SCRATCH_EN: 0
; COMPUTE_PGM_RSRC2:USER_SGPR: 6
; COMPUTE_PGM_RSRC2:TRAP_HANDLER: 0
; COMPUTE_PGM_RSRC2:TGID_X_EN: 1
; COMPUTE_PGM_RSRC2:TGID_Y_EN: 0
; COMPUTE_PGM_RSRC2:TGID_Z_EN: 0
; COMPUTE_PGM_RSRC2:TIDIG_COMP_CNT: 0
; COMPUTE_PGM_RSRC3_GFX90A:ACCUM_OFFSET: 6
; COMPUTE_PGM_RSRC3_GFX90A:TG_SPLIT: 0
	.section	.text._ZN9rocsparseL26csrgemm_fill_block_per_rowILj1024ELj64ELj32768ELj137ELj32EllfEEvT5_PKS1_S3_NS_24const_host_device_scalarIT6_EEPKT4_S3_PKS5_S9_S3_SB_S6_S9_S3_SB_S9_PS1_PS5_21rocsparse_index_base_SE_SE_SE_bbb,"axG",@progbits,_ZN9rocsparseL26csrgemm_fill_block_per_rowILj1024ELj64ELj32768ELj137ELj32EllfEEvT5_PKS1_S3_NS_24const_host_device_scalarIT6_EEPKT4_S3_PKS5_S9_S3_SB_S6_S9_S3_SB_S9_PS1_PS5_21rocsparse_index_base_SE_SE_SE_bbb,comdat
	.globl	_ZN9rocsparseL26csrgemm_fill_block_per_rowILj1024ELj64ELj32768ELj137ELj32EllfEEvT5_PKS1_S3_NS_24const_host_device_scalarIT6_EEPKT4_S3_PKS5_S9_S3_SB_S6_S9_S3_SB_S9_PS1_PS5_21rocsparse_index_base_SE_SE_SE_bbb ; -- Begin function _ZN9rocsparseL26csrgemm_fill_block_per_rowILj1024ELj64ELj32768ELj137ELj32EllfEEvT5_PKS1_S3_NS_24const_host_device_scalarIT6_EEPKT4_S3_PKS5_S9_S3_SB_S6_S9_S3_SB_S9_PS1_PS5_21rocsparse_index_base_SE_SE_SE_bbb
	.p2align	8
	.type	_ZN9rocsparseL26csrgemm_fill_block_per_rowILj1024ELj64ELj32768ELj137ELj32EllfEEvT5_PKS1_S3_NS_24const_host_device_scalarIT6_EEPKT4_S3_PKS5_S9_S3_SB_S6_S9_S3_SB_S9_PS1_PS5_21rocsparse_index_base_SE_SE_SE_bbb,@function
_ZN9rocsparseL26csrgemm_fill_block_per_rowILj1024ELj64ELj32768ELj137ELj32EllfEEvT5_PKS1_S3_NS_24const_host_device_scalarIT6_EEPKT4_S3_PKS5_S9_S3_SB_S6_S9_S3_SB_S9_PS1_PS5_21rocsparse_index_base_SE_SE_SE_bbb: ; @_ZN9rocsparseL26csrgemm_fill_block_per_rowILj1024ELj64ELj32768ELj137ELj32EllfEEvT5_PKS1_S3_NS_24const_host_device_scalarIT6_EEPKT4_S3_PKS5_S9_S3_SB_S6_S9_S3_SB_S9_PS1_PS5_21rocsparse_index_base_SE_SE_SE_bbb
; %bb.0:
	s_load_dword s7, s[4:5], 0x98
	s_load_dwordx4 s[40:43], s[4:5], 0x88
	s_load_dwordx2 s[0:1], s[4:5], 0x18
	s_load_dwordx2 s[24:25], s[4:5], 0x50
	s_waitcnt lgkmcnt(0)
	s_bitcmp1_b32 s7, 0
	s_cselect_b64 s[2:3], -1, 0
	s_bitcmp1_b32 s7, 16
	s_cselect_b64 s[26:27], -1, 0
	s_xor_b64 s[8:9], s[2:3], -1
	s_or_b64 s[8:9], s[8:9], s[26:27]
	s_and_b64 vcc, exec, s[8:9]
	s_cbranch_vccnz .LBB107_2
; %bb.1:
	s_load_dword s0, s[0:1], 0x0
	s_waitcnt lgkmcnt(0)
	v_mov_b32_e32 v16, s0
	s_branch .LBB107_3
.LBB107_2:
	v_mov_b32_e32 v1, s0
	v_cndmask_b32_e64 v16, 0, v1, s[2:3]
.LBB107_3:
	s_load_dwordx4 s[8:11], s[4:5], 0x78
                                        ; implicit-def: $vgpr26 : SGPR spill to VGPR lane
	s_bitcmp1_b32 s7, 8
	s_cselect_b64 s[0:1], -1, 0
	s_xor_b64 s[28:29], s[0:1], -1
	s_or_b64 s[26:27], s[28:29], s[26:27]
	s_waitcnt lgkmcnt(0)
	v_writelane_b32 v26, s8, 0
	v_writelane_b32 v26, s9, 1
	;; [unrolled: 1-line block ×4, first 2 shown]
	s_load_dwordx8 s[44:51], s[4:5], 0x58
	s_load_dwordx4 s[16:19], s[4:5], 0x40
	s_load_dwordx4 s[20:23], s[4:5], 0x8
	s_load_dwordx8 s[8:15], s[4:5], 0x20
	s_and_b64 vcc, exec, s[26:27]
	s_cbranch_vccnz .LBB107_5
; %bb.4:
	s_load_dword s7, s[24:25], 0x0
	s_waitcnt lgkmcnt(0)
	v_mov_b32_e32 v11, s7
	s_branch .LBB107_6
.LBB107_5:
	v_mov_b32_e32 v1, s24
	v_cndmask_b32_e64 v11, 0, v1, s[0:1]
.LBB107_6:
	s_load_dwordx2 s[76:77], s[4:5], 0x0
	v_lshl_add_u32 v2, v0, 2, 0
	v_or_b32_e32 v1, 0xfffffc00, v0
	v_add_u32_e32 v14, 0x40000, v2
	v_lshl_add_u32 v15, v0, 3, 0
	s_mov_b64 s[4:5], 0
	s_waitcnt lgkmcnt(0)
	v_pk_mov_b32 v[2:3], s[76:77], s[76:77] op_sel:[0,1]
	v_mov_b32_e32 v4, 0
	s_movk_i32 s7, 0x7bff
	v_mov_b32_e32 v5, v15
	v_mov_b32_e32 v6, v14
	v_mov_b32_e32 v7, v1
.LBB107_7:                              ; =>This Inner Loop Header: Depth=1
	v_add_u32_e32 v7, 0x400, v7
	v_cmp_lt_u32_e32 vcc, s7, v7
	ds_write_b64 v5, v[2:3]
	ds_write_b32 v6, v4
	v_add_u32_e32 v6, 0x1000, v6
	s_or_b64 s[4:5], vcc, s[4:5]
	v_add_u32_e32 v5, 0x2000, v5
	s_andn2_b64 exec, exec, s[4:5]
	s_cbranch_execnz .LBB107_7
; %bb.8:
	s_or_b64 exec, exec, s[4:5]
	s_waitcnt lgkmcnt(0)
	s_barrier
	s_load_dwordx2 s[4:5], s[20:21], 0x0
	s_mov_b32 s7, 0
	s_waitcnt lgkmcnt(0)
	s_lshl_b64 s[4:5], s[4:5], 3
	s_add_u32 s20, s22, s4
	s_addc_u32 s21, s23, s5
	s_lshl_b64 s[4:5], s[6:7], 3
	s_add_u32 s4, s20, s4
	s_addc_u32 s5, s21, s5
	s_load_dwordx2 s[52:53], s[4:5], 0x0
	s_and_b64 vcc, exec, s[2:3]
	s_cbranch_vccz .LBB107_28
; %bb.9:
	s_waitcnt lgkmcnt(0)
	s_lshl_b64 s[2:3], s[52:53], 3
	s_add_u32 s2, s8, s2
	s_addc_u32 s3, s9, s3
	s_load_dwordx4 s[20:23], s[2:3], 0x0
	v_lshrrev_b32_e32 v2, 6, v0
	v_subrev_co_u32_e32 v2, vcc, s40, v2
	v_subb_co_u32_e64 v3, s[4:5], 0, 0, vcc
	s_waitcnt lgkmcnt(0)
	s_sub_u32 s2, s22, s40
	v_mov_b32_e32 v4, s21
	v_add_co_u32_e32 v2, vcc, s20, v2
	s_subb_u32 s3, s23, 0
	v_addc_co_u32_e32 v3, vcc, v4, v3, vcc
	v_cmp_gt_i64_e32 vcc, s[2:3], v[2:3]
	s_and_saveexec_b64 s[4:5], vcc
	s_cbranch_execz .LBB107_27
; %bb.10:
	v_and_b32_e32 v4, 63, v0
	v_subrev_co_u32_e32 v17, vcc, s41, v4
	s_mov_b32 s6, 0
	v_subb_co_u32_e64 v18, s[8:9], 0, 0, vcc
	s_mov_b32 s33, s40
	s_mov_b32 s36, s41
	s_mov_b64 s[8:9], 0
	v_mov_b32_e32 v19, s11
	v_mov_b32_e32 v20, s7
	;; [unrolled: 1-line block ×4, first 2 shown]
	s_movk_i32 s11, 0x89
	s_branch .LBB107_12
.LBB107_11:                             ;   in Loop: Header=BB107_12 Depth=1
	s_or_b64 exec, exec, s[6:7]
	v_add_co_u32_e32 v2, vcc, 16, v2
	v_addc_co_u32_e32 v3, vcc, 0, v3, vcc
	v_cmp_le_i64_e32 vcc, s[2:3], v[2:3]
	s_or_b64 s[8:9], vcc, s[8:9]
	s_andn2_b64 exec, exec, s[8:9]
	s_cbranch_execz .LBB107_27
.LBB107_12:                             ; =>This Loop Header: Depth=1
                                        ;     Child Loop BB107_15 Depth 2
                                        ;       Child Loop BB107_17 Depth 3
	v_lshlrev_b64 v[4:5], 3, v[2:3]
	v_add_co_u32_e32 v4, vcc, s10, v4
	v_addc_co_u32_e32 v5, vcc, v19, v5, vcc
	global_load_dwordx2 v[4:5], v[4:5], off
	s_waitcnt vmcnt(0)
	v_subrev_co_u32_e32 v4, vcc, s33, v4
	v_subb_co_u32_e32 v5, vcc, v5, v20, vcc
	v_lshlrev_b64 v[4:5], 3, v[4:5]
	v_add_co_u32_e32 v4, vcc, s14, v4
	v_addc_co_u32_e32 v5, vcc, v21, v5, vcc
	global_load_dwordx4 v[6:9], v[4:5], off
	s_waitcnt vmcnt(0)
	v_subrev_co_u32_e32 v4, vcc, s36, v8
	v_subb_co_u32_e32 v5, vcc, v9, v22, vcc
	v_add_co_u32_e32 v6, vcc, v6, v17
	v_addc_co_u32_e32 v7, vcc, v7, v18, vcc
	v_cmp_lt_i64_e32 vcc, v[6:7], v[4:5]
	s_and_saveexec_b64 s[6:7], vcc
	s_cbranch_execz .LBB107_11
; %bb.13:                               ;   in Loop: Header=BB107_12 Depth=1
	v_lshlrev_b64 v[8:9], 2, v[2:3]
	v_mov_b32_e32 v10, s13
	v_add_co_u32_e32 v8, vcc, s12, v8
	v_addc_co_u32_e32 v9, vcc, v10, v9, vcc
	global_load_dword v8, v[8:9], off
	s_mov_b64 s[20:21], 0
	s_waitcnt vmcnt(0)
	v_mul_f32_e32 v23, v16, v8
	s_branch .LBB107_15
.LBB107_14:                             ;   in Loop: Header=BB107_15 Depth=2
	s_or_b64 exec, exec, s[22:23]
	v_add_co_u32_e32 v6, vcc, 64, v6
	v_addc_co_u32_e32 v7, vcc, 0, v7, vcc
	v_cmp_ge_i64_e32 vcc, v[6:7], v[4:5]
	s_or_b64 s[20:21], vcc, s[20:21]
	s_andn2_b64 exec, exec, s[20:21]
	s_cbranch_execz .LBB107_11
.LBB107_15:                             ;   Parent Loop BB107_12 Depth=1
                                        ; =>  This Loop Header: Depth=2
                                        ;       Child Loop BB107_17 Depth 3
	v_lshlrev_b64 v[8:9], 3, v[6:7]
	v_mov_b32_e32 v10, s17
	v_add_co_u32_e32 v8, vcc, s16, v8
	v_addc_co_u32_e32 v9, vcc, v10, v9, vcc
	v_lshlrev_b64 v[12:13], 2, v[6:7]
	v_mov_b32_e32 v10, s19
	v_add_co_u32_e32 v12, vcc, s18, v12
	global_load_dwordx2 v[8:9], v[8:9], off
	v_addc_co_u32_e32 v13, vcc, v10, v13, vcc
	global_load_dword v10, v[12:13], off
	s_mov_b64 s[22:23], 0
	s_waitcnt vmcnt(1)
	v_subrev_co_u32_e32 v8, vcc, s36, v8
	v_subb_co_u32_e32 v9, vcc, v9, v22, vcc
	s_waitcnt vmcnt(0)
	v_mul_f32_e32 v24, v23, v10
	v_mul_lo_u32 v10, v8, s11
	v_and_b32_e32 v10, 0x7fff, v10
	s_branch .LBB107_17
.LBB107_16:                             ;   in Loop: Header=BB107_17 Depth=3
	s_or_b64 exec, exec, s[24:25]
	s_xor_b64 s[24:25], s[26:27], -1
	s_and_b64 s[24:25], exec, s[24:25]
	s_or_b64 s[22:23], s[24:25], s[22:23]
	s_andn2_b64 exec, exec, s[22:23]
	s_cbranch_execz .LBB107_14
.LBB107_17:                             ;   Parent Loop BB107_12 Depth=1
                                        ;     Parent Loop BB107_15 Depth=2
                                        ; =>    This Inner Loop Header: Depth=3
	v_lshl_add_u32 v25, v10, 3, 0
	ds_read_b64 v[12:13], v25
                                        ; implicit-def: $sgpr26_sgpr27
	s_waitcnt lgkmcnt(0)
	v_cmp_ne_u64_e32 vcc, v[12:13], v[8:9]
	s_and_saveexec_b64 s[24:25], vcc
	s_xor_b64 s[24:25], exec, s[24:25]
	s_cbranch_execz .LBB107_25
; %bb.18:                               ;   in Loop: Header=BB107_17 Depth=3
	v_cmp_ne_u64_e32 vcc, s[76:77], v[12:13]
                                        ; implicit-def: $sgpr26_sgpr27
	s_and_saveexec_b64 s[28:29], vcc
	s_xor_b64 s[28:29], exec, s[28:29]
; %bb.19:                               ;   in Loop: Header=BB107_17 Depth=3
	v_add_u32_e32 v10, 1, v10
	v_and_b32_e32 v10, 0x7fff, v10
	s_mov_b64 s[26:27], -1
                                        ; implicit-def: $vgpr25
; %bb.20:                               ;   in Loop: Header=BB107_17 Depth=3
	s_andn2_saveexec_b64 s[28:29], s[28:29]
	s_cbranch_execz .LBB107_24
; %bb.21:                               ;   in Loop: Header=BB107_17 Depth=3
	v_pk_mov_b32 v[12:13], s[76:77], s[76:77] op_sel:[0,1]
	ds_cmpst_rtn_b64 v[12:13], v25, v[12:13], v[8:9]
	s_mov_b64 s[30:31], -1
	s_waitcnt lgkmcnt(0)
	v_cmp_eq_u64_e32 vcc, s[76:77], v[12:13]
	s_and_saveexec_b64 s[34:35], vcc
	s_cbranch_execz .LBB107_23
; %bb.22:                               ;   in Loop: Header=BB107_17 Depth=3
	v_lshl_add_u32 v12, v10, 2, 0
	v_add_u32_e32 v12, 0x40000, v12
	ds_add_f32 v12, v24
	s_xor_b64 s[30:31], exec, -1
.LBB107_23:                             ;   in Loop: Header=BB107_17 Depth=3
	s_or_b64 exec, exec, s[34:35]
	s_andn2_b64 s[26:27], s[26:27], exec
	s_and_b64 s[30:31], s[30:31], exec
	s_or_b64 s[26:27], s[26:27], s[30:31]
.LBB107_24:                             ;   in Loop: Header=BB107_17 Depth=3
	s_or_b64 exec, exec, s[28:29]
	s_and_b64 s[26:27], s[26:27], exec
.LBB107_25:                             ;   in Loop: Header=BB107_17 Depth=3
	s_andn2_saveexec_b64 s[24:25], s[24:25]
	s_cbranch_execz .LBB107_16
; %bb.26:                               ;   in Loop: Header=BB107_17 Depth=3
	v_lshl_add_u32 v12, v10, 2, 0
	v_add_u32_e32 v12, 0x40000, v12
	ds_add_f32 v12, v24
	s_andn2_b64 s[26:27], s[26:27], exec
	s_branch .LBB107_16
.LBB107_27:
	s_or_b64 exec, exec, s[4:5]
.LBB107_28:
	s_andn2_b64 vcc, exec, s[0:1]
	s_cbranch_vccnz .LBB107_45
; %bb.29:
	s_waitcnt lgkmcnt(0)
	s_lshl_b64 s[0:1], s[52:53], 3
	s_add_u32 s0, s44, s0
	s_addc_u32 s1, s45, s1
	s_load_dwordx4 s[8:11], s[0:1], 0x0
	v_subrev_co_u32_e32 v2, vcc, s43, v0
	v_subb_co_u32_e64 v3, s[2:3], 0, 0, vcc
	s_waitcnt lgkmcnt(0)
	s_sub_u32 s0, s10, s43
	v_mov_b32_e32 v4, s9
	v_add_co_u32_e32 v2, vcc, s8, v2
	s_subb_u32 s1, s11, 0
	v_addc_co_u32_e32 v3, vcc, v4, v3, vcc
	s_mov_b32 s6, 0
	v_cmp_gt_i64_e32 vcc, s[0:1], v[2:3]
	s_and_saveexec_b64 s[2:3], vcc
	s_cbranch_execz .LBB107_44
; %bb.30:
	s_mov_b32 s18, s43
	s_mov_b64 s[4:5], 0
	v_mov_b32_e32 v7, s47
	v_mov_b32_e32 v10, s6
	;; [unrolled: 1-line block ×3, first 2 shown]
	s_movk_i32 s19, 0x89
	s_branch .LBB107_32
.LBB107_31:                             ;   in Loop: Header=BB107_32 Depth=1
	s_or_b64 exec, exec, s[6:7]
	v_add_co_u32_e32 v2, vcc, 0x400, v2
	v_addc_co_u32_e32 v3, vcc, 0, v3, vcc
	v_cmp_le_i64_e32 vcc, s[0:1], v[2:3]
	s_or_b64 s[4:5], vcc, s[4:5]
	s_andn2_b64 exec, exec, s[4:5]
	s_cbranch_execz .LBB107_44
.LBB107_32:                             ; =>This Loop Header: Depth=1
                                        ;     Child Loop BB107_34 Depth 2
	v_lshlrev_b64 v[4:5], 3, v[2:3]
	v_add_co_u32_e32 v4, vcc, s46, v4
	v_addc_co_u32_e32 v5, vcc, v7, v5, vcc
	v_lshlrev_b64 v[8:9], 2, v[2:3]
	v_add_co_u32_e32 v8, vcc, s48, v8
	global_load_dwordx2 v[4:5], v[4:5], off
	v_addc_co_u32_e32 v9, vcc, v12, v9, vcc
	global_load_dword v6, v[8:9], off
	s_mov_b64 s[6:7], 0
	s_waitcnt vmcnt(1)
	v_subrev_co_u32_e32 v4, vcc, s18, v4
	v_subb_co_u32_e32 v5, vcc, v5, v10, vcc
	s_waitcnt vmcnt(0)
	v_mul_f32_e32 v13, v11, v6
	v_mul_lo_u32 v6, v4, s19
	v_and_b32_e32 v6, 0x7fff, v6
	s_branch .LBB107_34
.LBB107_33:                             ;   in Loop: Header=BB107_34 Depth=2
	s_or_b64 exec, exec, s[8:9]
	s_xor_b64 s[8:9], s[10:11], -1
	s_and_b64 s[8:9], exec, s[8:9]
	s_or_b64 s[6:7], s[8:9], s[6:7]
	s_andn2_b64 exec, exec, s[6:7]
	s_cbranch_execz .LBB107_31
.LBB107_34:                             ;   Parent Loop BB107_32 Depth=1
                                        ; =>  This Inner Loop Header: Depth=2
	v_lshl_add_u32 v16, v6, 3, 0
	ds_read_b64 v[8:9], v16
                                        ; implicit-def: $sgpr10_sgpr11
	s_waitcnt lgkmcnt(0)
	v_cmp_ne_u64_e32 vcc, v[8:9], v[4:5]
	s_and_saveexec_b64 s[8:9], vcc
	s_xor_b64 s[8:9], exec, s[8:9]
	s_cbranch_execz .LBB107_42
; %bb.35:                               ;   in Loop: Header=BB107_34 Depth=2
	v_cmp_ne_u64_e32 vcc, s[76:77], v[8:9]
                                        ; implicit-def: $sgpr10_sgpr11
	s_and_saveexec_b64 s[12:13], vcc
	s_xor_b64 s[12:13], exec, s[12:13]
; %bb.36:                               ;   in Loop: Header=BB107_34 Depth=2
	v_add_u32_e32 v6, 1, v6
	v_and_b32_e32 v6, 0x7fff, v6
	s_mov_b64 s[10:11], -1
                                        ; implicit-def: $vgpr16
; %bb.37:                               ;   in Loop: Header=BB107_34 Depth=2
	s_andn2_saveexec_b64 s[12:13], s[12:13]
	s_cbranch_execz .LBB107_41
; %bb.38:                               ;   in Loop: Header=BB107_34 Depth=2
	v_pk_mov_b32 v[8:9], s[76:77], s[76:77] op_sel:[0,1]
	ds_cmpst_rtn_b64 v[8:9], v16, v[8:9], v[4:5]
	s_mov_b64 s[14:15], -1
	s_waitcnt lgkmcnt(0)
	v_cmp_eq_u64_e32 vcc, s[76:77], v[8:9]
	s_and_saveexec_b64 s[16:17], vcc
	s_cbranch_execz .LBB107_40
; %bb.39:                               ;   in Loop: Header=BB107_34 Depth=2
	v_lshl_add_u32 v8, v6, 2, 0
	v_add_u32_e32 v8, 0x40000, v8
	ds_add_f32 v8, v13
	s_xor_b64 s[14:15], exec, -1
.LBB107_40:                             ;   in Loop: Header=BB107_34 Depth=2
	s_or_b64 exec, exec, s[16:17]
	s_andn2_b64 s[10:11], s[10:11], exec
	s_and_b64 s[14:15], s[14:15], exec
	s_or_b64 s[10:11], s[10:11], s[14:15]
.LBB107_41:                             ;   in Loop: Header=BB107_34 Depth=2
	s_or_b64 exec, exec, s[12:13]
	s_and_b64 s[10:11], s[10:11], exec
.LBB107_42:                             ;   in Loop: Header=BB107_34 Depth=2
	s_andn2_saveexec_b64 s[8:9], s[8:9]
	s_cbranch_execz .LBB107_33
; %bb.43:                               ;   in Loop: Header=BB107_34 Depth=2
	v_lshl_add_u32 v8, v6, 2, 0
	v_add_u32_e32 v8, 0x40000, v8
	ds_add_f32 v8, v13
	s_andn2_b64 s[10:11], s[10:11], exec
	s_branch .LBB107_33
.LBB107_44:
	s_or_b64 exec, exec, s[2:3]
.LBB107_45:
	s_waitcnt lgkmcnt(0)
	v_writelane_b32 v26, s52, 4
	v_writelane_b32 v26, s53, 5
	;; [unrolled: 1-line block ×10, first 2 shown]
	s_movk_i32 s33, 0x25f
	v_writelane_b32 v26, s40, 14
	v_cmp_lt_u32_e64 s[34:35], s33, v0
	s_movk_i32 s33, 0x27f
	v_writelane_b32 v26, s41, 15
	v_cmp_lt_u32_e64 s[36:37], s33, v0
	;; [unrolled: 3-line block ×4, first 2 shown]
	s_movk_i32 s33, 0x2df
	v_cmp_lt_u32_e64 s[42:43], s33, v0
	s_movk_i32 s33, 0x2ff
	v_cmp_lt_u32_e64 s[44:45], s33, v0
	s_movk_i32 s33, 0x31f
	v_cmp_lt_u32_e64 s[46:47], s33, v0
	s_movk_i32 s33, 0x33f
	v_cmp_lt_u32_e64 s[48:49], s33, v0
	s_movk_i32 s33, 0x35f
	v_cmp_lt_u32_e64 s[50:51], s33, v0
	s_movk_i32 s33, 0x37f
	v_cmp_lt_u32_e64 s[52:53], s33, v0
	s_movk_i32 s33, 0x39f
	v_cmp_lt_u32_e64 s[54:55], s33, v0
	s_movk_i32 s33, 0x3bf
	s_add_i32 s0, 0, 0x60000
	v_cmp_lt_u32_e64 s[56:57], s33, v0
	s_movk_i32 s33, 0x3df
	v_writelane_b32 v26, s0, 18
	v_cmp_lt_u32_e64 s[58:59], s33, v0
	s_add_i32 s33, 0, 0x60008
	v_writelane_b32 v26, s33, 19
	s_add_i32 s33, 0, 0x60010
	v_mbcnt_lo_u32_b32 v2, -1, 0
	v_writelane_b32 v26, s33, 20
	s_add_i32 s33, 0, 0x60018
	v_mbcnt_hi_u32_b32 v2, -1, v2
	v_writelane_b32 v26, s33, 21
	s_add_i32 s33, 0, 0x60020
	v_sub_u32_e32 v2, 63, v2
	v_writelane_b32 v26, s33, 22
	s_add_i32 s33, 0, 0x60028
	v_lshrrev_b64 v[4:5], v2, -1
	v_lshrrev_b32_e32 v2, 2, v0
	v_writelane_b32 v26, s33, 23
	s_add_i32 s33, 0, 0x60030
	v_and_b32_e32 v2, 0xf8, v2
	v_writelane_b32 v26, s33, 24
	s_add_i32 s33, 0, 0x60038
	v_add_u32_e32 v12, s0, v2
	s_movk_i32 s0, 0x3ff
	v_writelane_b32 v26, s33, 25
	s_add_i32 s33, 0, 0x60040
	v_cmp_eq_u32_e32 vcc, s0, v0
	s_movk_i32 s0, 0x5f
	s_movk_i32 s2, 0x7f
	;; [unrolled: 1-line block ×16, first 2 shown]
	v_writelane_b32 v26, s33, 26
	s_add_i32 s33, 0, 0x60048
	v_mov_b32_e32 v3, 0
	v_cmp_lt_u32_e64 s[0:1], s0, v0
	v_cmp_lt_u32_e64 s[2:3], s2, v0
	;; [unrolled: 1-line block ×16, first 2 shown]
	v_pk_mov_b32 v[6:7], 0, 0
	v_writelane_b32 v26, s33, 27
	s_add_i32 s90, 0, 0x60050
	s_add_i32 s91, 0, 0x60058
	;; [unrolled: 1-line block ×22, first 2 shown]
	s_movk_i32 s87, 0x7bff
	v_cmp_lt_u32_e64 s[60:61], 31, v0
	v_cmp_lt_u32_e64 s[62:63], 63, v0
	s_mov_b64 s[68:69], 0
	s_barrier
	s_branch .LBB107_47
.LBB107_46:                             ;   in Loop: Header=BB107_47 Depth=1
	s_or_b64 exec, exec, s[64:65]
	v_mov_b32_e32 v2, s86
	s_waitcnt lgkmcnt(0)
	s_barrier
	ds_read_b64 v[8:9], v2
	v_add_u32_e32 v1, 0x400, v1
	v_add_u32_e32 v14, 0x1000, v14
	;; [unrolled: 1-line block ×3, first 2 shown]
	s_waitcnt lgkmcnt(0)
	v_add_co_u32_e64 v6, s[64:65], v8, v6
	v_addc_co_u32_e64 v7, s[64:65], v9, v7, s[64:65]
	v_cmp_lt_u32_e64 s[64:65], s87, v1
	s_or_b64 s[68:69], s[64:65], s[68:69]
	s_andn2_b64 exec, exec, s[68:69]
	s_cbranch_execz .LBB107_113
.LBB107_47:                             ; =>This Inner Loop Header: Depth=1
	ds_read_b64 v[8:9], v15
	ds_read_b32 v13, v14
	s_waitcnt lgkmcnt(0)
	s_barrier
	v_cmp_gt_i64_e64 s[64:65], s[76:77], v[8:9]
	v_and_b32_e32 v11, s64, v4
	s_bcnt1_i32_b64 s80, s[64:65]
	v_and_b32_e32 v10, s65, v5
	v_bcnt_u32_b32 v11, v11, 0
	v_mov_b32_e32 v2, s80
	v_bcnt_u32_b32 v10, v10, v11
	ds_write_b64 v12, v[2:3]
	s_waitcnt lgkmcnt(0)
	s_barrier
	s_and_saveexec_b64 s[80:81], s[60:61]
	s_cbranch_execnz .LBB107_80
; %bb.48:                               ;   in Loop: Header=BB107_47 Depth=1
	s_or_b64 exec, exec, s[80:81]
	s_and_saveexec_b64 s[80:81], s[62:63]
	s_cbranch_execnz .LBB107_81
.LBB107_49:                             ;   in Loop: Header=BB107_47 Depth=1
	s_or_b64 exec, exec, s[80:81]
	s_and_saveexec_b64 s[80:81], s[0:1]
	s_cbranch_execnz .LBB107_82
.LBB107_50:                             ;   in Loop: Header=BB107_47 Depth=1
	s_or_b64 exec, exec, s[80:81]
	s_and_saveexec_b64 s[80:81], s[2:3]
	s_cbranch_execnz .LBB107_83
.LBB107_51:                             ;   in Loop: Header=BB107_47 Depth=1
	s_or_b64 exec, exec, s[80:81]
	s_and_saveexec_b64 s[80:81], s[4:5]
	s_cbranch_execnz .LBB107_84
.LBB107_52:                             ;   in Loop: Header=BB107_47 Depth=1
	s_or_b64 exec, exec, s[80:81]
	s_and_saveexec_b64 s[80:81], s[6:7]
	s_cbranch_execnz .LBB107_85
.LBB107_53:                             ;   in Loop: Header=BB107_47 Depth=1
	s_or_b64 exec, exec, s[80:81]
	s_and_saveexec_b64 s[80:81], s[8:9]
	s_cbranch_execnz .LBB107_86
.LBB107_54:                             ;   in Loop: Header=BB107_47 Depth=1
	s_or_b64 exec, exec, s[80:81]
	s_and_saveexec_b64 s[80:81], s[10:11]
	s_cbranch_execnz .LBB107_87
.LBB107_55:                             ;   in Loop: Header=BB107_47 Depth=1
	s_or_b64 exec, exec, s[80:81]
	s_and_saveexec_b64 s[80:81], s[12:13]
	s_cbranch_execnz .LBB107_88
.LBB107_56:                             ;   in Loop: Header=BB107_47 Depth=1
	s_or_b64 exec, exec, s[80:81]
	s_and_saveexec_b64 s[80:81], s[14:15]
	s_cbranch_execnz .LBB107_89
.LBB107_57:                             ;   in Loop: Header=BB107_47 Depth=1
	s_or_b64 exec, exec, s[80:81]
	s_and_saveexec_b64 s[80:81], s[16:17]
	s_cbranch_execnz .LBB107_90
.LBB107_58:                             ;   in Loop: Header=BB107_47 Depth=1
	s_or_b64 exec, exec, s[80:81]
	s_and_saveexec_b64 s[80:81], s[18:19]
	s_cbranch_execnz .LBB107_91
.LBB107_59:                             ;   in Loop: Header=BB107_47 Depth=1
	s_or_b64 exec, exec, s[80:81]
	s_and_saveexec_b64 s[80:81], s[20:21]
	s_cbranch_execnz .LBB107_92
.LBB107_60:                             ;   in Loop: Header=BB107_47 Depth=1
	s_or_b64 exec, exec, s[80:81]
	s_and_saveexec_b64 s[80:81], s[22:23]
	s_cbranch_execnz .LBB107_93
.LBB107_61:                             ;   in Loop: Header=BB107_47 Depth=1
	s_or_b64 exec, exec, s[80:81]
	s_and_saveexec_b64 s[80:81], s[24:25]
	s_cbranch_execnz .LBB107_94
.LBB107_62:                             ;   in Loop: Header=BB107_47 Depth=1
	s_or_b64 exec, exec, s[80:81]
	s_and_saveexec_b64 s[80:81], s[26:27]
	s_cbranch_execnz .LBB107_95
.LBB107_63:                             ;   in Loop: Header=BB107_47 Depth=1
	s_or_b64 exec, exec, s[80:81]
	s_and_saveexec_b64 s[80:81], s[28:29]
	s_cbranch_execnz .LBB107_96
.LBB107_64:                             ;   in Loop: Header=BB107_47 Depth=1
	s_or_b64 exec, exec, s[80:81]
	s_and_saveexec_b64 s[80:81], s[30:31]
	s_cbranch_execnz .LBB107_97
.LBB107_65:                             ;   in Loop: Header=BB107_47 Depth=1
	s_or_b64 exec, exec, s[80:81]
	s_and_saveexec_b64 s[80:81], s[34:35]
	s_cbranch_execnz .LBB107_98
.LBB107_66:                             ;   in Loop: Header=BB107_47 Depth=1
	s_or_b64 exec, exec, s[80:81]
	s_and_saveexec_b64 s[80:81], s[36:37]
	s_cbranch_execnz .LBB107_99
.LBB107_67:                             ;   in Loop: Header=BB107_47 Depth=1
	s_or_b64 exec, exec, s[80:81]
	s_and_saveexec_b64 s[80:81], s[38:39]
	s_cbranch_execnz .LBB107_100
.LBB107_68:                             ;   in Loop: Header=BB107_47 Depth=1
	s_or_b64 exec, exec, s[80:81]
	s_and_saveexec_b64 s[80:81], s[40:41]
	s_cbranch_execnz .LBB107_101
.LBB107_69:                             ;   in Loop: Header=BB107_47 Depth=1
	s_or_b64 exec, exec, s[80:81]
	s_and_saveexec_b64 s[80:81], s[42:43]
	s_cbranch_execnz .LBB107_102
.LBB107_70:                             ;   in Loop: Header=BB107_47 Depth=1
	s_or_b64 exec, exec, s[80:81]
	s_and_saveexec_b64 s[80:81], s[44:45]
	s_cbranch_execnz .LBB107_103
.LBB107_71:                             ;   in Loop: Header=BB107_47 Depth=1
	s_or_b64 exec, exec, s[80:81]
	s_and_saveexec_b64 s[80:81], s[46:47]
	s_cbranch_execnz .LBB107_104
.LBB107_72:                             ;   in Loop: Header=BB107_47 Depth=1
	s_or_b64 exec, exec, s[80:81]
	s_and_saveexec_b64 s[80:81], s[48:49]
	s_cbranch_execnz .LBB107_105
.LBB107_73:                             ;   in Loop: Header=BB107_47 Depth=1
	s_or_b64 exec, exec, s[80:81]
	s_and_saveexec_b64 s[80:81], s[50:51]
	s_cbranch_execnz .LBB107_106
.LBB107_74:                             ;   in Loop: Header=BB107_47 Depth=1
	s_or_b64 exec, exec, s[80:81]
	s_and_saveexec_b64 s[80:81], s[52:53]
	s_cbranch_execnz .LBB107_107
.LBB107_75:                             ;   in Loop: Header=BB107_47 Depth=1
	s_or_b64 exec, exec, s[80:81]
	s_and_saveexec_b64 s[80:81], s[54:55]
	s_cbranch_execnz .LBB107_108
.LBB107_76:                             ;   in Loop: Header=BB107_47 Depth=1
	s_or_b64 exec, exec, s[80:81]
	s_and_saveexec_b64 s[80:81], s[56:57]
	s_cbranch_execnz .LBB107_109
.LBB107_77:                             ;   in Loop: Header=BB107_47 Depth=1
	s_or_b64 exec, exec, s[80:81]
	s_and_saveexec_b64 s[80:81], s[58:59]
	s_cbranch_execnz .LBB107_110
.LBB107_78:                             ;   in Loop: Header=BB107_47 Depth=1
	s_or_b64 exec, exec, s[80:81]
	v_ashrrev_i32_e32 v11, 31, v10
	s_and_saveexec_b64 s[80:81], s[64:65]
	s_cbranch_execnz .LBB107_111
.LBB107_79:                             ;   in Loop: Header=BB107_47 Depth=1
	s_or_b64 exec, exec, s[80:81]
	s_and_saveexec_b64 s[64:65], vcc
	s_cbranch_execz .LBB107_46
	s_branch .LBB107_112
.LBB107_80:                             ;   in Loop: Header=BB107_47 Depth=1
	v_readlane_b32 s88, v26, 18
	v_mov_b32_e32 v2, s88
	ds_read_b32 v2, v2
	s_waitcnt lgkmcnt(0)
	v_add_u32_e32 v10, v2, v10
	s_or_b64 exec, exec, s[80:81]
	s_and_saveexec_b64 s[80:81], s[62:63]
	s_cbranch_execz .LBB107_49
.LBB107_81:                             ;   in Loop: Header=BB107_47 Depth=1
	v_readlane_b32 s88, v26, 19
	v_mov_b32_e32 v2, s88
	ds_read_b32 v2, v2
	s_waitcnt lgkmcnt(0)
	v_add_u32_e32 v10, v10, v2
	s_or_b64 exec, exec, s[80:81]
	s_and_saveexec_b64 s[80:81], s[0:1]
	s_cbranch_execz .LBB107_50
.LBB107_82:                             ;   in Loop: Header=BB107_47 Depth=1
	v_readlane_b32 s88, v26, 20
	v_mov_b32_e32 v2, s88
	ds_read_b32 v2, v2
	s_waitcnt lgkmcnt(0)
	v_add_u32_e32 v10, v10, v2
	s_or_b64 exec, exec, s[80:81]
	s_and_saveexec_b64 s[80:81], s[2:3]
	s_cbranch_execz .LBB107_51
.LBB107_83:                             ;   in Loop: Header=BB107_47 Depth=1
	v_readlane_b32 s88, v26, 21
	v_mov_b32_e32 v2, s88
	ds_read_b32 v2, v2
	s_waitcnt lgkmcnt(0)
	v_add_u32_e32 v10, v10, v2
	s_or_b64 exec, exec, s[80:81]
	s_and_saveexec_b64 s[80:81], s[4:5]
	s_cbranch_execz .LBB107_52
.LBB107_84:                             ;   in Loop: Header=BB107_47 Depth=1
	v_readlane_b32 s88, v26, 22
	v_mov_b32_e32 v2, s88
	ds_read_b32 v2, v2
	s_waitcnt lgkmcnt(0)
	v_add_u32_e32 v10, v10, v2
	s_or_b64 exec, exec, s[80:81]
	s_and_saveexec_b64 s[80:81], s[6:7]
	s_cbranch_execz .LBB107_53
.LBB107_85:                             ;   in Loop: Header=BB107_47 Depth=1
	v_readlane_b32 s88, v26, 23
	v_mov_b32_e32 v2, s88
	ds_read_b32 v2, v2
	s_waitcnt lgkmcnt(0)
	v_add_u32_e32 v10, v10, v2
	s_or_b64 exec, exec, s[80:81]
	s_and_saveexec_b64 s[80:81], s[8:9]
	s_cbranch_execz .LBB107_54
.LBB107_86:                             ;   in Loop: Header=BB107_47 Depth=1
	v_readlane_b32 s88, v26, 24
	v_mov_b32_e32 v2, s88
	ds_read_b32 v2, v2
	s_waitcnt lgkmcnt(0)
	v_add_u32_e32 v10, v10, v2
	s_or_b64 exec, exec, s[80:81]
	s_and_saveexec_b64 s[80:81], s[10:11]
	s_cbranch_execz .LBB107_55
.LBB107_87:                             ;   in Loop: Header=BB107_47 Depth=1
	v_readlane_b32 s88, v26, 25
	v_mov_b32_e32 v2, s88
	ds_read_b32 v2, v2
	s_waitcnt lgkmcnt(0)
	v_add_u32_e32 v10, v10, v2
	s_or_b64 exec, exec, s[80:81]
	s_and_saveexec_b64 s[80:81], s[12:13]
	s_cbranch_execz .LBB107_56
.LBB107_88:                             ;   in Loop: Header=BB107_47 Depth=1
	v_readlane_b32 s88, v26, 26
	v_mov_b32_e32 v2, s88
	ds_read_b32 v2, v2
	s_waitcnt lgkmcnt(0)
	v_add_u32_e32 v10, v10, v2
	s_or_b64 exec, exec, s[80:81]
	s_and_saveexec_b64 s[80:81], s[14:15]
	s_cbranch_execz .LBB107_57
.LBB107_89:                             ;   in Loop: Header=BB107_47 Depth=1
	v_readlane_b32 s88, v26, 27
	v_mov_b32_e32 v2, s88
	ds_read_b32 v2, v2
	s_waitcnt lgkmcnt(0)
	v_add_u32_e32 v10, v10, v2
	s_or_b64 exec, exec, s[80:81]
	s_and_saveexec_b64 s[80:81], s[16:17]
	s_cbranch_execz .LBB107_58
.LBB107_90:                             ;   in Loop: Header=BB107_47 Depth=1
	v_mov_b32_e32 v2, s90
	ds_read_b32 v2, v2
	s_waitcnt lgkmcnt(0)
	v_add_u32_e32 v10, v10, v2
	s_or_b64 exec, exec, s[80:81]
	s_and_saveexec_b64 s[80:81], s[18:19]
	s_cbranch_execz .LBB107_59
.LBB107_91:                             ;   in Loop: Header=BB107_47 Depth=1
	v_mov_b32_e32 v2, s91
	ds_read_b32 v2, v2
	s_waitcnt lgkmcnt(0)
	v_add_u32_e32 v10, v10, v2
	s_or_b64 exec, exec, s[80:81]
	s_and_saveexec_b64 s[80:81], s[20:21]
	s_cbranch_execz .LBB107_60
.LBB107_92:                             ;   in Loop: Header=BB107_47 Depth=1
	v_mov_b32_e32 v2, s92
	ds_read_b32 v2, v2
	s_waitcnt lgkmcnt(0)
	v_add_u32_e32 v10, v10, v2
	s_or_b64 exec, exec, s[80:81]
	s_and_saveexec_b64 s[80:81], s[22:23]
	s_cbranch_execz .LBB107_61
.LBB107_93:                             ;   in Loop: Header=BB107_47 Depth=1
	v_mov_b32_e32 v2, s93
	ds_read_b32 v2, v2
	s_waitcnt lgkmcnt(0)
	v_add_u32_e32 v10, v10, v2
	s_or_b64 exec, exec, s[80:81]
	s_and_saveexec_b64 s[80:81], s[24:25]
	s_cbranch_execz .LBB107_62
.LBB107_94:                             ;   in Loop: Header=BB107_47 Depth=1
	v_mov_b32_e32 v2, s94
	ds_read_b32 v2, v2
	s_waitcnt lgkmcnt(0)
	v_add_u32_e32 v10, v10, v2
	s_or_b64 exec, exec, s[80:81]
	s_and_saveexec_b64 s[80:81], s[26:27]
	s_cbranch_execz .LBB107_63
.LBB107_95:                             ;   in Loop: Header=BB107_47 Depth=1
	v_mov_b32_e32 v2, s95
	ds_read_b32 v2, v2
	s_waitcnt lgkmcnt(0)
	v_add_u32_e32 v10, v10, v2
	s_or_b64 exec, exec, s[80:81]
	s_and_saveexec_b64 s[80:81], s[28:29]
	s_cbranch_execz .LBB107_64
.LBB107_96:                             ;   in Loop: Header=BB107_47 Depth=1
	v_mov_b32_e32 v2, s78
	ds_read_b32 v2, v2
	s_waitcnt lgkmcnt(0)
	v_add_u32_e32 v10, v10, v2
	s_or_b64 exec, exec, s[80:81]
	s_and_saveexec_b64 s[80:81], s[30:31]
	s_cbranch_execz .LBB107_65
.LBB107_97:                             ;   in Loop: Header=BB107_47 Depth=1
	v_mov_b32_e32 v2, s79
	ds_read_b32 v2, v2
	s_waitcnt lgkmcnt(0)
	v_add_u32_e32 v10, v10, v2
	s_or_b64 exec, exec, s[80:81]
	s_and_saveexec_b64 s[80:81], s[34:35]
	s_cbranch_execz .LBB107_66
.LBB107_98:                             ;   in Loop: Header=BB107_47 Depth=1
	v_mov_b32_e32 v2, s70
	ds_read_b32 v2, v2
	s_waitcnt lgkmcnt(0)
	v_add_u32_e32 v10, v10, v2
	s_or_b64 exec, exec, s[80:81]
	s_and_saveexec_b64 s[80:81], s[36:37]
	s_cbranch_execz .LBB107_67
.LBB107_99:                             ;   in Loop: Header=BB107_47 Depth=1
	v_mov_b32_e32 v2, s66
	ds_read_b32 v2, v2
	s_waitcnt lgkmcnt(0)
	v_add_u32_e32 v10, v10, v2
	s_or_b64 exec, exec, s[80:81]
	s_and_saveexec_b64 s[80:81], s[38:39]
	s_cbranch_execz .LBB107_68
.LBB107_100:                            ;   in Loop: Header=BB107_47 Depth=1
	v_mov_b32_e32 v2, s67
	ds_read_b32 v2, v2
	s_waitcnt lgkmcnt(0)
	v_add_u32_e32 v10, v10, v2
	s_or_b64 exec, exec, s[80:81]
	s_and_saveexec_b64 s[80:81], s[40:41]
	s_cbranch_execz .LBB107_69
.LBB107_101:                            ;   in Loop: Header=BB107_47 Depth=1
	v_mov_b32_e32 v2, s72
	ds_read_b32 v2, v2
	s_waitcnt lgkmcnt(0)
	v_add_u32_e32 v10, v10, v2
	s_or_b64 exec, exec, s[80:81]
	s_and_saveexec_b64 s[80:81], s[42:43]
	s_cbranch_execz .LBB107_70
.LBB107_102:                            ;   in Loop: Header=BB107_47 Depth=1
	v_mov_b32_e32 v2, s73
	ds_read_b32 v2, v2
	s_waitcnt lgkmcnt(0)
	v_add_u32_e32 v10, v10, v2
	s_or_b64 exec, exec, s[80:81]
	s_and_saveexec_b64 s[80:81], s[44:45]
	s_cbranch_execz .LBB107_71
.LBB107_103:                            ;   in Loop: Header=BB107_47 Depth=1
	v_mov_b32_e32 v2, s74
	ds_read_b32 v2, v2
	s_waitcnt lgkmcnt(0)
	v_add_u32_e32 v10, v10, v2
	s_or_b64 exec, exec, s[80:81]
	s_and_saveexec_b64 s[80:81], s[46:47]
	s_cbranch_execz .LBB107_72
.LBB107_104:                            ;   in Loop: Header=BB107_47 Depth=1
	v_mov_b32_e32 v2, s75
	ds_read_b32 v2, v2
	s_waitcnt lgkmcnt(0)
	v_add_u32_e32 v10, v10, v2
	s_or_b64 exec, exec, s[80:81]
	s_and_saveexec_b64 s[80:81], s[48:49]
	s_cbranch_execz .LBB107_73
.LBB107_105:                            ;   in Loop: Header=BB107_47 Depth=1
	v_mov_b32_e32 v2, s33
	ds_read_b32 v2, v2
	s_waitcnt lgkmcnt(0)
	v_add_u32_e32 v10, v10, v2
	s_or_b64 exec, exec, s[80:81]
	s_and_saveexec_b64 s[80:81], s[50:51]
	s_cbranch_execz .LBB107_74
.LBB107_106:                            ;   in Loop: Header=BB107_47 Depth=1
	v_mov_b32_e32 v2, s71
	ds_read_b32 v2, v2
	s_waitcnt lgkmcnt(0)
	v_add_u32_e32 v10, v10, v2
	s_or_b64 exec, exec, s[80:81]
	s_and_saveexec_b64 s[80:81], s[52:53]
	s_cbranch_execz .LBB107_75
.LBB107_107:                            ;   in Loop: Header=BB107_47 Depth=1
	v_mov_b32_e32 v2, s82
	ds_read_b32 v2, v2
	s_waitcnt lgkmcnt(0)
	v_add_u32_e32 v10, v10, v2
	s_or_b64 exec, exec, s[80:81]
	s_and_saveexec_b64 s[80:81], s[54:55]
	s_cbranch_execz .LBB107_76
.LBB107_108:                            ;   in Loop: Header=BB107_47 Depth=1
	v_mov_b32_e32 v2, s83
	ds_read_b32 v2, v2
	s_waitcnt lgkmcnt(0)
	v_add_u32_e32 v10, v10, v2
	s_or_b64 exec, exec, s[80:81]
	s_and_saveexec_b64 s[80:81], s[56:57]
	s_cbranch_execz .LBB107_77
.LBB107_109:                            ;   in Loop: Header=BB107_47 Depth=1
	v_mov_b32_e32 v2, s84
	ds_read_b32 v2, v2
	s_waitcnt lgkmcnt(0)
	v_add_u32_e32 v10, v10, v2
	s_or_b64 exec, exec, s[80:81]
	s_and_saveexec_b64 s[80:81], s[58:59]
	s_cbranch_execz .LBB107_78
.LBB107_110:                            ;   in Loop: Header=BB107_47 Depth=1
	v_mov_b32_e32 v2, s85
	ds_read_b32 v2, v2
	s_waitcnt lgkmcnt(0)
	v_add_u32_e32 v10, v10, v2
	s_or_b64 exec, exec, s[80:81]
	v_ashrrev_i32_e32 v11, 31, v10
	s_and_saveexec_b64 s[80:81], s[64:65]
	s_cbranch_execz .LBB107_79
.LBB107_111:                            ;   in Loop: Header=BB107_47 Depth=1
	v_add3_u32 v2, v6, -1, v10
	v_lshl_add_u32 v16, v2, 3, 0
	v_lshl_add_u32 v2, v2, 2, 0
	v_add_u32_e32 v2, 0x40000, v2
	ds_write_b64 v16, v[8:9]
	ds_write_b32 v2, v13
	s_or_b64 exec, exec, s[80:81]
	s_and_saveexec_b64 s[64:65], vcc
	s_cbranch_execz .LBB107_46
.LBB107_112:                            ;   in Loop: Header=BB107_47 Depth=1
	v_mov_b32_e32 v2, s86
	ds_write_b64 v2, v[10:11]
	s_branch .LBB107_46
.LBB107_113:
	s_or_b64 exec, exec, s[68:69]
	v_readlane_b32 s0, v26, 4
	v_readlane_b32 s4, v26, 6
	;; [unrolled: 1-line block ×7, first 2 shown]
	s_lshl_b64 s[0:1], s[0:1], 3
	s_mov_b64 s[6:7], s[10:11]
	s_add_u32 s0, s6, s0
	s_addc_u32 s1, s7, s1
	s_load_dwordx4 s[0:3], s[0:1], 0x0
	v_readlane_b32 s5, v26, 7
	v_mov_b32_e32 v1, 0
	v_readlane_b32 s8, v26, 10
	v_readlane_b32 s9, v26, 11
	s_waitcnt lgkmcnt(0)
	s_sub_u32 s4, s2, s0
	s_subb_u32 s5, s3, s1
	v_cmp_gt_i64_e32 vcc, s[4:5], v[0:1]
	s_and_saveexec_b64 s[6:7], vcc
	v_readlane_b32 s16, v26, 14
	v_readlane_b32 s18, v26, 16
	;; [unrolled: 1-line block ×4, first 2 shown]
	s_cbranch_execz .LBB107_123
; %bb.114:
	s_sub_u32 s6, s0, s18
	s_subb_u32 s7, s1, 0
	s_and_b32 s8, s4, 7
	s_sub_u32 s0, s0, s2
	s_mov_b32 s16, 0
	s_subb_u32 s1, s1, s3
	s_mov_b32 s9, s16
	s_and_b32 s2, s4, -8
	v_cmp_lt_u64_e64 s[0:1], s[0:1], -7
	s_cmp_lg_u64 s[8:9], 0
	v_cndmask_b32_e64 v2, 0, 1, s[0:1]
	s_mov_b32 s3, s5
	s_mov_b64 s[10:11], 0
	s_cselect_b64 s[12:13], -1, 0
	v_cmp_ne_u32_e64 s[0:1], 1, v2
	s_branch .LBB107_116
.LBB107_115:                            ;   in Loop: Header=BB107_116 Depth=1
	v_mov_b32_e32 v7, s16
	s_waitcnt lgkmcnt(1)
	v_add_co_u32_e32 v2, vcc, s18, v2
	v_readlane_b32 s20, v26, 0
	v_addc_co_u32_e32 v3, vcc, v3, v7, vcc
	v_lshlrev_b64 v[8:9], 3, v[4:5]
	v_readlane_b32 s21, v26, 1
	v_mov_b32_e32 v7, s21
	v_add_co_u32_e32 v8, vcc, s20, v8
	v_addc_co_u32_e32 v9, vcc, v7, v9, vcc
	v_readlane_b32 s22, v26, 2
	v_readlane_b32 s23, v26, 3
	global_store_dwordx2 v[8:9], v[2:3], off
	v_lshlrev_b64 v[2:3], 2, v[4:5]
	v_mov_b32_e32 v4, s23
	v_add_co_u32_e32 v2, vcc, s22, v2
	v_addc_co_u32_e32 v3, vcc, v4, v3, vcc
	v_add_co_u32_e32 v0, vcc, 0x400, v0
	v_addc_co_u32_e32 v1, vcc, 0, v1, vcc
	v_cmp_le_i64_e32 vcc, s[4:5], v[0:1]
	s_or_b64 s[10:11], vcc, s[10:11]
	s_waitcnt lgkmcnt(0)
	global_store_dword v[2:3], v6, off
	s_andn2_b64 exec, exec, s[10:11]
	s_cbranch_execz .LBB107_123
.LBB107_116:                            ; =>This Loop Header: Depth=1
                                        ;     Child Loop BB107_118 Depth 2
                                        ;     Child Loop BB107_122 Depth 2
	v_lshl_add_u32 v2, v0, 3, 0
	v_lshl_add_u32 v3, v0, 2, 0
	v_add_u32_e32 v4, 0x40000, v3
	ds_read_b64 v[2:3], v2
	ds_read_b32 v6, v4
	s_and_b64 vcc, exec, s[0:1]
	v_pk_mov_b32 v[4:5], s[6:7], s[6:7] op_sel:[0,1]
	s_mov_b64 s[14:15], 0
	s_cbranch_vccnz .LBB107_120
; %bb.117:                              ;   in Loop: Header=BB107_116 Depth=1
	s_mov_b32 s17, 0
	v_pk_mov_b32 v[4:5], s[6:7], s[6:7] op_sel:[0,1]
.LBB107_118:                            ;   Parent Loop BB107_116 Depth=1
                                        ; =>  This Inner Loop Header: Depth=2
	v_mov_b32_e32 v7, s17
	ds_read2_b64 v[8:11], v7 offset1:1
	ds_read2_b64 v[12:15], v7 offset0:2 offset1:3
	ds_read2_b64 v[16:19], v7 offset0:4 offset1:5
	;; [unrolled: 1-line block ×3, first 2 shown]
	s_add_u32 s14, s14, 8
	s_waitcnt lgkmcnt(3)
	v_cmp_gt_i64_e32 vcc, v[2:3], v[8:9]
	v_cndmask_b32_e64 v7, 0, 1, vcc
	v_cmp_gt_i64_e32 vcc, v[2:3], v[10:11]
	v_cndmask_b32_e64 v8, 0, 1, vcc
	s_waitcnt lgkmcnt(2)
	v_cmp_gt_i64_e32 vcc, v[2:3], v[12:13]
	v_cndmask_b32_e64 v9, 0, 1, vcc
	v_cmp_gt_i64_e32 vcc, v[2:3], v[14:15]
	v_cndmask_b32_e64 v10, 0, 1, vcc
	;; [unrolled: 5-line block ×4, first 2 shown]
	v_add_co_u32_e32 v4, vcc, v4, v7
	v_addc_co_u32_e32 v5, vcc, 0, v5, vcc
	v_add_co_u32_e32 v4, vcc, v4, v8
	v_addc_co_u32_e32 v5, vcc, 0, v5, vcc
	;; [unrolled: 2-line block ×7, first 2 shown]
	s_addc_u32 s15, s15, 0
	s_add_i32 s17, s17, 64
	v_add_co_u32_e32 v4, vcc, v4, v14
	s_cmp_eq_u64 s[2:3], s[14:15]
	v_addc_co_u32_e32 v5, vcc, 0, v5, vcc
	s_cbranch_scc0 .LBB107_118
; %bb.119:                              ;   in Loop: Header=BB107_116 Depth=1
	s_mov_b64 s[14:15], s[2:3]
.LBB107_120:                            ;   in Loop: Header=BB107_116 Depth=1
	s_andn2_b64 vcc, exec, s[12:13]
	s_cbranch_vccnz .LBB107_115
; %bb.121:                              ;   in Loop: Header=BB107_116 Depth=1
	s_lshl_b32 s14, s14, 3
	s_add_i32 s17, s14, 0
	s_mov_b64 s[14:15], s[8:9]
.LBB107_122:                            ;   Parent Loop BB107_116 Depth=1
                                        ; =>  This Inner Loop Header: Depth=2
	v_mov_b32_e32 v7, s17
	ds_read_b64 v[8:9], v7
	s_add_i32 s17, s17, 8
	s_add_u32 s14, s14, -1
	s_addc_u32 s15, s15, -1
	s_cmp_lg_u64 s[14:15], 0
	s_waitcnt lgkmcnt(0)
	v_cmp_gt_i64_e32 vcc, v[2:3], v[8:9]
	v_cndmask_b32_e64 v7, 0, 1, vcc
	v_add_co_u32_e32 v4, vcc, v4, v7
	v_addc_co_u32_e32 v5, vcc, 0, v5, vcc
	s_cbranch_scc1 .LBB107_122
	s_branch .LBB107_115
.LBB107_123:
	s_endpgm
	.section	.rodata,"a",@progbits
	.p2align	6, 0x0
	.amdhsa_kernel _ZN9rocsparseL26csrgemm_fill_block_per_rowILj1024ELj64ELj32768ELj137ELj32EllfEEvT5_PKS1_S3_NS_24const_host_device_scalarIT6_EEPKT4_S3_PKS5_S9_S3_SB_S6_S9_S3_SB_S9_PS1_PS5_21rocsparse_index_base_SE_SE_SE_bbb
		.amdhsa_group_segment_fixed_size 0
		.amdhsa_private_segment_fixed_size 0
		.amdhsa_kernarg_size 156
		.amdhsa_user_sgpr_count 6
		.amdhsa_user_sgpr_private_segment_buffer 1
		.amdhsa_user_sgpr_dispatch_ptr 0
		.amdhsa_user_sgpr_queue_ptr 0
		.amdhsa_user_sgpr_kernarg_segment_ptr 1
		.amdhsa_user_sgpr_dispatch_id 0
		.amdhsa_user_sgpr_flat_scratch_init 0
		.amdhsa_user_sgpr_kernarg_preload_length 0
		.amdhsa_user_sgpr_kernarg_preload_offset 0
		.amdhsa_user_sgpr_private_segment_size 0
		.amdhsa_uses_dynamic_stack 0
		.amdhsa_system_sgpr_private_segment_wavefront_offset 0
		.amdhsa_system_sgpr_workgroup_id_x 1
		.amdhsa_system_sgpr_workgroup_id_y 0
		.amdhsa_system_sgpr_workgroup_id_z 0
		.amdhsa_system_sgpr_workgroup_info 0
		.amdhsa_system_vgpr_workitem_id 0
		.amdhsa_next_free_vgpr 27
		.amdhsa_next_free_sgpr 96
		.amdhsa_accum_offset 28
		.amdhsa_reserve_vcc 1
		.amdhsa_reserve_flat_scratch 0
		.amdhsa_float_round_mode_32 0
		.amdhsa_float_round_mode_16_64 0
		.amdhsa_float_denorm_mode_32 3
		.amdhsa_float_denorm_mode_16_64 3
		.amdhsa_dx10_clamp 1
		.amdhsa_ieee_mode 1
		.amdhsa_fp16_overflow 0
		.amdhsa_tg_split 0
		.amdhsa_exception_fp_ieee_invalid_op 0
		.amdhsa_exception_fp_denorm_src 0
		.amdhsa_exception_fp_ieee_div_zero 0
		.amdhsa_exception_fp_ieee_overflow 0
		.amdhsa_exception_fp_ieee_underflow 0
		.amdhsa_exception_fp_ieee_inexact 0
		.amdhsa_exception_int_div_zero 0
	.end_amdhsa_kernel
	.section	.text._ZN9rocsparseL26csrgemm_fill_block_per_rowILj1024ELj64ELj32768ELj137ELj32EllfEEvT5_PKS1_S3_NS_24const_host_device_scalarIT6_EEPKT4_S3_PKS5_S9_S3_SB_S6_S9_S3_SB_S9_PS1_PS5_21rocsparse_index_base_SE_SE_SE_bbb,"axG",@progbits,_ZN9rocsparseL26csrgemm_fill_block_per_rowILj1024ELj64ELj32768ELj137ELj32EllfEEvT5_PKS1_S3_NS_24const_host_device_scalarIT6_EEPKT4_S3_PKS5_S9_S3_SB_S6_S9_S3_SB_S9_PS1_PS5_21rocsparse_index_base_SE_SE_SE_bbb,comdat
.Lfunc_end107:
	.size	_ZN9rocsparseL26csrgemm_fill_block_per_rowILj1024ELj64ELj32768ELj137ELj32EllfEEvT5_PKS1_S3_NS_24const_host_device_scalarIT6_EEPKT4_S3_PKS5_S9_S3_SB_S6_S9_S3_SB_S9_PS1_PS5_21rocsparse_index_base_SE_SE_SE_bbb, .Lfunc_end107-_ZN9rocsparseL26csrgemm_fill_block_per_rowILj1024ELj64ELj32768ELj137ELj32EllfEEvT5_PKS1_S3_NS_24const_host_device_scalarIT6_EEPKT4_S3_PKS5_S9_S3_SB_S6_S9_S3_SB_S9_PS1_PS5_21rocsparse_index_base_SE_SE_SE_bbb
                                        ; -- End function
	.section	.AMDGPU.csdata,"",@progbits
; Kernel info:
; codeLenInByte = 4936
; NumSgprs: 100
; NumVgprs: 27
; NumAgprs: 0
; TotalNumVgprs: 27
; ScratchSize: 0
; MemoryBound: 0
; FloatMode: 240
; IeeeMode: 1
; LDSByteSize: 0 bytes/workgroup (compile time only)
; SGPRBlocks: 12
; VGPRBlocks: 3
; NumSGPRsForWavesPerEU: 100
; NumVGPRsForWavesPerEU: 27
; AccumOffset: 28
; Occupancy: 8
; WaveLimiterHint : 1
; COMPUTE_PGM_RSRC2:SCRATCH_EN: 0
; COMPUTE_PGM_RSRC2:USER_SGPR: 6
; COMPUTE_PGM_RSRC2:TRAP_HANDLER: 0
; COMPUTE_PGM_RSRC2:TGID_X_EN: 1
; COMPUTE_PGM_RSRC2:TGID_Y_EN: 0
; COMPUTE_PGM_RSRC2:TGID_Z_EN: 0
; COMPUTE_PGM_RSRC2:TIDIG_COMP_CNT: 0
; COMPUTE_PGM_RSRC3_GFX90A:ACCUM_OFFSET: 6
; COMPUTE_PGM_RSRC3_GFX90A:TG_SPLIT: 0
	.section	.text._ZN9rocsparseL26csrgemm_fill_block_per_rowILj1024ELj64ELj32768ELj137ELj64EllfEEvT5_PKS1_S3_NS_24const_host_device_scalarIT6_EEPKT4_S3_PKS5_S9_S3_SB_S6_S9_S3_SB_S9_PS1_PS5_21rocsparse_index_base_SE_SE_SE_bbb,"axG",@progbits,_ZN9rocsparseL26csrgemm_fill_block_per_rowILj1024ELj64ELj32768ELj137ELj64EllfEEvT5_PKS1_S3_NS_24const_host_device_scalarIT6_EEPKT4_S3_PKS5_S9_S3_SB_S6_S9_S3_SB_S9_PS1_PS5_21rocsparse_index_base_SE_SE_SE_bbb,comdat
	.globl	_ZN9rocsparseL26csrgemm_fill_block_per_rowILj1024ELj64ELj32768ELj137ELj64EllfEEvT5_PKS1_S3_NS_24const_host_device_scalarIT6_EEPKT4_S3_PKS5_S9_S3_SB_S6_S9_S3_SB_S9_PS1_PS5_21rocsparse_index_base_SE_SE_SE_bbb ; -- Begin function _ZN9rocsparseL26csrgemm_fill_block_per_rowILj1024ELj64ELj32768ELj137ELj64EllfEEvT5_PKS1_S3_NS_24const_host_device_scalarIT6_EEPKT4_S3_PKS5_S9_S3_SB_S6_S9_S3_SB_S9_PS1_PS5_21rocsparse_index_base_SE_SE_SE_bbb
	.p2align	8
	.type	_ZN9rocsparseL26csrgemm_fill_block_per_rowILj1024ELj64ELj32768ELj137ELj64EllfEEvT5_PKS1_S3_NS_24const_host_device_scalarIT6_EEPKT4_S3_PKS5_S9_S3_SB_S6_S9_S3_SB_S9_PS1_PS5_21rocsparse_index_base_SE_SE_SE_bbb,@function
_ZN9rocsparseL26csrgemm_fill_block_per_rowILj1024ELj64ELj32768ELj137ELj64EllfEEvT5_PKS1_S3_NS_24const_host_device_scalarIT6_EEPKT4_S3_PKS5_S9_S3_SB_S6_S9_S3_SB_S9_PS1_PS5_21rocsparse_index_base_SE_SE_SE_bbb: ; @_ZN9rocsparseL26csrgemm_fill_block_per_rowILj1024ELj64ELj32768ELj137ELj64EllfEEvT5_PKS1_S3_NS_24const_host_device_scalarIT6_EEPKT4_S3_PKS5_S9_S3_SB_S6_S9_S3_SB_S9_PS1_PS5_21rocsparse_index_base_SE_SE_SE_bbb
; %bb.0:
	s_load_dword s7, s[4:5], 0x98
	s_load_dwordx4 s[44:47], s[4:5], 0x88
	s_load_dwordx2 s[0:1], s[4:5], 0x18
	s_load_dwordx2 s[24:25], s[4:5], 0x50
	s_waitcnt lgkmcnt(0)
	s_bitcmp1_b32 s7, 0
	s_cselect_b64 s[2:3], -1, 0
	s_bitcmp1_b32 s7, 16
	s_cselect_b64 s[26:27], -1, 0
	s_xor_b64 s[8:9], s[2:3], -1
	s_or_b64 s[8:9], s[8:9], s[26:27]
	s_and_b64 vcc, exec, s[8:9]
	s_cbranch_vccnz .LBB108_2
; %bb.1:
	s_load_dword s0, s[0:1], 0x0
	s_waitcnt lgkmcnt(0)
	v_mov_b32_e32 v17, s0
	s_branch .LBB108_3
.LBB108_2:
	v_mov_b32_e32 v1, s0
	v_cndmask_b32_e64 v17, 0, v1, s[2:3]
.LBB108_3:
	s_load_dwordx4 s[48:51], s[4:5], 0x78
	s_load_dwordx8 s[36:43], s[4:5], 0x58
	s_load_dwordx4 s[16:19], s[4:5], 0x40
	s_load_dwordx4 s[20:23], s[4:5], 0x8
	s_load_dwordx8 s[8:15], s[4:5], 0x20
	s_bitcmp1_b32 s7, 8
	s_cselect_b64 s[0:1], -1, 0
	s_xor_b64 s[28:29], s[0:1], -1
	s_or_b64 s[26:27], s[28:29], s[26:27]
	s_and_b64 vcc, exec, s[26:27]
	s_cbranch_vccnz .LBB108_5
; %bb.4:
	s_load_dword s7, s[24:25], 0x0
	s_waitcnt lgkmcnt(0)
	v_mov_b32_e32 v11, s7
	s_branch .LBB108_6
.LBB108_5:
	v_mov_b32_e32 v1, s24
	v_cndmask_b32_e64 v11, 0, v1, s[0:1]
.LBB108_6:
	s_load_dwordx2 s[34:35], s[4:5], 0x0
	v_lshl_add_u32 v2, v0, 2, 0
	v_or_b32_e32 v1, 0xfffffc00, v0
	v_add_u32_e32 v14, 0x40000, v2
	v_lshl_add_u32 v15, v0, 3, 0
	s_mov_b64 s[4:5], 0
	s_waitcnt lgkmcnt(0)
	v_pk_mov_b32 v[2:3], s[34:35], s[34:35] op_sel:[0,1]
	v_mov_b32_e32 v4, 0
	s_movk_i32 s7, 0x7bff
	v_mov_b32_e32 v5, v15
	v_mov_b32_e32 v6, v14
	;; [unrolled: 1-line block ×3, first 2 shown]
.LBB108_7:                              ; =>This Inner Loop Header: Depth=1
	v_add_u32_e32 v7, 0x400, v7
	v_cmp_lt_u32_e32 vcc, s7, v7
	ds_write_b64 v5, v[2:3]
	ds_write_b32 v6, v4
	v_add_u32_e32 v6, 0x1000, v6
	s_or_b64 s[4:5], vcc, s[4:5]
	v_add_u32_e32 v5, 0x2000, v5
	s_andn2_b64 exec, exec, s[4:5]
	s_cbranch_execnz .LBB108_7
; %bb.8:
	s_or_b64 exec, exec, s[4:5]
	s_waitcnt lgkmcnt(0)
	s_barrier
	s_load_dwordx2 s[4:5], s[20:21], 0x0
	s_mov_b32 s7, 0
	v_lshrrev_b32_e32 v16, 6, v0
	s_waitcnt lgkmcnt(0)
	s_lshl_b64 s[4:5], s[4:5], 3
	s_add_u32 s20, s22, s4
	s_addc_u32 s21, s23, s5
	s_lshl_b64 s[4:5], s[6:7], 3
	s_add_u32 s4, s20, s4
	s_addc_u32 s5, s21, s5
	s_load_dwordx2 s[52:53], s[4:5], 0x0
	s_and_b64 vcc, exec, s[2:3]
	s_cbranch_vccz .LBB108_28
; %bb.9:
	s_waitcnt lgkmcnt(0)
	s_lshl_b64 s[2:3], s[52:53], 3
	s_add_u32 s2, s8, s2
	s_addc_u32 s3, s9, s3
	s_load_dwordx4 s[20:23], s[2:3], 0x0
	v_subrev_co_u32_e32 v2, vcc, s44, v16
	v_subb_co_u32_e64 v3, s[4:5], 0, 0, vcc
	s_waitcnt lgkmcnt(0)
	s_sub_u32 s2, s22, s44
	v_mov_b32_e32 v4, s21
	v_add_co_u32_e32 v2, vcc, s20, v2
	s_subb_u32 s3, s23, 0
	v_addc_co_u32_e32 v3, vcc, v4, v3, vcc
	v_cmp_gt_i64_e32 vcc, s[2:3], v[2:3]
	s_and_saveexec_b64 s[4:5], vcc
	s_cbranch_execz .LBB108_27
; %bb.10:
	v_and_b32_e32 v4, 63, v0
	v_subrev_co_u32_e32 v18, vcc, s45, v4
	s_mov_b32 s6, 0
	v_subb_co_u32_e64 v19, s[8:9], 0, 0, vcc
	s_mov_b32 s33, s44
	s_mov_b32 s54, s45
	s_mov_b64 s[8:9], 0
	v_mov_b32_e32 v20, s11
	v_mov_b32_e32 v21, s7
	;; [unrolled: 1-line block ×4, first 2 shown]
	s_movk_i32 s11, 0x89
	s_branch .LBB108_12
.LBB108_11:                             ;   in Loop: Header=BB108_12 Depth=1
	s_or_b64 exec, exec, s[6:7]
	v_add_co_u32_e32 v2, vcc, 16, v2
	v_addc_co_u32_e32 v3, vcc, 0, v3, vcc
	v_cmp_le_i64_e32 vcc, s[2:3], v[2:3]
	s_or_b64 s[8:9], vcc, s[8:9]
	s_andn2_b64 exec, exec, s[8:9]
	s_cbranch_execz .LBB108_27
.LBB108_12:                             ; =>This Loop Header: Depth=1
                                        ;     Child Loop BB108_15 Depth 2
                                        ;       Child Loop BB108_17 Depth 3
	v_lshlrev_b64 v[4:5], 3, v[2:3]
	v_add_co_u32_e32 v4, vcc, s10, v4
	v_addc_co_u32_e32 v5, vcc, v20, v5, vcc
	global_load_dwordx2 v[4:5], v[4:5], off
	s_waitcnt vmcnt(0)
	v_subrev_co_u32_e32 v4, vcc, s33, v4
	v_subb_co_u32_e32 v5, vcc, v5, v21, vcc
	v_lshlrev_b64 v[4:5], 3, v[4:5]
	v_add_co_u32_e32 v4, vcc, s14, v4
	v_addc_co_u32_e32 v5, vcc, v22, v5, vcc
	global_load_dwordx4 v[6:9], v[4:5], off
	s_waitcnt vmcnt(0)
	v_subrev_co_u32_e32 v4, vcc, s54, v8
	v_subb_co_u32_e32 v5, vcc, v9, v23, vcc
	v_add_co_u32_e32 v6, vcc, v6, v18
	v_addc_co_u32_e32 v7, vcc, v7, v19, vcc
	v_cmp_lt_i64_e32 vcc, v[6:7], v[4:5]
	s_and_saveexec_b64 s[6:7], vcc
	s_cbranch_execz .LBB108_11
; %bb.13:                               ;   in Loop: Header=BB108_12 Depth=1
	v_lshlrev_b64 v[8:9], 2, v[2:3]
	v_mov_b32_e32 v10, s13
	v_add_co_u32_e32 v8, vcc, s12, v8
	v_addc_co_u32_e32 v9, vcc, v10, v9, vcc
	global_load_dword v8, v[8:9], off
	s_mov_b64 s[20:21], 0
	s_waitcnt vmcnt(0)
	v_mul_f32_e32 v24, v17, v8
	s_branch .LBB108_15
.LBB108_14:                             ;   in Loop: Header=BB108_15 Depth=2
	s_or_b64 exec, exec, s[22:23]
	v_add_co_u32_e32 v6, vcc, 64, v6
	v_addc_co_u32_e32 v7, vcc, 0, v7, vcc
	v_cmp_ge_i64_e32 vcc, v[6:7], v[4:5]
	s_or_b64 s[20:21], vcc, s[20:21]
	s_andn2_b64 exec, exec, s[20:21]
	s_cbranch_execz .LBB108_11
.LBB108_15:                             ;   Parent Loop BB108_12 Depth=1
                                        ; =>  This Loop Header: Depth=2
                                        ;       Child Loop BB108_17 Depth 3
	v_lshlrev_b64 v[8:9], 3, v[6:7]
	v_mov_b32_e32 v10, s17
	v_add_co_u32_e32 v8, vcc, s16, v8
	v_addc_co_u32_e32 v9, vcc, v10, v9, vcc
	v_lshlrev_b64 v[12:13], 2, v[6:7]
	v_mov_b32_e32 v10, s19
	v_add_co_u32_e32 v12, vcc, s18, v12
	global_load_dwordx2 v[8:9], v[8:9], off
	v_addc_co_u32_e32 v13, vcc, v10, v13, vcc
	global_load_dword v10, v[12:13], off
	s_mov_b64 s[22:23], 0
	s_waitcnt vmcnt(1)
	v_subrev_co_u32_e32 v8, vcc, s54, v8
	v_subb_co_u32_e32 v9, vcc, v9, v23, vcc
	s_waitcnt vmcnt(0)
	v_mul_f32_e32 v25, v24, v10
	v_mul_lo_u32 v10, v8, s11
	v_and_b32_e32 v10, 0x7fff, v10
	s_branch .LBB108_17
.LBB108_16:                             ;   in Loop: Header=BB108_17 Depth=3
	s_or_b64 exec, exec, s[24:25]
	s_xor_b64 s[24:25], s[26:27], -1
	s_and_b64 s[24:25], exec, s[24:25]
	s_or_b64 s[22:23], s[24:25], s[22:23]
	s_andn2_b64 exec, exec, s[22:23]
	s_cbranch_execz .LBB108_14
.LBB108_17:                             ;   Parent Loop BB108_12 Depth=1
                                        ;     Parent Loop BB108_15 Depth=2
                                        ; =>    This Inner Loop Header: Depth=3
	v_lshl_add_u32 v26, v10, 3, 0
	ds_read_b64 v[12:13], v26
                                        ; implicit-def: $sgpr26_sgpr27
	s_waitcnt lgkmcnt(0)
	v_cmp_ne_u64_e32 vcc, v[12:13], v[8:9]
	s_and_saveexec_b64 s[24:25], vcc
	s_xor_b64 s[24:25], exec, s[24:25]
	s_cbranch_execz .LBB108_25
; %bb.18:                               ;   in Loop: Header=BB108_17 Depth=3
	v_cmp_ne_u64_e32 vcc, s[34:35], v[12:13]
                                        ; implicit-def: $sgpr26_sgpr27
	s_and_saveexec_b64 s[28:29], vcc
	s_xor_b64 s[28:29], exec, s[28:29]
; %bb.19:                               ;   in Loop: Header=BB108_17 Depth=3
	v_add_u32_e32 v10, 1, v10
	v_and_b32_e32 v10, 0x7fff, v10
	s_mov_b64 s[26:27], -1
                                        ; implicit-def: $vgpr26
; %bb.20:                               ;   in Loop: Header=BB108_17 Depth=3
	s_andn2_saveexec_b64 s[28:29], s[28:29]
	s_cbranch_execz .LBB108_24
; %bb.21:                               ;   in Loop: Header=BB108_17 Depth=3
	v_pk_mov_b32 v[12:13], s[34:35], s[34:35] op_sel:[0,1]
	ds_cmpst_rtn_b64 v[12:13], v26, v[12:13], v[8:9]
	s_mov_b64 s[30:31], -1
	s_waitcnt lgkmcnt(0)
	v_cmp_eq_u64_e32 vcc, s[34:35], v[12:13]
	s_and_saveexec_b64 s[44:45], vcc
	s_cbranch_execz .LBB108_23
; %bb.22:                               ;   in Loop: Header=BB108_17 Depth=3
	v_lshl_add_u32 v12, v10, 2, 0
	v_add_u32_e32 v12, 0x40000, v12
	ds_add_f32 v12, v25
	s_xor_b64 s[30:31], exec, -1
.LBB108_23:                             ;   in Loop: Header=BB108_17 Depth=3
	s_or_b64 exec, exec, s[44:45]
	s_andn2_b64 s[26:27], s[26:27], exec
	s_and_b64 s[30:31], s[30:31], exec
	s_or_b64 s[26:27], s[26:27], s[30:31]
.LBB108_24:                             ;   in Loop: Header=BB108_17 Depth=3
	s_or_b64 exec, exec, s[28:29]
	s_and_b64 s[26:27], s[26:27], exec
.LBB108_25:                             ;   in Loop: Header=BB108_17 Depth=3
	s_andn2_saveexec_b64 s[24:25], s[24:25]
	s_cbranch_execz .LBB108_16
; %bb.26:                               ;   in Loop: Header=BB108_17 Depth=3
	v_lshl_add_u32 v12, v10, 2, 0
	v_add_u32_e32 v12, 0x40000, v12
	ds_add_f32 v12, v25
	s_andn2_b64 s[26:27], s[26:27], exec
	s_branch .LBB108_16
.LBB108_27:
	s_or_b64 exec, exec, s[4:5]
.LBB108_28:
	s_andn2_b64 vcc, exec, s[0:1]
	s_cbranch_vccnz .LBB108_45
; %bb.29:
	s_waitcnt lgkmcnt(0)
	s_lshl_b64 s[0:1], s[52:53], 3
	s_add_u32 s0, s36, s0
	s_addc_u32 s1, s37, s1
	s_load_dwordx4 s[8:11], s[0:1], 0x0
	v_subrev_co_u32_e32 v2, vcc, s47, v0
	v_subb_co_u32_e64 v3, s[2:3], 0, 0, vcc
	s_waitcnt lgkmcnt(0)
	s_sub_u32 s0, s10, s47
	v_mov_b32_e32 v4, s9
	v_add_co_u32_e32 v2, vcc, s8, v2
	s_subb_u32 s1, s11, 0
	v_addc_co_u32_e32 v3, vcc, v4, v3, vcc
	s_mov_b32 s6, 0
	v_cmp_gt_i64_e32 vcc, s[0:1], v[2:3]
	s_and_saveexec_b64 s[2:3], vcc
	s_cbranch_execz .LBB108_44
; %bb.30:
	s_mov_b32 s18, s47
	s_mov_b64 s[4:5], 0
	v_mov_b32_e32 v7, s39
	v_mov_b32_e32 v10, s6
	;; [unrolled: 1-line block ×3, first 2 shown]
	s_movk_i32 s19, 0x89
	s_branch .LBB108_32
.LBB108_31:                             ;   in Loop: Header=BB108_32 Depth=1
	s_or_b64 exec, exec, s[6:7]
	v_add_co_u32_e32 v2, vcc, 0x400, v2
	v_addc_co_u32_e32 v3, vcc, 0, v3, vcc
	v_cmp_le_i64_e32 vcc, s[0:1], v[2:3]
	s_or_b64 s[4:5], vcc, s[4:5]
	s_andn2_b64 exec, exec, s[4:5]
	s_cbranch_execz .LBB108_44
.LBB108_32:                             ; =>This Loop Header: Depth=1
                                        ;     Child Loop BB108_34 Depth 2
	v_lshlrev_b64 v[4:5], 3, v[2:3]
	v_add_co_u32_e32 v4, vcc, s38, v4
	v_addc_co_u32_e32 v5, vcc, v7, v5, vcc
	v_lshlrev_b64 v[8:9], 2, v[2:3]
	v_add_co_u32_e32 v8, vcc, s40, v8
	global_load_dwordx2 v[4:5], v[4:5], off
	v_addc_co_u32_e32 v9, vcc, v12, v9, vcc
	global_load_dword v6, v[8:9], off
	s_mov_b64 s[6:7], 0
	s_waitcnt vmcnt(1)
	v_subrev_co_u32_e32 v4, vcc, s18, v4
	v_subb_co_u32_e32 v5, vcc, v5, v10, vcc
	s_waitcnt vmcnt(0)
	v_mul_f32_e32 v13, v11, v6
	v_mul_lo_u32 v6, v4, s19
	v_and_b32_e32 v6, 0x7fff, v6
	s_branch .LBB108_34
.LBB108_33:                             ;   in Loop: Header=BB108_34 Depth=2
	s_or_b64 exec, exec, s[8:9]
	s_xor_b64 s[8:9], s[10:11], -1
	s_and_b64 s[8:9], exec, s[8:9]
	s_or_b64 s[6:7], s[8:9], s[6:7]
	s_andn2_b64 exec, exec, s[6:7]
	s_cbranch_execz .LBB108_31
.LBB108_34:                             ;   Parent Loop BB108_32 Depth=1
                                        ; =>  This Inner Loop Header: Depth=2
	v_lshl_add_u32 v17, v6, 3, 0
	ds_read_b64 v[8:9], v17
                                        ; implicit-def: $sgpr10_sgpr11
	s_waitcnt lgkmcnt(0)
	v_cmp_ne_u64_e32 vcc, v[8:9], v[4:5]
	s_and_saveexec_b64 s[8:9], vcc
	s_xor_b64 s[8:9], exec, s[8:9]
	s_cbranch_execz .LBB108_42
; %bb.35:                               ;   in Loop: Header=BB108_34 Depth=2
	v_cmp_ne_u64_e32 vcc, s[34:35], v[8:9]
                                        ; implicit-def: $sgpr10_sgpr11
	s_and_saveexec_b64 s[12:13], vcc
	s_xor_b64 s[12:13], exec, s[12:13]
; %bb.36:                               ;   in Loop: Header=BB108_34 Depth=2
	v_add_u32_e32 v6, 1, v6
	v_and_b32_e32 v6, 0x7fff, v6
	s_mov_b64 s[10:11], -1
                                        ; implicit-def: $vgpr17
; %bb.37:                               ;   in Loop: Header=BB108_34 Depth=2
	s_andn2_saveexec_b64 s[12:13], s[12:13]
	s_cbranch_execz .LBB108_41
; %bb.38:                               ;   in Loop: Header=BB108_34 Depth=2
	v_pk_mov_b32 v[8:9], s[34:35], s[34:35] op_sel:[0,1]
	ds_cmpst_rtn_b64 v[8:9], v17, v[8:9], v[4:5]
	s_mov_b64 s[14:15], -1
	s_waitcnt lgkmcnt(0)
	v_cmp_eq_u64_e32 vcc, s[34:35], v[8:9]
	s_and_saveexec_b64 s[16:17], vcc
	s_cbranch_execz .LBB108_40
; %bb.39:                               ;   in Loop: Header=BB108_34 Depth=2
	v_lshl_add_u32 v8, v6, 2, 0
	v_add_u32_e32 v8, 0x40000, v8
	ds_add_f32 v8, v13
	s_xor_b64 s[14:15], exec, -1
.LBB108_40:                             ;   in Loop: Header=BB108_34 Depth=2
	s_or_b64 exec, exec, s[16:17]
	s_andn2_b64 s[10:11], s[10:11], exec
	s_and_b64 s[14:15], s[14:15], exec
	s_or_b64 s[10:11], s[10:11], s[14:15]
.LBB108_41:                             ;   in Loop: Header=BB108_34 Depth=2
	s_or_b64 exec, exec, s[12:13]
	s_and_b64 s[10:11], s[10:11], exec
.LBB108_42:                             ;   in Loop: Header=BB108_34 Depth=2
	s_andn2_saveexec_b64 s[8:9], s[8:9]
	s_cbranch_execz .LBB108_33
; %bb.43:                               ;   in Loop: Header=BB108_34 Depth=2
	v_lshl_add_u32 v8, v6, 2, 0
	v_add_u32_e32 v8, 0x40000, v8
	ds_add_f32 v8, v13
	s_andn2_b64 s[10:11], s[10:11], exec
	s_branch .LBB108_33
.LBB108_44:
	s_or_b64 exec, exec, s[2:3]
.LBB108_45:
	v_mbcnt_lo_u32_b32 v2, -1, 0
	v_mbcnt_hi_u32_b32 v2, -1, v2
	v_sub_u32_e32 v2, 63, v2
	s_add_i32 s33, 0, 0x60000
	s_movk_i32 s0, 0x3ff
	s_movk_i32 s2, 0x7f
	s_movk_i32 s4, 0xbf
	s_movk_i32 s6, 0xff
	s_movk_i32 s8, 0x13f
	s_movk_i32 s10, 0x17f
	s_movk_i32 s12, 0x1bf
	s_movk_i32 s14, 0x1ff
	s_movk_i32 s16, 0x23f
	s_movk_i32 s18, 0x27f
	s_movk_i32 s20, 0x2bf
	s_movk_i32 s22, 0x2ff
	s_movk_i32 s24, 0x33f
	s_movk_i32 s26, 0x37f
	s_movk_i32 s28, 0x3bf
	s_add_i32 s63, 0, 0x60078
	v_mov_b32_e32 v3, 0
	v_lshrrev_b64 v[4:5], v2, -1
	v_lshl_add_u32 v12, v16, 3, s33
	v_cmp_eq_u32_e32 vcc, s0, v0
	v_cmp_lt_u32_e64 s[0:1], 63, v0
	v_cmp_lt_u32_e64 s[2:3], s2, v0
	;; [unrolled: 1-line block ×15, first 2 shown]
	s_mov_b64 s[36:37], 0
	v_pk_mov_b32 v[6:7], 0, 0
	s_add_i32 s40, 0, 0x60008
	s_add_i32 s41, 0, 0x60010
	;; [unrolled: 1-line block ×14, first 2 shown]
	v_mov_b32_e32 v13, s63
	s_movk_i32 s64, 0x7bff
	s_waitcnt lgkmcnt(0)
	s_barrier
	s_branch .LBB108_47
.LBB108_46:                             ;   in Loop: Header=BB108_47 Depth=1
	s_or_b64 exec, exec, s[30:31]
	s_waitcnt lgkmcnt(0)
	s_barrier
	ds_read_b64 v[8:9], v13
	v_add_u32_e32 v1, 0x400, v1
	v_add_u32_e32 v14, 0x1000, v14
	;; [unrolled: 1-line block ×3, first 2 shown]
	s_waitcnt lgkmcnt(0)
	v_add_co_u32_e64 v6, s[30:31], v8, v6
	v_addc_co_u32_e64 v7, s[30:31], v9, v7, s[30:31]
	v_cmp_lt_u32_e64 s[30:31], s64, v1
	s_or_b64 s[36:37], s[30:31], s[36:37]
	s_andn2_b64 exec, exec, s[36:37]
	s_cbranch_execz .LBB108_81
.LBB108_47:                             ; =>This Inner Loop Header: Depth=1
	ds_read_b64 v[8:9], v15
	ds_read_b32 v16, v14
	s_waitcnt lgkmcnt(0)
	s_barrier
	v_cmp_gt_i64_e64 s[30:31], s[34:35], v[8:9]
	v_and_b32_e32 v11, s30, v4
	s_bcnt1_i32_b64 s38, s[30:31]
	v_and_b32_e32 v10, s31, v5
	v_bcnt_u32_b32 v11, v11, 0
	v_mov_b32_e32 v2, s38
	v_bcnt_u32_b32 v10, v10, v11
	ds_write_b64 v12, v[2:3]
	s_waitcnt lgkmcnt(0)
	s_barrier
	s_and_saveexec_b64 s[38:39], s[0:1]
	s_cbranch_execnz .LBB108_64
; %bb.48:                               ;   in Loop: Header=BB108_47 Depth=1
	s_or_b64 exec, exec, s[38:39]
	s_and_saveexec_b64 s[38:39], s[2:3]
	s_cbranch_execnz .LBB108_65
.LBB108_49:                             ;   in Loop: Header=BB108_47 Depth=1
	s_or_b64 exec, exec, s[38:39]
	s_and_saveexec_b64 s[38:39], s[4:5]
	s_cbranch_execnz .LBB108_66
.LBB108_50:                             ;   in Loop: Header=BB108_47 Depth=1
	s_or_b64 exec, exec, s[38:39]
	s_and_saveexec_b64 s[38:39], s[6:7]
	s_cbranch_execnz .LBB108_67
.LBB108_51:                             ;   in Loop: Header=BB108_47 Depth=1
	s_or_b64 exec, exec, s[38:39]
	s_and_saveexec_b64 s[38:39], s[8:9]
	s_cbranch_execnz .LBB108_68
.LBB108_52:                             ;   in Loop: Header=BB108_47 Depth=1
	s_or_b64 exec, exec, s[38:39]
	s_and_saveexec_b64 s[38:39], s[10:11]
	s_cbranch_execnz .LBB108_69
.LBB108_53:                             ;   in Loop: Header=BB108_47 Depth=1
	s_or_b64 exec, exec, s[38:39]
	s_and_saveexec_b64 s[38:39], s[12:13]
	s_cbranch_execnz .LBB108_70
.LBB108_54:                             ;   in Loop: Header=BB108_47 Depth=1
	s_or_b64 exec, exec, s[38:39]
	s_and_saveexec_b64 s[38:39], s[14:15]
	s_cbranch_execnz .LBB108_71
.LBB108_55:                             ;   in Loop: Header=BB108_47 Depth=1
	s_or_b64 exec, exec, s[38:39]
	s_and_saveexec_b64 s[38:39], s[16:17]
	s_cbranch_execnz .LBB108_72
.LBB108_56:                             ;   in Loop: Header=BB108_47 Depth=1
	s_or_b64 exec, exec, s[38:39]
	s_and_saveexec_b64 s[38:39], s[18:19]
	s_cbranch_execnz .LBB108_73
.LBB108_57:                             ;   in Loop: Header=BB108_47 Depth=1
	s_or_b64 exec, exec, s[38:39]
	s_and_saveexec_b64 s[38:39], s[20:21]
	s_cbranch_execnz .LBB108_74
.LBB108_58:                             ;   in Loop: Header=BB108_47 Depth=1
	s_or_b64 exec, exec, s[38:39]
	s_and_saveexec_b64 s[38:39], s[22:23]
	s_cbranch_execnz .LBB108_75
.LBB108_59:                             ;   in Loop: Header=BB108_47 Depth=1
	s_or_b64 exec, exec, s[38:39]
	s_and_saveexec_b64 s[38:39], s[24:25]
	s_cbranch_execnz .LBB108_76
.LBB108_60:                             ;   in Loop: Header=BB108_47 Depth=1
	s_or_b64 exec, exec, s[38:39]
	s_and_saveexec_b64 s[38:39], s[26:27]
	s_cbranch_execnz .LBB108_77
.LBB108_61:                             ;   in Loop: Header=BB108_47 Depth=1
	s_or_b64 exec, exec, s[38:39]
	s_and_saveexec_b64 s[38:39], s[28:29]
	s_cbranch_execnz .LBB108_78
.LBB108_62:                             ;   in Loop: Header=BB108_47 Depth=1
	s_or_b64 exec, exec, s[38:39]
	v_ashrrev_i32_e32 v11, 31, v10
	s_and_saveexec_b64 s[38:39], s[30:31]
	s_cbranch_execnz .LBB108_79
.LBB108_63:                             ;   in Loop: Header=BB108_47 Depth=1
	s_or_b64 exec, exec, s[38:39]
	s_and_saveexec_b64 s[30:31], vcc
	s_cbranch_execz .LBB108_46
	s_branch .LBB108_80
.LBB108_64:                             ;   in Loop: Header=BB108_47 Depth=1
	v_mov_b32_e32 v2, s33
	ds_read_b32 v2, v2
	s_waitcnt lgkmcnt(0)
	v_add_u32_e32 v10, v2, v10
	s_or_b64 exec, exec, s[38:39]
	s_and_saveexec_b64 s[38:39], s[2:3]
	s_cbranch_execz .LBB108_49
.LBB108_65:                             ;   in Loop: Header=BB108_47 Depth=1
	v_mov_b32_e32 v2, s40
	ds_read_b32 v2, v2
	s_waitcnt lgkmcnt(0)
	v_add_u32_e32 v10, v10, v2
	s_or_b64 exec, exec, s[38:39]
	s_and_saveexec_b64 s[38:39], s[4:5]
	s_cbranch_execz .LBB108_50
.LBB108_66:                             ;   in Loop: Header=BB108_47 Depth=1
	v_mov_b32_e32 v2, s41
	ds_read_b32 v2, v2
	s_waitcnt lgkmcnt(0)
	v_add_u32_e32 v10, v10, v2
	s_or_b64 exec, exec, s[38:39]
	s_and_saveexec_b64 s[38:39], s[6:7]
	s_cbranch_execz .LBB108_51
.LBB108_67:                             ;   in Loop: Header=BB108_47 Depth=1
	v_mov_b32_e32 v2, s44
	ds_read_b32 v2, v2
	s_waitcnt lgkmcnt(0)
	v_add_u32_e32 v10, v10, v2
	s_or_b64 exec, exec, s[38:39]
	s_and_saveexec_b64 s[38:39], s[8:9]
	s_cbranch_execz .LBB108_52
.LBB108_68:                             ;   in Loop: Header=BB108_47 Depth=1
	v_mov_b32_e32 v2, s45
	ds_read_b32 v2, v2
	s_waitcnt lgkmcnt(0)
	v_add_u32_e32 v10, v10, v2
	s_or_b64 exec, exec, s[38:39]
	s_and_saveexec_b64 s[38:39], s[10:11]
	s_cbranch_execz .LBB108_53
.LBB108_69:                             ;   in Loop: Header=BB108_47 Depth=1
	v_mov_b32_e32 v2, s47
	ds_read_b32 v2, v2
	s_waitcnt lgkmcnt(0)
	v_add_u32_e32 v10, v10, v2
	s_or_b64 exec, exec, s[38:39]
	s_and_saveexec_b64 s[38:39], s[12:13]
	s_cbranch_execz .LBB108_54
.LBB108_70:                             ;   in Loop: Header=BB108_47 Depth=1
	v_mov_b32_e32 v2, s54
	ds_read_b32 v2, v2
	s_waitcnt lgkmcnt(0)
	v_add_u32_e32 v10, v10, v2
	s_or_b64 exec, exec, s[38:39]
	s_and_saveexec_b64 s[38:39], s[14:15]
	s_cbranch_execz .LBB108_55
.LBB108_71:                             ;   in Loop: Header=BB108_47 Depth=1
	v_mov_b32_e32 v2, s55
	ds_read_b32 v2, v2
	s_waitcnt lgkmcnt(0)
	v_add_u32_e32 v10, v10, v2
	s_or_b64 exec, exec, s[38:39]
	s_and_saveexec_b64 s[38:39], s[16:17]
	s_cbranch_execz .LBB108_56
.LBB108_72:                             ;   in Loop: Header=BB108_47 Depth=1
	v_mov_b32_e32 v2, s56
	ds_read_b32 v2, v2
	s_waitcnt lgkmcnt(0)
	v_add_u32_e32 v10, v10, v2
	s_or_b64 exec, exec, s[38:39]
	s_and_saveexec_b64 s[38:39], s[18:19]
	s_cbranch_execz .LBB108_57
.LBB108_73:                             ;   in Loop: Header=BB108_47 Depth=1
	v_mov_b32_e32 v2, s57
	ds_read_b32 v2, v2
	s_waitcnt lgkmcnt(0)
	v_add_u32_e32 v10, v10, v2
	s_or_b64 exec, exec, s[38:39]
	s_and_saveexec_b64 s[38:39], s[20:21]
	s_cbranch_execz .LBB108_58
.LBB108_74:                             ;   in Loop: Header=BB108_47 Depth=1
	v_mov_b32_e32 v2, s58
	ds_read_b32 v2, v2
	s_waitcnt lgkmcnt(0)
	v_add_u32_e32 v10, v10, v2
	s_or_b64 exec, exec, s[38:39]
	s_and_saveexec_b64 s[38:39], s[22:23]
	s_cbranch_execz .LBB108_59
.LBB108_75:                             ;   in Loop: Header=BB108_47 Depth=1
	v_mov_b32_e32 v2, s59
	ds_read_b32 v2, v2
	s_waitcnt lgkmcnt(0)
	v_add_u32_e32 v10, v10, v2
	s_or_b64 exec, exec, s[38:39]
	s_and_saveexec_b64 s[38:39], s[24:25]
	s_cbranch_execz .LBB108_60
.LBB108_76:                             ;   in Loop: Header=BB108_47 Depth=1
	v_mov_b32_e32 v2, s60
	ds_read_b32 v2, v2
	s_waitcnt lgkmcnt(0)
	v_add_u32_e32 v10, v10, v2
	s_or_b64 exec, exec, s[38:39]
	s_and_saveexec_b64 s[38:39], s[26:27]
	s_cbranch_execz .LBB108_61
.LBB108_77:                             ;   in Loop: Header=BB108_47 Depth=1
	v_mov_b32_e32 v2, s61
	ds_read_b32 v2, v2
	s_waitcnt lgkmcnt(0)
	v_add_u32_e32 v10, v10, v2
	s_or_b64 exec, exec, s[38:39]
	s_and_saveexec_b64 s[38:39], s[28:29]
	s_cbranch_execz .LBB108_62
.LBB108_78:                             ;   in Loop: Header=BB108_47 Depth=1
	v_mov_b32_e32 v2, s62
	ds_read_b32 v2, v2
	s_waitcnt lgkmcnt(0)
	v_add_u32_e32 v10, v10, v2
	s_or_b64 exec, exec, s[38:39]
	v_ashrrev_i32_e32 v11, 31, v10
	s_and_saveexec_b64 s[38:39], s[30:31]
	s_cbranch_execz .LBB108_63
.LBB108_79:                             ;   in Loop: Header=BB108_47 Depth=1
	v_add3_u32 v2, v6, -1, v10
	v_lshl_add_u32 v17, v2, 3, 0
	v_lshl_add_u32 v2, v2, 2, 0
	v_add_u32_e32 v2, 0x40000, v2
	ds_write_b64 v17, v[8:9]
	ds_write_b32 v2, v16
	s_or_b64 exec, exec, s[38:39]
	s_and_saveexec_b64 s[30:31], vcc
	s_cbranch_execz .LBB108_46
.LBB108_80:                             ;   in Loop: Header=BB108_47 Depth=1
	v_mov_b32_e32 v2, s63
	ds_write_b64 v2, v[10:11]
	s_branch .LBB108_46
.LBB108_81:
	s_or_b64 exec, exec, s[36:37]
	s_lshl_b64 s[0:1], s[52:53], 3
	s_add_u32 s0, s42, s0
	s_addc_u32 s1, s43, s1
	s_load_dwordx4 s[0:3], s[0:1], 0x0
	v_mov_b32_e32 v1, 0
	s_waitcnt lgkmcnt(0)
	s_sub_u32 s4, s2, s0
	s_subb_u32 s5, s3, s1
	v_cmp_gt_i64_e32 vcc, s[4:5], v[0:1]
	s_and_saveexec_b64 s[6:7], vcc
	s_cbranch_execz .LBB108_91
; %bb.82:
	s_sub_u32 s6, s0, s46
	s_subb_u32 s7, s1, 0
	s_and_b32 s8, s4, 7
	s_sub_u32 s0, s0, s2
	s_mov_b32 s16, 0
	s_subb_u32 s1, s1, s3
	s_mov_b32 s9, s16
	s_and_b32 s2, s4, -8
	v_cmp_lt_u64_e64 s[0:1], s[0:1], -7
	s_cmp_lg_u64 s[8:9], 0
	v_cndmask_b32_e64 v2, 0, 1, s[0:1]
	s_mov_b32 s3, s5
	s_mov_b64 s[10:11], 0
	s_cselect_b64 s[12:13], -1, 0
	v_cmp_ne_u32_e64 s[0:1], 1, v2
	s_branch .LBB108_84
.LBB108_83:                             ;   in Loop: Header=BB108_84 Depth=1
	v_mov_b32_e32 v7, s16
	s_waitcnt lgkmcnt(1)
	v_add_co_u32_e32 v2, vcc, s46, v2
	v_addc_co_u32_e32 v3, vcc, v3, v7, vcc
	v_lshlrev_b64 v[8:9], 3, v[4:5]
	v_mov_b32_e32 v7, s49
	v_add_co_u32_e32 v8, vcc, s48, v8
	v_addc_co_u32_e32 v9, vcc, v7, v9, vcc
	global_store_dwordx2 v[8:9], v[2:3], off
	v_lshlrev_b64 v[2:3], 2, v[4:5]
	v_mov_b32_e32 v4, s51
	v_add_co_u32_e32 v2, vcc, s50, v2
	v_addc_co_u32_e32 v3, vcc, v4, v3, vcc
	v_add_co_u32_e32 v0, vcc, 0x400, v0
	v_addc_co_u32_e32 v1, vcc, 0, v1, vcc
	v_cmp_le_i64_e32 vcc, s[4:5], v[0:1]
	s_or_b64 s[10:11], vcc, s[10:11]
	s_waitcnt lgkmcnt(0)
	global_store_dword v[2:3], v6, off
	s_andn2_b64 exec, exec, s[10:11]
	s_cbranch_execz .LBB108_91
.LBB108_84:                             ; =>This Loop Header: Depth=1
                                        ;     Child Loop BB108_86 Depth 2
                                        ;     Child Loop BB108_90 Depth 2
	v_lshl_add_u32 v2, v0, 3, 0
	v_lshl_add_u32 v3, v0, 2, 0
	v_add_u32_e32 v4, 0x40000, v3
	ds_read_b64 v[2:3], v2
	ds_read_b32 v6, v4
	s_and_b64 vcc, exec, s[0:1]
	v_pk_mov_b32 v[4:5], s[6:7], s[6:7] op_sel:[0,1]
	s_mov_b64 s[14:15], 0
	s_cbranch_vccnz .LBB108_88
; %bb.85:                               ;   in Loop: Header=BB108_84 Depth=1
	s_mov_b32 s17, 0
	v_pk_mov_b32 v[4:5], s[6:7], s[6:7] op_sel:[0,1]
.LBB108_86:                             ;   Parent Loop BB108_84 Depth=1
                                        ; =>  This Inner Loop Header: Depth=2
	v_mov_b32_e32 v7, s17
	ds_read2_b64 v[8:11], v7 offset1:1
	ds_read2_b64 v[12:15], v7 offset0:2 offset1:3
	ds_read2_b64 v[16:19], v7 offset0:4 offset1:5
	;; [unrolled: 1-line block ×3, first 2 shown]
	s_add_u32 s14, s14, 8
	s_waitcnt lgkmcnt(3)
	v_cmp_gt_i64_e32 vcc, v[2:3], v[8:9]
	v_cndmask_b32_e64 v7, 0, 1, vcc
	v_cmp_gt_i64_e32 vcc, v[2:3], v[10:11]
	v_cndmask_b32_e64 v8, 0, 1, vcc
	s_waitcnt lgkmcnt(2)
	v_cmp_gt_i64_e32 vcc, v[2:3], v[12:13]
	v_cndmask_b32_e64 v9, 0, 1, vcc
	v_cmp_gt_i64_e32 vcc, v[2:3], v[14:15]
	v_cndmask_b32_e64 v10, 0, 1, vcc
	;; [unrolled: 5-line block ×4, first 2 shown]
	v_add_co_u32_e32 v4, vcc, v4, v7
	v_addc_co_u32_e32 v5, vcc, 0, v5, vcc
	v_add_co_u32_e32 v4, vcc, v4, v8
	v_addc_co_u32_e32 v5, vcc, 0, v5, vcc
	;; [unrolled: 2-line block ×7, first 2 shown]
	s_addc_u32 s15, s15, 0
	s_add_i32 s17, s17, 64
	v_add_co_u32_e32 v4, vcc, v4, v14
	s_cmp_eq_u64 s[2:3], s[14:15]
	v_addc_co_u32_e32 v5, vcc, 0, v5, vcc
	s_cbranch_scc0 .LBB108_86
; %bb.87:                               ;   in Loop: Header=BB108_84 Depth=1
	s_mov_b64 s[14:15], s[2:3]
.LBB108_88:                             ;   in Loop: Header=BB108_84 Depth=1
	s_andn2_b64 vcc, exec, s[12:13]
	s_cbranch_vccnz .LBB108_83
; %bb.89:                               ;   in Loop: Header=BB108_84 Depth=1
	s_lshl_b32 s14, s14, 3
	s_add_i32 s17, s14, 0
	s_mov_b64 s[14:15], s[8:9]
.LBB108_90:                             ;   Parent Loop BB108_84 Depth=1
                                        ; =>  This Inner Loop Header: Depth=2
	v_mov_b32_e32 v7, s17
	ds_read_b64 v[8:9], v7
	s_add_i32 s17, s17, 8
	s_add_u32 s14, s14, -1
	s_addc_u32 s15, s15, -1
	s_cmp_lg_u64 s[14:15], 0
	s_waitcnt lgkmcnt(0)
	v_cmp_gt_i64_e32 vcc, v[2:3], v[8:9]
	v_cndmask_b32_e64 v7, 0, 1, vcc
	v_add_co_u32_e32 v4, vcc, v4, v7
	v_addc_co_u32_e32 v5, vcc, 0, v5, vcc
	s_cbranch_scc1 .LBB108_90
	s_branch .LBB108_83
.LBB108_91:
	s_endpgm
	.section	.rodata,"a",@progbits
	.p2align	6, 0x0
	.amdhsa_kernel _ZN9rocsparseL26csrgemm_fill_block_per_rowILj1024ELj64ELj32768ELj137ELj64EllfEEvT5_PKS1_S3_NS_24const_host_device_scalarIT6_EEPKT4_S3_PKS5_S9_S3_SB_S6_S9_S3_SB_S9_PS1_PS5_21rocsparse_index_base_SE_SE_SE_bbb
		.amdhsa_group_segment_fixed_size 0
		.amdhsa_private_segment_fixed_size 0
		.amdhsa_kernarg_size 156
		.amdhsa_user_sgpr_count 6
		.amdhsa_user_sgpr_private_segment_buffer 1
		.amdhsa_user_sgpr_dispatch_ptr 0
		.amdhsa_user_sgpr_queue_ptr 0
		.amdhsa_user_sgpr_kernarg_segment_ptr 1
		.amdhsa_user_sgpr_dispatch_id 0
		.amdhsa_user_sgpr_flat_scratch_init 0
		.amdhsa_user_sgpr_kernarg_preload_length 0
		.amdhsa_user_sgpr_kernarg_preload_offset 0
		.amdhsa_user_sgpr_private_segment_size 0
		.amdhsa_uses_dynamic_stack 0
		.amdhsa_system_sgpr_private_segment_wavefront_offset 0
		.amdhsa_system_sgpr_workgroup_id_x 1
		.amdhsa_system_sgpr_workgroup_id_y 0
		.amdhsa_system_sgpr_workgroup_id_z 0
		.amdhsa_system_sgpr_workgroup_info 0
		.amdhsa_system_vgpr_workitem_id 0
		.amdhsa_next_free_vgpr 27
		.amdhsa_next_free_sgpr 65
		.amdhsa_accum_offset 28
		.amdhsa_reserve_vcc 1
		.amdhsa_reserve_flat_scratch 0
		.amdhsa_float_round_mode_32 0
		.amdhsa_float_round_mode_16_64 0
		.amdhsa_float_denorm_mode_32 3
		.amdhsa_float_denorm_mode_16_64 3
		.amdhsa_dx10_clamp 1
		.amdhsa_ieee_mode 1
		.amdhsa_fp16_overflow 0
		.amdhsa_tg_split 0
		.amdhsa_exception_fp_ieee_invalid_op 0
		.amdhsa_exception_fp_denorm_src 0
		.amdhsa_exception_fp_ieee_div_zero 0
		.amdhsa_exception_fp_ieee_overflow 0
		.amdhsa_exception_fp_ieee_underflow 0
		.amdhsa_exception_fp_ieee_inexact 0
		.amdhsa_exception_int_div_zero 0
	.end_amdhsa_kernel
	.section	.text._ZN9rocsparseL26csrgemm_fill_block_per_rowILj1024ELj64ELj32768ELj137ELj64EllfEEvT5_PKS1_S3_NS_24const_host_device_scalarIT6_EEPKT4_S3_PKS5_S9_S3_SB_S6_S9_S3_SB_S9_PS1_PS5_21rocsparse_index_base_SE_SE_SE_bbb,"axG",@progbits,_ZN9rocsparseL26csrgemm_fill_block_per_rowILj1024ELj64ELj32768ELj137ELj64EllfEEvT5_PKS1_S3_NS_24const_host_device_scalarIT6_EEPKT4_S3_PKS5_S9_S3_SB_S6_S9_S3_SB_S9_PS1_PS5_21rocsparse_index_base_SE_SE_SE_bbb,comdat
.Lfunc_end108:
	.size	_ZN9rocsparseL26csrgemm_fill_block_per_rowILj1024ELj64ELj32768ELj137ELj64EllfEEvT5_PKS1_S3_NS_24const_host_device_scalarIT6_EEPKT4_S3_PKS5_S9_S3_SB_S6_S9_S3_SB_S9_PS1_PS5_21rocsparse_index_base_SE_SE_SE_bbb, .Lfunc_end108-_ZN9rocsparseL26csrgemm_fill_block_per_rowILj1024ELj64ELj32768ELj137ELj64EllfEEvT5_PKS1_S3_NS_24const_host_device_scalarIT6_EEPKT4_S3_PKS5_S9_S3_SB_S6_S9_S3_SB_S9_PS1_PS5_21rocsparse_index_base_SE_SE_SE_bbb
                                        ; -- End function
	.section	.AMDGPU.csdata,"",@progbits
; Kernel info:
; codeLenInByte = 3452
; NumSgprs: 69
; NumVgprs: 27
; NumAgprs: 0
; TotalNumVgprs: 27
; ScratchSize: 0
; MemoryBound: 0
; FloatMode: 240
; IeeeMode: 1
; LDSByteSize: 0 bytes/workgroup (compile time only)
; SGPRBlocks: 8
; VGPRBlocks: 3
; NumSGPRsForWavesPerEU: 69
; NumVGPRsForWavesPerEU: 27
; AccumOffset: 28
; Occupancy: 8
; WaveLimiterHint : 1
; COMPUTE_PGM_RSRC2:SCRATCH_EN: 0
; COMPUTE_PGM_RSRC2:USER_SGPR: 6
; COMPUTE_PGM_RSRC2:TRAP_HANDLER: 0
; COMPUTE_PGM_RSRC2:TGID_X_EN: 1
; COMPUTE_PGM_RSRC2:TGID_Y_EN: 0
; COMPUTE_PGM_RSRC2:TGID_Z_EN: 0
; COMPUTE_PGM_RSRC2:TIDIG_COMP_CNT: 0
; COMPUTE_PGM_RSRC3_GFX90A:ACCUM_OFFSET: 6
; COMPUTE_PGM_RSRC3_GFX90A:TG_SPLIT: 0
	.section	.text._ZN9rocsparseL36csrgemm_fill_block_per_row_multipassILj512ELj16ELj2048ELj32EllfEEvT4_PKS1_S3_NS_24const_host_device_scalarIT5_EEPKT3_S3_PKS5_S9_S3_SB_S6_S9_S3_SB_S9_PS1_PS5_PS7_21rocsparse_index_base_SF_SF_SF_bbb,"axG",@progbits,_ZN9rocsparseL36csrgemm_fill_block_per_row_multipassILj512ELj16ELj2048ELj32EllfEEvT4_PKS1_S3_NS_24const_host_device_scalarIT5_EEPKT3_S3_PKS5_S9_S3_SB_S6_S9_S3_SB_S9_PS1_PS5_PS7_21rocsparse_index_base_SF_SF_SF_bbb,comdat
	.globl	_ZN9rocsparseL36csrgemm_fill_block_per_row_multipassILj512ELj16ELj2048ELj32EllfEEvT4_PKS1_S3_NS_24const_host_device_scalarIT5_EEPKT3_S3_PKS5_S9_S3_SB_S6_S9_S3_SB_S9_PS1_PS5_PS7_21rocsparse_index_base_SF_SF_SF_bbb ; -- Begin function _ZN9rocsparseL36csrgemm_fill_block_per_row_multipassILj512ELj16ELj2048ELj32EllfEEvT4_PKS1_S3_NS_24const_host_device_scalarIT5_EEPKT3_S3_PKS5_S9_S3_SB_S6_S9_S3_SB_S9_PS1_PS5_PS7_21rocsparse_index_base_SF_SF_SF_bbb
	.p2align	8
	.type	_ZN9rocsparseL36csrgemm_fill_block_per_row_multipassILj512ELj16ELj2048ELj32EllfEEvT4_PKS1_S3_NS_24const_host_device_scalarIT5_EEPKT3_S3_PKS5_S9_S3_SB_S6_S9_S3_SB_S9_PS1_PS5_PS7_21rocsparse_index_base_SF_SF_SF_bbb,@function
_ZN9rocsparseL36csrgemm_fill_block_per_row_multipassILj512ELj16ELj2048ELj32EllfEEvT4_PKS1_S3_NS_24const_host_device_scalarIT5_EEPKT3_S3_PKS5_S9_S3_SB_S6_S9_S3_SB_S9_PS1_PS5_PS7_21rocsparse_index_base_SF_SF_SF_bbb: ; @_ZN9rocsparseL36csrgemm_fill_block_per_row_multipassILj512ELj16ELj2048ELj32EllfEEvT4_PKS1_S3_NS_24const_host_device_scalarIT5_EEPKT3_S3_PKS5_S9_S3_SB_S6_S9_S3_SB_S9_PS1_PS5_PS7_21rocsparse_index_base_SF_SF_SF_bbb
; %bb.0:
	s_load_dword s7, s[4:5], 0xa0
	s_load_dwordx4 s[12:15], s[4:5], 0x8
	s_load_dwordx2 s[0:1], s[4:5], 0x18
	s_load_dwordx4 s[56:59], s[4:5], 0x90
	s_load_dwordx2 s[2:3], s[4:5], 0x50
	s_waitcnt lgkmcnt(0)
	s_bitcmp1_b32 s7, 0
	s_cselect_b64 s[8:9], -1, 0
	s_bitcmp1_b32 s7, 16
	s_cselect_b64 s[10:11], -1, 0
	s_xor_b64 s[16:17], s[8:9], -1
	s_or_b64 s[16:17], s[16:17], s[10:11]
	s_and_b64 vcc, exec, s[16:17]
	s_cbranch_vccnz .LBB109_2
; %bb.1:
	s_load_dword s0, s[0:1], 0x0
	s_waitcnt lgkmcnt(0)
	v_mov_b32_e32 v3, s0
	s_branch .LBB109_3
.LBB109_2:
	v_mov_b32_e32 v1, s0
	v_cndmask_b32_e64 v3, 0, v1, s[8:9]
.LBB109_3:
	s_load_dwordx2 s[16:17], s[4:5], 0x20
	s_bitcmp1_b32 s7, 8
	s_cselect_b64 s[0:1], -1, 0
	s_xor_b64 s[18:19], s[0:1], -1
	s_or_b64 s[10:11], s[18:19], s[10:11]
	s_mov_b32 s7, 0
	s_and_b64 vcc, exec, s[10:11]
	s_cbranch_vccnz .LBB109_5
; %bb.4:
	s_load_dword s2, s[2:3], 0x0
	s_waitcnt lgkmcnt(0)
	v_mov_b32_e32 v32, s2
	s_branch .LBB109_6
.LBB109_5:
	v_mov_b32_e32 v1, s2
	v_cndmask_b32_e64 v32, 0, v1, s[0:1]
.LBB109_6:
	s_load_dwordx2 s[2:3], s[12:13], 0x0
	v_cndmask_b32_e64 v1, 0, 1, s[8:9]
	s_mov_b64 s[60:61], 0
	s_waitcnt lgkmcnt(0)
	s_lshl_b64 s[2:3], s[2:3], 3
	s_add_u32 s10, s14, s2
	s_addc_u32 s11, s15, s3
	s_lshl_b64 s[2:3], s[6:7], 3
	s_add_u32 s2, s10, s2
	s_addc_u32 s3, s11, s3
	s_load_dwordx2 s[10:11], s[2:3], 0x0
	v_cmp_ne_u32_e64 s[2:3], 1, v1
	s_andn2_b64 vcc, exec, s[8:9]
	s_mov_b64 s[6:7], 0
	s_cbranch_vccz .LBB109_9
; %bb.7:
	s_and_b64 vcc, exec, s[2:3]
	s_cbranch_vccz .LBB109_10
.LBB109_8:
	s_load_dwordx2 s[62:63], s[4:5], 0x0
	s_waitcnt lgkmcnt(0)
	v_cmp_lt_i64_e64 s[2:3], s[62:63], 1
	s_and_b64 vcc, exec, s[2:3]
	s_cbranch_vccz .LBB109_11
	s_branch .LBB109_65
.LBB109_9:
	s_waitcnt lgkmcnt(0)
	s_lshl_b64 s[6:7], s[10:11], 3
	s_add_u32 s6, s16, s6
	s_addc_u32 s7, s17, s7
	s_load_dwordx2 s[6:7], s[6:7], 0x0
	s_waitcnt lgkmcnt(0)
	s_sub_u32 s6, s6, s56
	s_subb_u32 s7, s7, 0
	s_and_b64 vcc, exec, s[2:3]
	s_cbranch_vccnz .LBB109_8
.LBB109_10:
	s_waitcnt lgkmcnt(0)
	s_lshl_b64 s[2:3], s[10:11], 3
	s_add_u32 s2, s16, s2
	s_addc_u32 s3, s17, s3
	s_load_dwordx2 s[2:3], s[2:3], 0x8
	s_waitcnt lgkmcnt(0)
	s_sub_u32 s60, s2, s56
	s_subb_u32 s61, s3, 0
	s_load_dwordx2 s[62:63], s[4:5], 0x0
	s_waitcnt lgkmcnt(0)
	v_cmp_lt_i64_e64 s[2:3], s[62:63], 1
	s_and_b64 vcc, exec, s[2:3]
	s_cbranch_vccnz .LBB109_65
.LBB109_11:
	s_load_dwordx8 s[12:19], s[4:5], 0x58
	s_load_dwordx2 s[64:65], s[4:5], 0x88
	s_load_dwordx4 s[36:39], s[4:5], 0x78
	s_load_dwordx2 s[66:67], s[4:5], 0x48
	s_load_dwordx8 s[48:55], s[4:5], 0x28
	s_lshl_b64 s[10:11], s[10:11], 3
	s_waitcnt lgkmcnt(0)
	s_add_u32 s2, s18, s10
	s_addc_u32 s3, s19, s11
	s_load_dwordx2 s[2:3], s[2:3], 0x0
	v_lshrrev_b32_e32 v1, 4, v0
	v_mov_b32_e32 v5, s7
	v_add_co_u32_e32 v4, vcc, s6, v1
	s_waitcnt lgkmcnt(0)
	s_sub_u32 s40, s2, s58
	s_subb_u32 s41, s3, 0
                                        ; implicit-def: $vgpr43 : SGPR spill to VGPR lane
	v_addc_co_u32_e32 v5, vcc, 0, v5, vcc
	s_add_u32 s46, s12, s10
	v_writelane_b32 v43, s12, 0
	v_cmp_gt_i64_e32 vcc, s[60:61], v[4:5]
	v_writelane_b32 v43, s13, 1
	v_writelane_b32 v43, s14, 2
	s_addc_u32 s47, s13, s11
	s_and_b64 s[68:69], s[8:9], vcc
	v_writelane_b32 v43, s15, 3
	s_add_u32 s91, s52, 8
	v_writelane_b32 v43, s16, 4
	v_mbcnt_lo_u32_b32 v1, -1, 0
	s_addc_u32 s92, s53, 0
	v_writelane_b32 v43, s17, 5
	v_subrev_co_u32_e64 v34, s[6:7], s59, v0
	v_mbcnt_hi_u32_b32 v1, -1, v1
	s_add_u32 s93, s36, -8
	v_add_co_u32_e32 v37, vcc, s58, v0
	v_writelane_b32 v43, s18, 6
	v_subb_co_u32_e64 v35, s[6:7], 0, 0, s[6:7]
	v_sub_u32_e32 v1, 63, v1
	s_addc_u32 s94, s37, -1
	s_movk_i32 s36, 0x1c0
	v_addc_co_u32_e64 v38, s[34:35], 0, 0, vcc
	s_mov_b32 s33, 0
	v_and_b32_e32 v2, 15, v0
	v_writelane_b32 v43, s19, 7
	v_lshrrev_b64 v[6:7], v1, -1
	v_lshrrev_b32_e32 v1, 3, v0
	s_movk_i32 s6, 0x1ff
	s_movk_i32 s10, 0x60
	s_movk_i32 s12, 0x80
	s_movk_i32 s14, 0xa0
	s_movk_i32 s16, 0xc0
	s_movk_i32 s18, 0xe0
	s_movk_i32 s20, 0x100
	s_movk_i32 s22, 0x120
	s_movk_i32 s24, 0x140
	s_movk_i32 s26, 0x160
	s_movk_i32 s28, 0x180
	s_movk_i32 s30, 0x1a0
	s_add_u32 s95, s38, -4
	v_cmp_gt_u32_e64 s[34:35], s36, v0
	s_movk_i32 s36, 0x1e0
	v_mov_b32_e32 v10, 0x800
	v_cmp_eq_u32_e64 s[2:3], 0, v0
	v_mov_b32_e32 v33, 0
	s_mov_b32 s88, s33
	v_cmp_eq_u32_e64 s[4:5], 15, v2
	s_mov_b32 s89, s59
	s_mov_b32 s90, s33
	v_and_b32_e32 v36, 60, v1
	v_cmp_eq_u32_e64 s[6:7], s6, v0
	v_cmp_gt_u32_e64 s[8:9], 32, v0
	v_cmp_gt_u32_e64 s[10:11], s10, v0
	;; [unrolled: 1-line block ×12, first 2 shown]
	s_addc_u32 s42, s39, -1
	v_pk_mov_b32 v[8:9], s[40:41], s[40:41] op_sel:[0,1]
	v_cmp_gt_u32_e64 s[36:37], s36, v0
	v_or_b32_e32 v39, 0xfffffe00, v0
	v_lshlrev_b32_e32 v40, 2, v0
	v_mov_b32_e32 v11, 0
	s_movk_i32 s43, 0x5ff
	v_mov_b32_e32 v41, 1
	v_cmp_gt_u32_e64 s[38:39], 64, v0
	s_mov_b64 s[58:59], 0
	s_branch .LBB109_13
.LBB109_12:                             ;   in Loop: Header=BB109_13 Depth=1
	s_or_b64 exec, exec, s[40:41]
	ds_read_b64 v[0:1], v33 offset:10240
	s_waitcnt lgkmcnt(0)
	s_barrier
	v_add_co_u32_e32 v10, vcc, 0x800, v0
	v_addc_co_u32_e32 v11, vcc, 0, v1, vcc
	v_cmp_le_i64_e32 vcc, s[62:63], v[0:1]
	v_readfirstlane_b32 s58, v0
	v_readfirstlane_b32 s59, v1
	s_cbranch_vccnz .LBB109_65
.LBB109_13:                             ; =>This Loop Header: Depth=1
                                        ;     Child Loop BB109_14 Depth 2
                                        ;     Child Loop BB109_20 Depth 2
                                        ;       Child Loop BB109_28 Depth 3
                                        ;     Child Loop BB109_44 Depth 2
                                        ;     Child Loop BB109_56 Depth 2
                                        ;     Child Loop BB109_61 Depth 2
	s_mov_b64 s[40:41], 0
	v_mov_b32_e32 v0, v40
	v_mov_b32_e32 v1, v39
.LBB109_14:                             ;   Parent Loop BB109_13 Depth=1
                                        ; =>  This Inner Loop Header: Depth=2
	ds_write_b8 v1, v33 offset:8704
	ds_write_b32 v0, v33
	v_add_u32_e32 v1, 0x200, v1
	v_cmp_lt_u32_e32 vcc, s43, v1
	s_or_b64 s[40:41], vcc, s[40:41]
	v_add_u32_e32 v0, 0x800, v0
	s_andn2_b64 exec, exec, s[40:41]
	s_cbranch_execnz .LBB109_14
; %bb.15:                               ;   in Loop: Header=BB109_13 Depth=1
	s_or_b64 exec, exec, s[40:41]
	s_and_saveexec_b64 s[40:41], s[2:3]
	s_cbranch_execz .LBB109_17
; %bb.16:                               ;   in Loop: Header=BB109_13 Depth=1
	v_pk_mov_b32 v[0:1], s[62:63], s[62:63] op_sel:[0,1]
	ds_write_b64 v33, v[0:1] offset:10240
.LBB109_17:                             ;   in Loop: Header=BB109_13 Depth=1
	s_or_b64 exec, exec, s[40:41]
	v_pk_mov_b32 v[0:1], s[62:63], s[62:63] op_sel:[0,1]
	s_waitcnt lgkmcnt(0)
	s_barrier
	s_and_saveexec_b64 s[70:71], s[68:69]
	s_cbranch_execz .LBB109_40
; %bb.18:                               ;   in Loop: Header=BB109_13 Depth=1
	s_cmp_lg_u64 s[58:59], 0
	s_mov_b64 s[72:73], 0
	s_cselect_b64 s[74:75], -1, 0
	v_pk_mov_b32 v[0:1], s[62:63], s[62:63] op_sel:[0,1]
	v_pk_mov_b32 v[12:13], v[4:5], v[4:5] op_sel:[0,1]
	s_branch .LBB109_20
.LBB109_19:                             ;   in Loop: Header=BB109_20 Depth=2
	s_or_b64 exec, exec, s[40:41]
	v_add_co_u32_e32 v12, vcc, 32, v12
	v_addc_co_u32_e32 v13, vcc, 0, v13, vcc
	v_cmp_le_i64_e32 vcc, s[60:61], v[12:13]
	s_or_b64 s[72:73], vcc, s[72:73]
	s_andn2_b64 exec, exec, s[72:73]
	s_cbranch_execz .LBB109_39
.LBB109_20:                             ;   Parent Loop BB109_13 Depth=1
                                        ; =>  This Loop Header: Depth=2
                                        ;       Child Loop BB109_28 Depth 3
	v_lshlrev_b64 v[14:15], 3, v[12:13]
	v_mov_b32_e32 v17, s49
	v_add_co_u32_e32 v16, vcc, s48, v14
	v_addc_co_u32_e32 v17, vcc, v17, v15, vcc
	global_load_dwordx2 v[18:19], v[16:17], off
	v_lshlrev_b64 v[16:17], 2, v[12:13]
	v_mov_b32_e32 v20, s51
	v_add_co_u32_e32 v16, vcc, s50, v16
	v_addc_co_u32_e32 v17, vcc, v20, v17, vcc
	global_load_dword v20, v[16:17], off
	s_and_b64 vcc, exec, s[74:75]
	s_cbranch_vccz .LBB109_22
; %bb.21:                               ;   in Loop: Header=BB109_20 Depth=2
	v_mov_b32_e32 v17, s65
	v_add_co_u32_e32 v16, vcc, s64, v14
	v_addc_co_u32_e32 v17, vcc, v17, v15, vcc
	global_load_dwordx2 v[16:17], v[16:17], off
	s_mov_b64 s[40:41], 0
	s_branch .LBB109_23
.LBB109_22:                             ;   in Loop: Header=BB109_20 Depth=2
	s_mov_b64 s[40:41], -1
                                        ; implicit-def: $vgpr16_vgpr17
.LBB109_23:                             ;   in Loop: Header=BB109_20 Depth=2
	v_mov_b32_e32 v21, s88
	s_waitcnt vmcnt(1)
	v_subrev_co_u32_e32 v18, vcc, s56, v18
	v_subb_co_u32_e32 v19, vcc, v19, v21, vcc
	s_andn2_b64 vcc, exec, s[40:41]
	v_lshlrev_b64 v[18:19], 3, v[18:19]
	s_cbranch_vccnz .LBB109_25
; %bb.24:                               ;   in Loop: Header=BB109_20 Depth=2
	s_waitcnt vmcnt(0)
	v_mov_b32_e32 v17, s53
	v_add_co_u32_e32 v16, vcc, s52, v18
	v_addc_co_u32_e32 v17, vcc, v17, v19, vcc
	global_load_dwordx2 v[16:17], v[16:17], off
	v_mov_b32_e32 v21, s33
	s_waitcnt vmcnt(0)
	v_subrev_co_u32_e32 v16, vcc, s57, v16
	v_subb_co_u32_e32 v17, vcc, v17, v21, vcc
.LBB109_25:                             ;   in Loop: Header=BB109_20 Depth=2
	v_mov_b32_e32 v21, s92
	v_add_co_u32_e32 v18, vcc, s91, v18
	v_addc_co_u32_e32 v19, vcc, v21, v19, vcc
	global_load_dwordx2 v[18:19], v[18:19], off
	v_mov_b32_e32 v21, s33
	s_waitcnt vmcnt(0)
	v_subrev_co_u32_e32 v18, vcc, s57, v18
	v_subb_co_u32_e32 v19, vcc, v19, v21, vcc
	v_add_co_u32_e32 v16, vcc, v16, v2
	v_addc_co_u32_e32 v17, vcc, 0, v17, vcc
	v_cmp_lt_i64_e32 vcc, v[16:17], v[18:19]
	s_and_saveexec_b64 s[76:77], vcc
	s_cbranch_execz .LBB109_37
; %bb.26:                               ;   in Loop: Header=BB109_20 Depth=2
	v_mul_f32_e32 v42, v3, v20
	v_lshlrev_b64 v[20:21], 3, v[16:17]
	v_mov_b32_e32 v22, s55
	v_add_co_u32_e32 v20, vcc, s54, v20
	v_addc_co_u32_e32 v21, vcc, v22, v21, vcc
	v_lshlrev_b64 v[22:23], 2, v[16:17]
	v_mov_b32_e32 v24, s67
	v_add_co_u32_e32 v22, vcc, s66, v22
	v_addc_co_u32_e32 v23, vcc, v24, v23, vcc
	s_mov_b64 s[80:81], 0
	v_pk_mov_b32 v[26:27], v[16:17], v[16:17] op_sel:[0,1]
                                        ; implicit-def: $sgpr78_sgpr79
                                        ; implicit-def: $sgpr82_sgpr83
	s_branch .LBB109_28
.LBB109_27:                             ;   in Loop: Header=BB109_28 Depth=3
	s_or_b64 exec, exec, s[84:85]
	s_and_b64 s[40:41], exec, s[86:87]
	s_or_b64 s[80:81], s[40:41], s[80:81]
	s_andn2_b64 s[40:41], s[78:79], exec
	s_and_b64 s[44:45], s[82:83], exec
	s_or_b64 s[78:79], s[40:41], s[44:45]
	v_pk_mov_b32 v[26:27], v[28:29], v[28:29] op_sel:[0,1]
	s_andn2_b64 exec, exec, s[80:81]
	s_cbranch_execz .LBB109_34
.LBB109_28:                             ;   Parent Loop BB109_13 Depth=1
                                        ;     Parent Loop BB109_20 Depth=2
                                        ; =>    This Inner Loop Header: Depth=3
	global_load_dwordx2 v[24:25], v[20:21], off
	v_mov_b32_e32 v28, s33
                                        ; implicit-def: $sgpr84_sgpr85
	s_waitcnt vmcnt(0)
	v_subrev_co_u32_e32 v24, vcc, s57, v24
	v_subb_co_u32_e32 v25, vcc, v25, v28, vcc
	v_cmp_lt_i64_e32 vcc, v[24:25], v[10:11]
	v_cmp_gt_i64_e64 s[40:41], s[58:59], v[24:25]
	s_xor_b64 s[44:45], vcc, -1
	s_or_b64 s[44:45], s[40:41], s[44:45]
	s_mov_b64 s[40:41], 0
	s_and_saveexec_b64 s[86:87], s[44:45]
	s_xor_b64 s[86:87], exec, s[86:87]
; %bb.29:                               ;   in Loop: Header=BB109_28 Depth=3
	s_mov_b64 s[84:85], -1
	s_and_b64 s[40:41], vcc, exec
; %bb.30:                               ;   in Loop: Header=BB109_28 Depth=3
	s_andn2_saveexec_b64 s[86:87], s[86:87]
	s_cbranch_execz .LBB109_32
; %bb.31:                               ;   in Loop: Header=BB109_28 Depth=3
	global_load_dword v28, v[22:23], off
	v_subrev_u32_e32 v29, s58, v24
	ds_write_b8 v29, v41 offset:8192
	v_lshlrev_b32_e32 v29, 2, v29
	s_or_b64 s[40:41], s[40:41], exec
	s_waitcnt vmcnt(0)
	v_mul_f32_e32 v28, v42, v28
	ds_add_f32 v29, v28
.LBB109_32:                             ;   in Loop: Header=BB109_28 Depth=3
	s_or_b64 exec, exec, s[86:87]
	s_andn2_b64 s[44:45], s[82:83], exec
	s_and_b64 s[82:83], s[84:85], exec
	s_mov_b64 s[86:87], -1
	s_or_b64 s[82:83], s[44:45], s[82:83]
	v_pk_mov_b32 v[30:31], v[26:27], v[26:27] op_sel:[0,1]
                                        ; implicit-def: $vgpr28_vgpr29
	s_and_saveexec_b64 s[84:85], s[40:41]
	s_cbranch_execz .LBB109_27
; %bb.33:                               ;   in Loop: Header=BB109_28 Depth=3
	v_add_co_u32_e32 v28, vcc, 16, v26
	v_addc_co_u32_e32 v29, vcc, 0, v27, vcc
	v_add_co_u32_e32 v20, vcc, 0x80, v20
	v_addc_co_u32_e32 v21, vcc, 0, v21, vcc
	;; [unrolled: 2-line block ×3, first 2 shown]
	v_cmp_ge_i64_e32 vcc, v[28:29], v[18:19]
	s_andn2_b64 s[82:83], s[82:83], exec
	s_orn2_b64 s[86:87], vcc, exec
	v_pk_mov_b32 v[30:31], v[26:27], v[26:27] op_sel:[0,1]
	s_branch .LBB109_27
.LBB109_34:                             ;   in Loop: Header=BB109_20 Depth=2
	s_or_b64 exec, exec, s[80:81]
	s_and_saveexec_b64 s[40:41], s[78:79]
	s_xor_b64 s[40:41], exec, s[40:41]
; %bb.35:                               ;   in Loop: Header=BB109_20 Depth=2
	v_cmp_lt_i64_e32 vcc, v[24:25], v[0:1]
	v_cndmask_b32_e32 v1, v1, v25, vcc
	v_cndmask_b32_e32 v0, v0, v24, vcc
	v_pk_mov_b32 v[16:17], v[30:31], v[30:31] op_sel:[0,1]
; %bb.36:                               ;   in Loop: Header=BB109_20 Depth=2
	s_or_b64 exec, exec, s[40:41]
.LBB109_37:                             ;   in Loop: Header=BB109_20 Depth=2
	s_or_b64 exec, exec, s[76:77]
	v_mov_b32_dpp v18, v16 row_shr:1 row_mask:0xf bank_mask:0xf
	v_mov_b32_dpp v19, v17 row_shr:1 row_mask:0xf bank_mask:0xf
	v_cmp_lt_i64_e32 vcc, v[18:19], v[16:17]
	v_cndmask_b32_e32 v17, v17, v19, vcc
	v_cndmask_b32_e32 v16, v16, v18, vcc
	s_nop 0
	v_mov_b32_dpp v19, v17 row_shr:2 row_mask:0xf bank_mask:0xf
	v_mov_b32_dpp v18, v16 row_shr:2 row_mask:0xf bank_mask:0xf
	v_cmp_lt_i64_e32 vcc, v[18:19], v[16:17]
	v_cndmask_b32_e32 v17, v17, v19, vcc
	v_cndmask_b32_e32 v16, v16, v18, vcc
	s_nop 0
	;; [unrolled: 6-line block ×3, first 2 shown]
	v_mov_b32_dpp v19, v17 row_shr:8 row_mask:0xf bank_mask:0xc
	v_mov_b32_dpp v18, v16 row_shr:8 row_mask:0xf bank_mask:0xc
	s_and_saveexec_b64 s[40:41], s[4:5]
	s_cbranch_execz .LBB109_19
; %bb.38:                               ;   in Loop: Header=BB109_20 Depth=2
	v_cmp_lt_i64_e32 vcc, v[18:19], v[16:17]
	v_cndmask_b32_e32 v17, v17, v19, vcc
	v_cndmask_b32_e32 v16, v16, v18, vcc
	v_mov_b32_e32 v18, s65
	v_add_co_u32_e32 v14, vcc, s64, v14
	v_addc_co_u32_e32 v15, vcc, v18, v15, vcc
	global_store_dwordx2 v[14:15], v[16:17], off
	s_branch .LBB109_19
.LBB109_39:                             ;   in Loop: Header=BB109_13 Depth=1
	s_or_b64 exec, exec, s[72:73]
.LBB109_40:                             ;   in Loop: Header=BB109_13 Depth=1
	s_or_b64 exec, exec, s[70:71]
	s_andn2_b64 vcc, exec, s[0:1]
	s_cbranch_vccnz .LBB109_54
; %bb.41:                               ;   in Loop: Header=BB109_13 Depth=1
	s_load_dwordx4 s[76:79], s[46:47], 0x0
	s_waitcnt lgkmcnt(0)
	s_sub_u32 s72, s78, s89
	v_mov_b32_e32 v13, s77
	v_add_co_u32_e32 v12, vcc, s76, v34
	s_subb_u32 s73, s79, 0
	v_addc_co_u32_e32 v13, vcc, v13, v35, vcc
	v_cmp_gt_i64_e32 vcc, s[72:73], v[12:13]
	s_and_saveexec_b64 s[70:71], vcc
	s_cbranch_execz .LBB109_53
; %bb.42:                               ;   in Loop: Header=BB109_13 Depth=1
	v_readlane_b32 s76, v43, 0
	v_readlane_b32 s78, v43, 2
	;; [unrolled: 1-line block ×3, first 2 shown]
	v_lshlrev_b64 v[14:15], 3, v[12:13]
	s_mov_b64 s[74:75], s[78:79]
	v_readlane_b32 s77, v43, 1
	v_readlane_b32 s80, v43, 4
	;; [unrolled: 1-line block ×3, first 2 shown]
	v_mov_b32_e32 v16, s75
	v_add_co_u32_e32 v14, vcc, s74, v14
	s_mov_b64 s[76:77], s[80:81]
	v_addc_co_u32_e32 v15, vcc, v16, v15, vcc
	v_lshlrev_b64 v[16:17], 2, v[12:13]
	v_mov_b32_e32 v18, s77
	v_add_co_u32_e32 v16, vcc, s76, v16
	v_addc_co_u32_e32 v17, vcc, v18, v17, vcc
	s_mov_b64 s[74:75], 0
	v_readlane_b32 s82, v43, 6
	v_readlane_b32 s83, v43, 7
                                        ; implicit-def: $sgpr76_sgpr77
                                        ; implicit-def: $sgpr78_sgpr79
	s_branch .LBB109_44
.LBB109_43:                             ;   in Loop: Header=BB109_44 Depth=2
	s_or_b64 exec, exec, s[80:81]
	s_and_b64 s[40:41], exec, s[82:83]
	s_or_b64 s[74:75], s[40:41], s[74:75]
	s_andn2_b64 s[40:41], s[76:77], exec
	s_and_b64 s[44:45], s[78:79], exec
	s_or_b64 s[76:77], s[40:41], s[44:45]
	s_andn2_b64 exec, exec, s[74:75]
	s_cbranch_execz .LBB109_50
.LBB109_44:                             ;   Parent Loop BB109_13 Depth=1
                                        ; =>  This Inner Loop Header: Depth=2
	global_load_dwordx2 v[18:19], v[14:15], off
	v_mov_b32_e32 v20, s90
                                        ; implicit-def: $sgpr80_sgpr81
	s_waitcnt vmcnt(0)
	v_subrev_co_u32_e32 v18, vcc, s89, v18
	v_subb_co_u32_e32 v19, vcc, v19, v20, vcc
	v_cmp_lt_i64_e32 vcc, v[18:19], v[10:11]
	v_cmp_gt_i64_e64 s[40:41], s[58:59], v[18:19]
	s_xor_b64 s[44:45], vcc, -1
	s_or_b64 s[44:45], s[40:41], s[44:45]
	s_mov_b64 s[40:41], 0
	s_and_saveexec_b64 s[82:83], s[44:45]
	s_xor_b64 s[82:83], exec, s[82:83]
; %bb.45:                               ;   in Loop: Header=BB109_44 Depth=2
	s_mov_b64 s[80:81], -1
	s_and_b64 s[40:41], vcc, exec
; %bb.46:                               ;   in Loop: Header=BB109_44 Depth=2
	s_andn2_saveexec_b64 s[82:83], s[82:83]
	s_cbranch_execz .LBB109_48
; %bb.47:                               ;   in Loop: Header=BB109_44 Depth=2
	global_load_dword v20, v[16:17], off
	v_subrev_u32_e32 v21, s58, v18
	ds_write_b8 v21, v41 offset:8192
	v_lshlrev_b32_e32 v21, 2, v21
	s_or_b64 s[40:41], s[40:41], exec
	s_waitcnt vmcnt(0)
	v_mul_f32_e32 v20, v32, v20
	ds_add_f32 v21, v20
.LBB109_48:                             ;   in Loop: Header=BB109_44 Depth=2
	s_or_b64 exec, exec, s[82:83]
	s_andn2_b64 s[44:45], s[78:79], exec
	s_and_b64 s[78:79], s[80:81], exec
	s_mov_b64 s[82:83], -1
	s_or_b64 s[78:79], s[44:45], s[78:79]
	s_and_saveexec_b64 s[80:81], s[40:41]
	s_cbranch_execz .LBB109_43
; %bb.49:                               ;   in Loop: Header=BB109_44 Depth=2
	v_add_co_u32_e32 v12, vcc, 0x200, v12
	v_addc_co_u32_e32 v13, vcc, 0, v13, vcc
	v_add_co_u32_e32 v14, vcc, 0x1000, v14
	v_addc_co_u32_e32 v15, vcc, 0, v15, vcc
	;; [unrolled: 2-line block ×3, first 2 shown]
	v_cmp_le_i64_e32 vcc, s[72:73], v[12:13]
	s_andn2_b64 s[78:79], s[78:79], exec
	s_orn2_b64 s[82:83], vcc, exec
	s_branch .LBB109_43
.LBB109_50:                             ;   in Loop: Header=BB109_13 Depth=1
	s_or_b64 exec, exec, s[74:75]
	s_and_saveexec_b64 s[40:41], s[76:77]
	s_xor_b64 s[40:41], exec, s[40:41]
; %bb.51:                               ;   in Loop: Header=BB109_13 Depth=1
	v_cmp_lt_i64_e32 vcc, v[18:19], v[0:1]
	v_cndmask_b32_e32 v1, v1, v19, vcc
	v_cndmask_b32_e32 v0, v0, v18, vcc
; %bb.52:                               ;   in Loop: Header=BB109_13 Depth=1
	s_or_b64 exec, exec, s[40:41]
.LBB109_53:                             ;   in Loop: Header=BB109_13 Depth=1
	s_or_b64 exec, exec, s[70:71]
.LBB109_54:                             ;   in Loop: Header=BB109_13 Depth=1
	v_mov_b32_dpp v10, v0 row_shr:1 row_mask:0xf bank_mask:0xf
	v_mov_b32_dpp v11, v1 row_shr:1 row_mask:0xf bank_mask:0xf
	v_cmp_lt_i64_e32 vcc, v[10:11], v[0:1]
	v_cndmask_b32_e32 v1, v1, v11, vcc
	v_cndmask_b32_e32 v0, v0, v10, vcc
	s_nop 0
	v_mov_b32_dpp v11, v1 row_shr:2 row_mask:0xf bank_mask:0xf
	v_mov_b32_dpp v10, v0 row_shr:2 row_mask:0xf bank_mask:0xf
	v_cmp_lt_i64_e32 vcc, v[10:11], v[0:1]
	v_cndmask_b32_e32 v1, v1, v11, vcc
	v_cndmask_b32_e32 v0, v0, v10, vcc
	s_nop 0
	;; [unrolled: 6-line block ×3, first 2 shown]
	v_mov_b32_dpp v11, v1 row_shr:8 row_mask:0xf bank_mask:0xc
	v_mov_b32_dpp v10, v0 row_shr:8 row_mask:0xf bank_mask:0xc
	s_and_saveexec_b64 s[40:41], s[4:5]
	s_cbranch_execz .LBB109_59
; %bb.55:                               ;   in Loop: Header=BB109_13 Depth=1
	v_cmp_lt_i64_e32 vcc, v[10:11], v[0:1]
	s_mov_b64 s[72:73], exec
	v_cndmask_b32_e32 v1, v1, v11, vcc
	v_cndmask_b32_e32 v0, v0, v10, vcc
	s_mov_b64 s[70:71], -1
.LBB109_56:                             ;   Parent Loop BB109_13 Depth=1
                                        ; =>  This Inner Loop Header: Depth=2
	s_ff1_i32_b64 s74, s[72:73]
	v_readlane_b32 s75, v1, s74
	v_readlane_b32 s76, v0, s74
	v_mov_b32_e32 v10, s76
	v_mov_b32_e32 v11, s75
	v_cmp_lt_u64_e32 vcc, s[70:71], v[10:11]
	s_and_b64 s[44:45], vcc, exec
	s_cselect_b32 s71, s71, s75
	s_cselect_b32 s70, s70, s76
	s_lshl_b64 s[44:45], 1, s74
	s_andn2_b64 s[72:73], s[72:73], s[44:45]
	s_cmp_lg_u64 s[72:73], 0
	s_cbranch_scc1 .LBB109_56
; %bb.57:                               ;   in Loop: Header=BB109_13 Depth=1
	v_mbcnt_lo_u32_b32 v0, exec_lo, 0
	v_mbcnt_hi_u32_b32 v0, exec_hi, v0
	v_cmp_eq_u32_e32 vcc, 0, v0
	s_and_saveexec_b64 s[44:45], vcc
	s_xor_b64 s[44:45], exec, s[44:45]
	s_cbranch_execz .LBB109_59
; %bb.58:                               ;   in Loop: Header=BB109_13 Depth=1
	v_pk_mov_b32 v[0:1], s[70:71], s[70:71] op_sel:[0,1]
	ds_min_u64 v33, v[0:1] offset:10240
.LBB109_59:                             ;   in Loop: Header=BB109_13 Depth=1
	s_or_b64 exec, exec, s[40:41]
	v_mov_b32_e32 v1, s59
	v_add_co_u32_e32 v0, vcc, s58, v37
	v_addc_co_u32_e32 v1, vcc, v38, v1, vcc
	s_mov_b64 s[40:41], 0
	v_mov_b32_e32 v10, v40
	v_mov_b32_e32 v11, v39
	s_waitcnt lgkmcnt(0)
	s_barrier
	s_branch .LBB109_61
.LBB109_60:                             ;   in Loop: Header=BB109_61 Depth=2
	s_or_b64 exec, exec, s[58:59]
	s_waitcnt lgkmcnt(0)
	s_barrier
	ds_read_b32 v12, v33 offset:60
	v_add_u32_e32 v11, 0x200, v11
	v_add_u32_e32 v10, 0x800, v10
	s_waitcnt lgkmcnt(0)
	v_ashrrev_i32_e32 v13, 31, v12
	v_add_co_u32_e32 v8, vcc, v8, v12
	v_addc_co_u32_e32 v9, vcc, v9, v13, vcc
	v_add_co_u32_e32 v0, vcc, 0x200, v0
	v_addc_co_u32_e32 v1, vcc, 0, v1, vcc
	v_cmp_lt_u32_e32 vcc, s43, v11
	s_or_b64 s[40:41], vcc, s[40:41]
	s_andn2_b64 exec, exec, s[40:41]
	s_cbranch_execz .LBB109_12
.LBB109_61:                             ;   Parent Loop BB109_13 Depth=1
                                        ; =>  This Inner Loop Header: Depth=2
	ds_read_u8 v29, v11 offset:8704
	ds_read_b32 v12, v10
	s_waitcnt lgkmcnt(0)
	s_barrier
	v_cmp_ne_u16_e32 vcc, 0, v29
	s_bcnt1_i32_b64 s44, vcc
	v_and_b32_e32 v14, vcc_lo, v6
	v_bcnt_u32_b32 v18, v14, 0
	v_mov_b32_e32 v14, s44
	ds_write_b32 v36, v14
	s_waitcnt lgkmcnt(0)
	s_barrier
	ds_read_b128 v[14:17], v33
	v_and_b32_e32 v13, vcc_hi, v7
	v_bcnt_u32_b32 v13, v13, v18
	ds_read_b128 v[18:21], v33 offset:16
	ds_read_b128 v[22:25], v33 offset:32
	ds_read_b96 v[26:28], v33 offset:48
	s_waitcnt lgkmcnt(3)
	v_cndmask_b32_e64 v14, v14, 0, s[8:9]
	v_add_u32_e32 v13, v14, v13
	v_cndmask_b32_e64 v14, v15, 0, s[38:39]
	v_cndmask_b32_e64 v15, v16, 0, s[10:11]
	v_add3_u32 v13, v13, v14, v15
	v_cndmask_b32_e64 v14, v17, 0, s[12:13]
	s_waitcnt lgkmcnt(2)
	v_cndmask_b32_e64 v15, v18, 0, s[14:15]
	v_add3_u32 v13, v13, v14, v15
	v_cndmask_b32_e64 v14, v19, 0, s[16:17]
	v_cndmask_b32_e64 v15, v20, 0, s[18:19]
	v_add3_u32 v13, v13, v14, v15
	v_cndmask_b32_e64 v14, v21, 0, s[20:21]
	s_waitcnt lgkmcnt(1)
	v_cndmask_b32_e64 v15, v22, 0, s[22:23]
	v_add3_u32 v13, v13, v14, v15
	;; [unrolled: 7-line block ×3, first 2 shown]
	v_cndmask_b32_e64 v14, v27, 0, s[34:35]
	v_cndmask_b32_e64 v15, v28, 0, s[36:37]
	v_add3_u32 v13, v13, v14, v15
	v_and_b32_e32 v14, 1, v29
	v_cmp_eq_u32_e32 vcc, 1, v14
	s_and_saveexec_b64 s[58:59], vcc
	s_cbranch_execz .LBB109_63
; %bb.62:                               ;   in Loop: Header=BB109_61 Depth=2
	v_ashrrev_i32_e32 v15, 31, v13
	v_add_co_u32_e32 v14, vcc, v8, v13
	v_addc_co_u32_e32 v15, vcc, v9, v15, vcc
	v_lshlrev_b64 v[16:17], 3, v[14:15]
	v_mov_b32_e32 v18, s94
	v_add_co_u32_e32 v16, vcc, s93, v16
	v_addc_co_u32_e32 v17, vcc, v18, v17, vcc
	v_lshlrev_b64 v[14:15], 2, v[14:15]
	global_store_dwordx2 v[16:17], v[0:1], off
	v_mov_b32_e32 v16, s42
	v_add_co_u32_e32 v14, vcc, s95, v14
	v_addc_co_u32_e32 v15, vcc, v16, v15, vcc
	global_store_dword v[14:15], v12, off
.LBB109_63:                             ;   in Loop: Header=BB109_61 Depth=2
	s_or_b64 exec, exec, s[58:59]
	s_and_saveexec_b64 s[58:59], s[6:7]
	s_cbranch_execz .LBB109_60
; %bb.64:                               ;   in Loop: Header=BB109_61 Depth=2
	ds_write_b32 v33, v13 offset:60
	s_branch .LBB109_60
.LBB109_65:
	s_endpgm
	.section	.rodata,"a",@progbits
	.p2align	6, 0x0
	.amdhsa_kernel _ZN9rocsparseL36csrgemm_fill_block_per_row_multipassILj512ELj16ELj2048ELj32EllfEEvT4_PKS1_S3_NS_24const_host_device_scalarIT5_EEPKT3_S3_PKS5_S9_S3_SB_S6_S9_S3_SB_S9_PS1_PS5_PS7_21rocsparse_index_base_SF_SF_SF_bbb
		.amdhsa_group_segment_fixed_size 10248
		.amdhsa_private_segment_fixed_size 0
		.amdhsa_kernarg_size 164
		.amdhsa_user_sgpr_count 6
		.amdhsa_user_sgpr_private_segment_buffer 1
		.amdhsa_user_sgpr_dispatch_ptr 0
		.amdhsa_user_sgpr_queue_ptr 0
		.amdhsa_user_sgpr_kernarg_segment_ptr 1
		.amdhsa_user_sgpr_dispatch_id 0
		.amdhsa_user_sgpr_flat_scratch_init 0
		.amdhsa_user_sgpr_kernarg_preload_length 0
		.amdhsa_user_sgpr_kernarg_preload_offset 0
		.amdhsa_user_sgpr_private_segment_size 0
		.amdhsa_uses_dynamic_stack 0
		.amdhsa_system_sgpr_private_segment_wavefront_offset 0
		.amdhsa_system_sgpr_workgroup_id_x 1
		.amdhsa_system_sgpr_workgroup_id_y 0
		.amdhsa_system_sgpr_workgroup_id_z 0
		.amdhsa_system_sgpr_workgroup_info 0
		.amdhsa_system_vgpr_workitem_id 0
		.amdhsa_next_free_vgpr 44
		.amdhsa_next_free_sgpr 96
		.amdhsa_accum_offset 44
		.amdhsa_reserve_vcc 1
		.amdhsa_reserve_flat_scratch 0
		.amdhsa_float_round_mode_32 0
		.amdhsa_float_round_mode_16_64 0
		.amdhsa_float_denorm_mode_32 3
		.amdhsa_float_denorm_mode_16_64 3
		.amdhsa_dx10_clamp 1
		.amdhsa_ieee_mode 1
		.amdhsa_fp16_overflow 0
		.amdhsa_tg_split 0
		.amdhsa_exception_fp_ieee_invalid_op 0
		.amdhsa_exception_fp_denorm_src 0
		.amdhsa_exception_fp_ieee_div_zero 0
		.amdhsa_exception_fp_ieee_overflow 0
		.amdhsa_exception_fp_ieee_underflow 0
		.amdhsa_exception_fp_ieee_inexact 0
		.amdhsa_exception_int_div_zero 0
	.end_amdhsa_kernel
	.section	.text._ZN9rocsparseL36csrgemm_fill_block_per_row_multipassILj512ELj16ELj2048ELj32EllfEEvT4_PKS1_S3_NS_24const_host_device_scalarIT5_EEPKT3_S3_PKS5_S9_S3_SB_S6_S9_S3_SB_S9_PS1_PS5_PS7_21rocsparse_index_base_SF_SF_SF_bbb,"axG",@progbits,_ZN9rocsparseL36csrgemm_fill_block_per_row_multipassILj512ELj16ELj2048ELj32EllfEEvT4_PKS1_S3_NS_24const_host_device_scalarIT5_EEPKT3_S3_PKS5_S9_S3_SB_S6_S9_S3_SB_S9_PS1_PS5_PS7_21rocsparse_index_base_SF_SF_SF_bbb,comdat
.Lfunc_end109:
	.size	_ZN9rocsparseL36csrgemm_fill_block_per_row_multipassILj512ELj16ELj2048ELj32EllfEEvT4_PKS1_S3_NS_24const_host_device_scalarIT5_EEPKT3_S3_PKS5_S9_S3_SB_S6_S9_S3_SB_S9_PS1_PS5_PS7_21rocsparse_index_base_SF_SF_SF_bbb, .Lfunc_end109-_ZN9rocsparseL36csrgemm_fill_block_per_row_multipassILj512ELj16ELj2048ELj32EllfEEvT4_PKS1_S3_NS_24const_host_device_scalarIT5_EEPKT3_S3_PKS5_S9_S3_SB_S6_S9_S3_SB_S9_PS1_PS5_PS7_21rocsparse_index_base_SF_SF_SF_bbb
                                        ; -- End function
	.section	.AMDGPU.csdata,"",@progbits
; Kernel info:
; codeLenInByte = 3104
; NumSgprs: 100
; NumVgprs: 44
; NumAgprs: 0
; TotalNumVgprs: 44
; ScratchSize: 0
; MemoryBound: 0
; FloatMode: 240
; IeeeMode: 1
; LDSByteSize: 10248 bytes/workgroup (compile time only)
; SGPRBlocks: 12
; VGPRBlocks: 5
; NumSGPRsForWavesPerEU: 100
; NumVGPRsForWavesPerEU: 44
; AccumOffset: 44
; Occupancy: 8
; WaveLimiterHint : 1
; COMPUTE_PGM_RSRC2:SCRATCH_EN: 0
; COMPUTE_PGM_RSRC2:USER_SGPR: 6
; COMPUTE_PGM_RSRC2:TRAP_HANDLER: 0
; COMPUTE_PGM_RSRC2:TGID_X_EN: 1
; COMPUTE_PGM_RSRC2:TGID_Y_EN: 0
; COMPUTE_PGM_RSRC2:TGID_Z_EN: 0
; COMPUTE_PGM_RSRC2:TIDIG_COMP_CNT: 0
; COMPUTE_PGM_RSRC3_GFX90A:ACCUM_OFFSET: 10
; COMPUTE_PGM_RSRC3_GFX90A:TG_SPLIT: 0
	.section	.text._ZN9rocsparseL36csrgemm_fill_block_per_row_multipassILj512ELj16ELj2048ELj64EllfEEvT4_PKS1_S3_NS_24const_host_device_scalarIT5_EEPKT3_S3_PKS5_S9_S3_SB_S6_S9_S3_SB_S9_PS1_PS5_PS7_21rocsparse_index_base_SF_SF_SF_bbb,"axG",@progbits,_ZN9rocsparseL36csrgemm_fill_block_per_row_multipassILj512ELj16ELj2048ELj64EllfEEvT4_PKS1_S3_NS_24const_host_device_scalarIT5_EEPKT3_S3_PKS5_S9_S3_SB_S6_S9_S3_SB_S9_PS1_PS5_PS7_21rocsparse_index_base_SF_SF_SF_bbb,comdat
	.globl	_ZN9rocsparseL36csrgemm_fill_block_per_row_multipassILj512ELj16ELj2048ELj64EllfEEvT4_PKS1_S3_NS_24const_host_device_scalarIT5_EEPKT3_S3_PKS5_S9_S3_SB_S6_S9_S3_SB_S9_PS1_PS5_PS7_21rocsparse_index_base_SF_SF_SF_bbb ; -- Begin function _ZN9rocsparseL36csrgemm_fill_block_per_row_multipassILj512ELj16ELj2048ELj64EllfEEvT4_PKS1_S3_NS_24const_host_device_scalarIT5_EEPKT3_S3_PKS5_S9_S3_SB_S6_S9_S3_SB_S9_PS1_PS5_PS7_21rocsparse_index_base_SF_SF_SF_bbb
	.p2align	8
	.type	_ZN9rocsparseL36csrgemm_fill_block_per_row_multipassILj512ELj16ELj2048ELj64EllfEEvT4_PKS1_S3_NS_24const_host_device_scalarIT5_EEPKT3_S3_PKS5_S9_S3_SB_S6_S9_S3_SB_S9_PS1_PS5_PS7_21rocsparse_index_base_SF_SF_SF_bbb,@function
_ZN9rocsparseL36csrgemm_fill_block_per_row_multipassILj512ELj16ELj2048ELj64EllfEEvT4_PKS1_S3_NS_24const_host_device_scalarIT5_EEPKT3_S3_PKS5_S9_S3_SB_S6_S9_S3_SB_S9_PS1_PS5_PS7_21rocsparse_index_base_SF_SF_SF_bbb: ; @_ZN9rocsparseL36csrgemm_fill_block_per_row_multipassILj512ELj16ELj2048ELj64EllfEEvT4_PKS1_S3_NS_24const_host_device_scalarIT5_EEPKT3_S3_PKS5_S9_S3_SB_S6_S9_S3_SB_S9_PS1_PS5_PS7_21rocsparse_index_base_SF_SF_SF_bbb
; %bb.0:
	s_load_dword s7, s[4:5], 0xa0
	s_load_dwordx4 s[12:15], s[4:5], 0x8
	s_load_dwordx2 s[0:1], s[4:5], 0x18
	s_load_dwordx4 s[44:47], s[4:5], 0x90
	s_load_dwordx2 s[2:3], s[4:5], 0x50
	s_waitcnt lgkmcnt(0)
	s_bitcmp1_b32 s7, 0
	s_cselect_b64 s[8:9], -1, 0
	s_bitcmp1_b32 s7, 16
	s_cselect_b64 s[10:11], -1, 0
	s_xor_b64 s[16:17], s[8:9], -1
	s_or_b64 s[16:17], s[16:17], s[10:11]
	s_and_b64 vcc, exec, s[16:17]
	s_cbranch_vccnz .LBB110_2
; %bb.1:
	s_load_dword s0, s[0:1], 0x0
	s_waitcnt lgkmcnt(0)
	v_mov_b32_e32 v32, s0
	s_branch .LBB110_3
.LBB110_2:
	v_mov_b32_e32 v1, s0
	v_cndmask_b32_e64 v32, 0, v1, s[8:9]
.LBB110_3:
	s_load_dwordx2 s[16:17], s[4:5], 0x20
	s_bitcmp1_b32 s7, 8
	s_cselect_b64 s[0:1], -1, 0
	s_xor_b64 s[18:19], s[0:1], -1
	s_or_b64 s[10:11], s[18:19], s[10:11]
	s_mov_b32 s7, 0
	s_and_b64 vcc, exec, s[10:11]
	s_cbranch_vccnz .LBB110_5
; %bb.4:
	s_load_dword s2, s[2:3], 0x0
	s_waitcnt lgkmcnt(0)
	v_mov_b32_e32 v33, s2
	s_branch .LBB110_6
.LBB110_5:
	v_mov_b32_e32 v1, s2
	v_cndmask_b32_e64 v33, 0, v1, s[0:1]
.LBB110_6:
	s_load_dwordx2 s[2:3], s[12:13], 0x0
	v_cndmask_b32_e64 v1, 0, 1, s[8:9]
	s_mov_b64 s[34:35], 0
	s_waitcnt lgkmcnt(0)
	s_lshl_b64 s[2:3], s[2:3], 3
	s_add_u32 s10, s14, s2
	s_addc_u32 s11, s15, s3
	s_lshl_b64 s[2:3], s[6:7], 3
	s_add_u32 s2, s10, s2
	s_addc_u32 s3, s11, s3
	s_load_dwordx2 s[10:11], s[2:3], 0x0
	v_cmp_ne_u32_e64 s[2:3], 1, v1
	s_andn2_b64 vcc, exec, s[8:9]
	s_mov_b64 s[6:7], 0
	s_cbranch_vccz .LBB110_9
; %bb.7:
	s_and_b64 vcc, exec, s[2:3]
	s_cbranch_vccz .LBB110_10
.LBB110_8:
	s_load_dwordx2 s[52:53], s[4:5], 0x0
	s_waitcnt lgkmcnt(0)
	v_cmp_lt_i64_e64 s[2:3], s[52:53], 1
	s_and_b64 vcc, exec, s[2:3]
	s_cbranch_vccz .LBB110_11
	s_branch .LBB110_65
.LBB110_9:
	s_waitcnt lgkmcnt(0)
	s_lshl_b64 s[6:7], s[10:11], 3
	s_add_u32 s6, s16, s6
	s_addc_u32 s7, s17, s7
	s_load_dwordx2 s[6:7], s[6:7], 0x0
	s_waitcnt lgkmcnt(0)
	s_sub_u32 s6, s6, s44
	s_subb_u32 s7, s7, 0
	s_and_b64 vcc, exec, s[2:3]
	s_cbranch_vccnz .LBB110_8
.LBB110_10:
	s_waitcnt lgkmcnt(0)
	s_lshl_b64 s[2:3], s[10:11], 3
	s_add_u32 s2, s16, s2
	s_addc_u32 s3, s17, s3
	s_load_dwordx2 s[2:3], s[2:3], 0x8
	s_waitcnt lgkmcnt(0)
	s_sub_u32 s34, s2, s44
	s_subb_u32 s35, s3, 0
	s_load_dwordx2 s[52:53], s[4:5], 0x0
	s_waitcnt lgkmcnt(0)
	v_cmp_lt_i64_e64 s[2:3], s[52:53], 1
	s_and_b64 vcc, exec, s[2:3]
	s_cbranch_vccnz .LBB110_65
.LBB110_11:
	s_load_dwordx8 s[24:31], s[4:5], 0x58
	s_load_dwordx2 s[54:55], s[4:5], 0x88
	s_load_dwordx4 s[48:51], s[4:5], 0x78
	s_load_dwordx2 s[56:57], s[4:5], 0x48
	s_load_dwordx8 s[36:43], s[4:5], 0x28
	s_lshl_b64 s[10:11], s[10:11], 3
	s_waitcnt lgkmcnt(0)
	s_add_u32 s2, s30, s10
	s_addc_u32 s3, s31, s11
	s_load_dwordx2 s[2:3], s[2:3], 0x0
	v_lshrrev_b32_e32 v1, 4, v0
	v_mov_b32_e32 v3, s7
	v_add_co_u32_e32 v4, vcc, s6, v1
	s_waitcnt lgkmcnt(0)
	s_sub_u32 s22, s2, s46
	s_subb_u32 s23, s3, 0
	v_addc_co_u32_e32 v5, vcc, 0, v3, vcc
	v_cmp_gt_i64_e32 vcc, s[34:35], v[4:5]
	s_add_u32 s24, s24, s10
	s_addc_u32 s25, s25, s11
	s_and_b64 s[30:31], s[8:9], vcc
	s_add_u32 s75, s40, 8
	s_addc_u32 s76, s41, 0
	v_subrev_co_u32_e64 v35, s[6:7], s47, v0
	v_mbcnt_lo_u32_b32 v3, -1, 0
	s_add_u32 s77, s48, -8
	v_subb_co_u32_e64 v36, s[6:7], 0, 0, s[6:7]
	v_mbcnt_hi_u32_b32 v3, -1, v3
	s_addc_u32 s78, s49, -1
	v_add_co_u32_e32 v40, vcc, s46, v0
	s_mov_b32 s33, 0
	v_and_b32_e32 v2, 15, v0
	s_mov_b32 s73, s47
	v_sub_u32_e32 v3, 63, v3
	s_movk_i32 s6, 0x1ff
	s_movk_i32 s10, 0x80
	;; [unrolled: 1-line block ×7, first 2 shown]
	s_add_u32 s79, s50, -4
	v_addc_co_u32_e64 v41, s[46:47], 0, 0, vcc
	v_mov_b32_e32 v8, 0x800
	v_cmp_eq_u32_e64 s[2:3], 0, v0
	v_mov_b32_e32 v34, 0
	s_mov_b32 s72, s33
	v_cmp_eq_u32_e64 s[4:5], 15, v2
	s_mov_b32 s74, s33
	v_lshrrev_b64 v[6:7], v3, -1
	v_and_b32_e32 v37, 28, v1
	v_cmp_eq_u32_e64 s[6:7], s6, v0
	v_cmp_gt_u32_e64 s[8:9], 64, v0
	v_cmp_gt_u32_e64 s[10:11], s10, v0
	;; [unrolled: 1-line block ×7, first 2 shown]
	s_addc_u32 s80, s51, -1
	v_or_b32_e32 v38, 0xfffffe00, v0
	v_lshlrev_b32_e32 v39, 2, v0
	s_mov_b64 s[46:47], 0
	v_mov_b32_e32 v9, 0
	v_pk_mov_b32 v[0:1], s[22:23], s[22:23] op_sel:[0,1]
	s_movk_i32 s81, 0x5ff
	v_mov_b32_e32 v42, 1
	s_branch .LBB110_13
.LBB110_12:                             ;   in Loop: Header=BB110_13 Depth=1
	s_or_b64 exec, exec, s[22:23]
	ds_read_b64 v[10:11], v34 offset:10240
	s_waitcnt lgkmcnt(0)
	s_barrier
	v_add_co_u32_e32 v8, vcc, 0x800, v10
	v_addc_co_u32_e32 v9, vcc, 0, v11, vcc
	v_cmp_le_i64_e32 vcc, s[52:53], v[10:11]
	v_readfirstlane_b32 s46, v10
	v_readfirstlane_b32 s47, v11
	s_cbranch_vccnz .LBB110_65
.LBB110_13:                             ; =>This Loop Header: Depth=1
                                        ;     Child Loop BB110_14 Depth 2
                                        ;     Child Loop BB110_20 Depth 2
                                        ;       Child Loop BB110_28 Depth 3
                                        ;     Child Loop BB110_44 Depth 2
                                        ;     Child Loop BB110_56 Depth 2
	;; [unrolled: 1-line block ×3, first 2 shown]
	s_mov_b64 s[22:23], 0
	v_mov_b32_e32 v3, v39
	v_mov_b32_e32 v10, v38
.LBB110_14:                             ;   Parent Loop BB110_13 Depth=1
                                        ; =>  This Inner Loop Header: Depth=2
	ds_write_b8 v10, v34 offset:8704
	ds_write_b32 v3, v34
	v_add_u32_e32 v10, 0x200, v10
	v_cmp_lt_u32_e32 vcc, s81, v10
	s_or_b64 s[22:23], vcc, s[22:23]
	v_add_u32_e32 v3, 0x800, v3
	s_andn2_b64 exec, exec, s[22:23]
	s_cbranch_execnz .LBB110_14
; %bb.15:                               ;   in Loop: Header=BB110_13 Depth=1
	s_or_b64 exec, exec, s[22:23]
	s_and_saveexec_b64 s[22:23], s[2:3]
	s_cbranch_execz .LBB110_17
; %bb.16:                               ;   in Loop: Header=BB110_13 Depth=1
	v_pk_mov_b32 v[10:11], s[52:53], s[52:53] op_sel:[0,1]
	ds_write_b64 v34, v[10:11] offset:10240
.LBB110_17:                             ;   in Loop: Header=BB110_13 Depth=1
	s_or_b64 exec, exec, s[22:23]
	v_pk_mov_b32 v[10:11], s[52:53], s[52:53] op_sel:[0,1]
	s_waitcnt lgkmcnt(0)
	s_barrier
	s_and_saveexec_b64 s[48:49], s[30:31]
	s_cbranch_execz .LBB110_40
; %bb.18:                               ;   in Loop: Header=BB110_13 Depth=1
	s_cmp_lg_u64 s[46:47], 0
	s_mov_b64 s[50:51], 0
	s_cselect_b64 s[58:59], -1, 0
	v_pk_mov_b32 v[10:11], s[52:53], s[52:53] op_sel:[0,1]
	v_pk_mov_b32 v[12:13], v[4:5], v[4:5] op_sel:[0,1]
	s_branch .LBB110_20
.LBB110_19:                             ;   in Loop: Header=BB110_20 Depth=2
	s_or_b64 exec, exec, s[22:23]
	v_add_co_u32_e32 v12, vcc, 32, v12
	v_addc_co_u32_e32 v13, vcc, 0, v13, vcc
	v_cmp_le_i64_e32 vcc, s[34:35], v[12:13]
	s_or_b64 s[50:51], vcc, s[50:51]
	s_andn2_b64 exec, exec, s[50:51]
	s_cbranch_execz .LBB110_39
.LBB110_20:                             ;   Parent Loop BB110_13 Depth=1
                                        ; =>  This Loop Header: Depth=2
                                        ;       Child Loop BB110_28 Depth 3
	v_lshlrev_b64 v[14:15], 3, v[12:13]
	v_mov_b32_e32 v3, s37
	v_add_co_u32_e32 v16, vcc, s36, v14
	v_addc_co_u32_e32 v17, vcc, v3, v15, vcc
	global_load_dwordx2 v[18:19], v[16:17], off
	v_lshlrev_b64 v[16:17], 2, v[12:13]
	v_mov_b32_e32 v3, s39
	v_add_co_u32_e32 v16, vcc, s38, v16
	v_addc_co_u32_e32 v17, vcc, v3, v17, vcc
	global_load_dword v3, v[16:17], off
	s_and_b64 vcc, exec, s[58:59]
	s_cbranch_vccz .LBB110_22
; %bb.21:                               ;   in Loop: Header=BB110_20 Depth=2
	v_mov_b32_e32 v17, s55
	v_add_co_u32_e32 v16, vcc, s54, v14
	v_addc_co_u32_e32 v17, vcc, v17, v15, vcc
	global_load_dwordx2 v[16:17], v[16:17], off
	s_mov_b64 s[22:23], 0
	s_branch .LBB110_23
.LBB110_22:                             ;   in Loop: Header=BB110_20 Depth=2
	s_mov_b64 s[22:23], -1
                                        ; implicit-def: $vgpr16_vgpr17
.LBB110_23:                             ;   in Loop: Header=BB110_20 Depth=2
	v_mov_b32_e32 v20, s72
	s_waitcnt vmcnt(1)
	v_subrev_co_u32_e32 v18, vcc, s44, v18
	v_subb_co_u32_e32 v19, vcc, v19, v20, vcc
	s_andn2_b64 vcc, exec, s[22:23]
	v_lshlrev_b64 v[18:19], 3, v[18:19]
	s_cbranch_vccnz .LBB110_25
; %bb.24:                               ;   in Loop: Header=BB110_20 Depth=2
	s_waitcnt vmcnt(0)
	v_mov_b32_e32 v17, s41
	v_add_co_u32_e32 v16, vcc, s40, v18
	v_addc_co_u32_e32 v17, vcc, v17, v19, vcc
	global_load_dwordx2 v[16:17], v[16:17], off
	v_mov_b32_e32 v20, s33
	s_waitcnt vmcnt(0)
	v_subrev_co_u32_e32 v16, vcc, s45, v16
	v_subb_co_u32_e32 v17, vcc, v17, v20, vcc
.LBB110_25:                             ;   in Loop: Header=BB110_20 Depth=2
	v_mov_b32_e32 v20, s76
	v_add_co_u32_e32 v18, vcc, s75, v18
	v_addc_co_u32_e32 v19, vcc, v20, v19, vcc
	global_load_dwordx2 v[18:19], v[18:19], off
	v_mov_b32_e32 v20, s33
	s_waitcnt vmcnt(0)
	v_subrev_co_u32_e32 v18, vcc, s45, v18
	v_subb_co_u32_e32 v19, vcc, v19, v20, vcc
	v_add_co_u32_e32 v16, vcc, v16, v2
	v_addc_co_u32_e32 v17, vcc, 0, v17, vcc
	v_cmp_lt_i64_e32 vcc, v[16:17], v[18:19]
	s_and_saveexec_b64 s[60:61], vcc
	s_cbranch_execz .LBB110_37
; %bb.26:                               ;   in Loop: Header=BB110_20 Depth=2
	v_lshlrev_b64 v[20:21], 3, v[16:17]
	v_mov_b32_e32 v22, s43
	v_add_co_u32_e32 v20, vcc, s42, v20
	v_addc_co_u32_e32 v21, vcc, v22, v21, vcc
	v_lshlrev_b64 v[22:23], 2, v[16:17]
	v_mov_b32_e32 v24, s57
	v_add_co_u32_e32 v22, vcc, s56, v22
	v_mul_f32_e32 v3, v32, v3
	v_addc_co_u32_e32 v23, vcc, v24, v23, vcc
	s_mov_b64 s[64:65], 0
	v_pk_mov_b32 v[26:27], v[16:17], v[16:17] op_sel:[0,1]
                                        ; implicit-def: $sgpr62_sgpr63
                                        ; implicit-def: $sgpr66_sgpr67
	s_branch .LBB110_28
.LBB110_27:                             ;   in Loop: Header=BB110_28 Depth=3
	s_or_b64 exec, exec, s[68:69]
	s_and_b64 s[22:23], exec, s[70:71]
	s_or_b64 s[64:65], s[22:23], s[64:65]
	s_andn2_b64 s[22:23], s[62:63], exec
	s_and_b64 s[62:63], s[66:67], exec
	s_or_b64 s[62:63], s[22:23], s[62:63]
	v_pk_mov_b32 v[26:27], v[28:29], v[28:29] op_sel:[0,1]
	s_andn2_b64 exec, exec, s[64:65]
	s_cbranch_execz .LBB110_34
.LBB110_28:                             ;   Parent Loop BB110_13 Depth=1
                                        ;     Parent Loop BB110_20 Depth=2
                                        ; =>    This Inner Loop Header: Depth=3
	global_load_dwordx2 v[24:25], v[20:21], off
	v_mov_b32_e32 v28, s33
	s_waitcnt vmcnt(0)
	v_subrev_co_u32_e32 v24, vcc, s45, v24
	v_subb_co_u32_e32 v25, vcc, v25, v28, vcc
	v_cmp_lt_i64_e32 vcc, v[24:25], v[8:9]
	v_cmp_gt_i64_e64 s[22:23], s[46:47], v[24:25]
	s_xor_b64 s[68:69], vcc, -1
	s_or_b64 s[70:71], s[22:23], s[68:69]
	s_mov_b64 s[22:23], 0
                                        ; implicit-def: $sgpr68_sgpr69
	s_and_saveexec_b64 s[82:83], s[70:71]
	s_xor_b64 s[70:71], exec, s[82:83]
; %bb.29:                               ;   in Loop: Header=BB110_28 Depth=3
	s_mov_b64 s[68:69], -1
	s_and_b64 s[22:23], vcc, exec
; %bb.30:                               ;   in Loop: Header=BB110_28 Depth=3
	s_andn2_saveexec_b64 s[70:71], s[70:71]
	s_cbranch_execz .LBB110_32
; %bb.31:                               ;   in Loop: Header=BB110_28 Depth=3
	global_load_dword v28, v[22:23], off
	v_subrev_u32_e32 v29, s46, v24
	ds_write_b8 v29, v42 offset:8192
	v_lshlrev_b32_e32 v29, 2, v29
	s_or_b64 s[22:23], s[22:23], exec
	s_waitcnt vmcnt(0)
	v_mul_f32_e32 v28, v3, v28
	ds_add_f32 v29, v28
.LBB110_32:                             ;   in Loop: Header=BB110_28 Depth=3
	s_or_b64 exec, exec, s[70:71]
	s_andn2_b64 s[66:67], s[66:67], exec
	s_and_b64 s[68:69], s[68:69], exec
	s_mov_b64 s[70:71], -1
	s_or_b64 s[66:67], s[66:67], s[68:69]
	v_pk_mov_b32 v[30:31], v[26:27], v[26:27] op_sel:[0,1]
                                        ; implicit-def: $vgpr28_vgpr29
	s_and_saveexec_b64 s[68:69], s[22:23]
	s_cbranch_execz .LBB110_27
; %bb.33:                               ;   in Loop: Header=BB110_28 Depth=3
	v_add_co_u32_e32 v28, vcc, 16, v26
	v_addc_co_u32_e32 v29, vcc, 0, v27, vcc
	v_add_co_u32_e32 v20, vcc, 0x80, v20
	v_addc_co_u32_e32 v21, vcc, 0, v21, vcc
	;; [unrolled: 2-line block ×3, first 2 shown]
	v_cmp_ge_i64_e32 vcc, v[28:29], v[18:19]
	s_andn2_b64 s[66:67], s[66:67], exec
	s_orn2_b64 s[70:71], vcc, exec
	v_pk_mov_b32 v[30:31], v[26:27], v[26:27] op_sel:[0,1]
	s_branch .LBB110_27
.LBB110_34:                             ;   in Loop: Header=BB110_20 Depth=2
	s_or_b64 exec, exec, s[64:65]
	s_and_saveexec_b64 s[22:23], s[62:63]
	s_xor_b64 s[22:23], exec, s[22:23]
; %bb.35:                               ;   in Loop: Header=BB110_20 Depth=2
	v_cmp_lt_i64_e32 vcc, v[24:25], v[10:11]
	v_cndmask_b32_e32 v11, v11, v25, vcc
	v_cndmask_b32_e32 v10, v10, v24, vcc
	v_pk_mov_b32 v[16:17], v[30:31], v[30:31] op_sel:[0,1]
; %bb.36:                               ;   in Loop: Header=BB110_20 Depth=2
	s_or_b64 exec, exec, s[22:23]
.LBB110_37:                             ;   in Loop: Header=BB110_20 Depth=2
	s_or_b64 exec, exec, s[60:61]
	v_mov_b32_dpp v18, v16 row_shr:1 row_mask:0xf bank_mask:0xf
	v_mov_b32_dpp v19, v17 row_shr:1 row_mask:0xf bank_mask:0xf
	v_cmp_lt_i64_e32 vcc, v[18:19], v[16:17]
	v_cndmask_b32_e32 v17, v17, v19, vcc
	v_cndmask_b32_e32 v16, v16, v18, vcc
	s_nop 0
	v_mov_b32_dpp v19, v17 row_shr:2 row_mask:0xf bank_mask:0xf
	v_mov_b32_dpp v18, v16 row_shr:2 row_mask:0xf bank_mask:0xf
	v_cmp_lt_i64_e32 vcc, v[18:19], v[16:17]
	v_cndmask_b32_e32 v17, v17, v19, vcc
	v_cndmask_b32_e32 v16, v16, v18, vcc
	s_nop 0
	;; [unrolled: 6-line block ×3, first 2 shown]
	v_mov_b32_dpp v19, v17 row_shr:8 row_mask:0xf bank_mask:0xc
	v_mov_b32_dpp v18, v16 row_shr:8 row_mask:0xf bank_mask:0xc
	s_and_saveexec_b64 s[22:23], s[4:5]
	s_cbranch_execz .LBB110_19
; %bb.38:                               ;   in Loop: Header=BB110_20 Depth=2
	v_cmp_lt_i64_e32 vcc, v[18:19], v[16:17]
	v_cndmask_b32_e32 v17, v17, v19, vcc
	v_cndmask_b32_e32 v16, v16, v18, vcc
	v_mov_b32_e32 v3, s55
	v_add_co_u32_e32 v14, vcc, s54, v14
	v_addc_co_u32_e32 v15, vcc, v3, v15, vcc
	global_store_dwordx2 v[14:15], v[16:17], off
	s_branch .LBB110_19
.LBB110_39:                             ;   in Loop: Header=BB110_13 Depth=1
	s_or_b64 exec, exec, s[50:51]
.LBB110_40:                             ;   in Loop: Header=BB110_13 Depth=1
	s_or_b64 exec, exec, s[48:49]
	s_andn2_b64 vcc, exec, s[0:1]
	s_cbranch_vccnz .LBB110_54
; %bb.41:                               ;   in Loop: Header=BB110_13 Depth=1
	s_load_dwordx4 s[48:51], s[24:25], 0x0
	s_waitcnt lgkmcnt(0)
	s_sub_u32 s50, s50, s73
	v_mov_b32_e32 v3, s49
	v_add_co_u32_e32 v12, vcc, s48, v35
	s_subb_u32 s51, s51, 0
	v_addc_co_u32_e32 v13, vcc, v3, v36, vcc
	v_cmp_gt_i64_e32 vcc, s[50:51], v[12:13]
	s_and_saveexec_b64 s[48:49], vcc
	s_cbranch_execz .LBB110_53
; %bb.42:                               ;   in Loop: Header=BB110_13 Depth=1
	v_lshlrev_b64 v[14:15], 3, v[12:13]
	v_mov_b32_e32 v3, s27
	v_add_co_u32_e32 v14, vcc, s26, v14
	v_addc_co_u32_e32 v15, vcc, v3, v15, vcc
	v_lshlrev_b64 v[16:17], 2, v[12:13]
	v_mov_b32_e32 v3, s29
	v_add_co_u32_e32 v16, vcc, s28, v16
	v_addc_co_u32_e32 v17, vcc, v3, v17, vcc
	s_mov_b64 s[58:59], 0
                                        ; implicit-def: $sgpr60_sgpr61
                                        ; implicit-def: $sgpr62_sgpr63
	s_branch .LBB110_44
.LBB110_43:                             ;   in Loop: Header=BB110_44 Depth=2
	s_or_b64 exec, exec, s[64:65]
	s_and_b64 s[22:23], exec, s[66:67]
	s_or_b64 s[58:59], s[22:23], s[58:59]
	s_andn2_b64 s[22:23], s[60:61], exec
	s_and_b64 s[60:61], s[62:63], exec
	s_or_b64 s[60:61], s[22:23], s[60:61]
	s_andn2_b64 exec, exec, s[58:59]
	s_cbranch_execz .LBB110_50
.LBB110_44:                             ;   Parent Loop BB110_13 Depth=1
                                        ; =>  This Inner Loop Header: Depth=2
	global_load_dwordx2 v[18:19], v[14:15], off
	v_mov_b32_e32 v3, s74
	s_waitcnt vmcnt(0)
	v_subrev_co_u32_e32 v18, vcc, s73, v18
	v_subb_co_u32_e32 v19, vcc, v19, v3, vcc
	v_cmp_lt_i64_e32 vcc, v[18:19], v[8:9]
	v_cmp_gt_i64_e64 s[22:23], s[46:47], v[18:19]
	s_xor_b64 s[64:65], vcc, -1
	s_or_b64 s[66:67], s[22:23], s[64:65]
	s_mov_b64 s[22:23], 0
                                        ; implicit-def: $sgpr64_sgpr65
	s_and_saveexec_b64 s[68:69], s[66:67]
	s_xor_b64 s[66:67], exec, s[68:69]
; %bb.45:                               ;   in Loop: Header=BB110_44 Depth=2
	s_mov_b64 s[64:65], -1
	s_and_b64 s[22:23], vcc, exec
; %bb.46:                               ;   in Loop: Header=BB110_44 Depth=2
	s_andn2_saveexec_b64 s[66:67], s[66:67]
	s_cbranch_execz .LBB110_48
; %bb.47:                               ;   in Loop: Header=BB110_44 Depth=2
	global_load_dword v3, v[16:17], off
	v_subrev_u32_e32 v20, s46, v18
	ds_write_b8 v20, v42 offset:8192
	v_lshlrev_b32_e32 v20, 2, v20
	s_or_b64 s[22:23], s[22:23], exec
	s_waitcnt vmcnt(0)
	v_mul_f32_e32 v3, v33, v3
	ds_add_f32 v20, v3
.LBB110_48:                             ;   in Loop: Header=BB110_44 Depth=2
	s_or_b64 exec, exec, s[66:67]
	s_andn2_b64 s[62:63], s[62:63], exec
	s_and_b64 s[64:65], s[64:65], exec
	s_mov_b64 s[66:67], -1
	s_or_b64 s[62:63], s[62:63], s[64:65]
	s_and_saveexec_b64 s[64:65], s[22:23]
	s_cbranch_execz .LBB110_43
; %bb.49:                               ;   in Loop: Header=BB110_44 Depth=2
	v_add_co_u32_e32 v12, vcc, 0x200, v12
	v_addc_co_u32_e32 v13, vcc, 0, v13, vcc
	v_add_co_u32_e32 v14, vcc, 0x1000, v14
	v_addc_co_u32_e32 v15, vcc, 0, v15, vcc
	;; [unrolled: 2-line block ×3, first 2 shown]
	v_cmp_le_i64_e32 vcc, s[50:51], v[12:13]
	s_andn2_b64 s[62:63], s[62:63], exec
	s_orn2_b64 s[66:67], vcc, exec
	s_branch .LBB110_43
.LBB110_50:                             ;   in Loop: Header=BB110_13 Depth=1
	s_or_b64 exec, exec, s[58:59]
	s_and_saveexec_b64 s[22:23], s[60:61]
	s_xor_b64 s[22:23], exec, s[22:23]
; %bb.51:                               ;   in Loop: Header=BB110_13 Depth=1
	v_cmp_lt_i64_e32 vcc, v[18:19], v[10:11]
	v_cndmask_b32_e32 v11, v11, v19, vcc
	v_cndmask_b32_e32 v10, v10, v18, vcc
; %bb.52:                               ;   in Loop: Header=BB110_13 Depth=1
	s_or_b64 exec, exec, s[22:23]
.LBB110_53:                             ;   in Loop: Header=BB110_13 Depth=1
	s_or_b64 exec, exec, s[48:49]
.LBB110_54:                             ;   in Loop: Header=BB110_13 Depth=1
	v_mov_b32_dpp v8, v10 row_shr:1 row_mask:0xf bank_mask:0xf
	v_mov_b32_dpp v9, v11 row_shr:1 row_mask:0xf bank_mask:0xf
	v_cmp_lt_i64_e32 vcc, v[8:9], v[10:11]
	v_cndmask_b32_e32 v9, v11, v9, vcc
	v_cndmask_b32_e32 v8, v10, v8, vcc
	s_nop 0
	v_mov_b32_dpp v11, v9 row_shr:2 row_mask:0xf bank_mask:0xf
	v_mov_b32_dpp v10, v8 row_shr:2 row_mask:0xf bank_mask:0xf
	v_cmp_lt_i64_e32 vcc, v[10:11], v[8:9]
	v_cndmask_b32_e32 v9, v9, v11, vcc
	v_cndmask_b32_e32 v8, v8, v10, vcc
	s_nop 0
	;; [unrolled: 6-line block ×3, first 2 shown]
	v_mov_b32_dpp v11, v9 row_shr:8 row_mask:0xf bank_mask:0xc
	v_mov_b32_dpp v10, v8 row_shr:8 row_mask:0xf bank_mask:0xc
	s_and_saveexec_b64 s[22:23], s[4:5]
	s_cbranch_execz .LBB110_59
; %bb.55:                               ;   in Loop: Header=BB110_13 Depth=1
	v_cmp_lt_i64_e32 vcc, v[10:11], v[8:9]
	s_mov_b64 s[50:51], exec
	v_cndmask_b32_e32 v3, v9, v11, vcc
	v_cndmask_b32_e32 v8, v8, v10, vcc
	s_mov_b64 s[48:49], -1
.LBB110_56:                             ;   Parent Loop BB110_13 Depth=1
                                        ; =>  This Inner Loop Header: Depth=2
	s_ff1_i32_b64 s60, s[50:51]
	v_readlane_b32 s61, v3, s60
	v_readlane_b32 s62, v8, s60
	v_mov_b32_e32 v10, s62
	v_mov_b32_e32 v11, s61
	v_cmp_lt_u64_e32 vcc, s[48:49], v[10:11]
	s_and_b64 s[58:59], vcc, exec
	s_cselect_b32 s49, s49, s61
	s_cselect_b32 s48, s48, s62
	s_lshl_b64 s[58:59], 1, s60
	s_andn2_b64 s[50:51], s[50:51], s[58:59]
	s_cmp_lg_u64 s[50:51], 0
	s_cbranch_scc1 .LBB110_56
; %bb.57:                               ;   in Loop: Header=BB110_13 Depth=1
	v_mbcnt_lo_u32_b32 v3, exec_lo, 0
	v_mbcnt_hi_u32_b32 v3, exec_hi, v3
	v_cmp_eq_u32_e32 vcc, 0, v3
	s_and_saveexec_b64 s[50:51], vcc
	s_xor_b64 s[50:51], exec, s[50:51]
	s_cbranch_execz .LBB110_59
; %bb.58:                               ;   in Loop: Header=BB110_13 Depth=1
	v_pk_mov_b32 v[8:9], s[48:49], s[48:49] op_sel:[0,1]
	ds_min_u64 v34, v[8:9] offset:10240
.LBB110_59:                             ;   in Loop: Header=BB110_13 Depth=1
	s_or_b64 exec, exec, s[22:23]
	v_mov_b32_e32 v3, s47
	v_add_co_u32_e32 v8, vcc, s46, v40
	v_addc_co_u32_e32 v9, vcc, v41, v3, vcc
	s_mov_b64 s[22:23], 0
	v_mov_b32_e32 v3, v39
	v_mov_b32_e32 v10, v38
	s_waitcnt lgkmcnt(0)
	s_barrier
	s_branch .LBB110_61
.LBB110_60:                             ;   in Loop: Header=BB110_61 Depth=2
	s_or_b64 exec, exec, s[46:47]
	s_waitcnt lgkmcnt(0)
	s_barrier
	ds_read_b32 v11, v34 offset:28
	v_add_u32_e32 v10, 0x200, v10
	v_add_u32_e32 v3, 0x800, v3
	s_waitcnt lgkmcnt(0)
	v_ashrrev_i32_e32 v12, 31, v11
	v_add_co_u32_e32 v0, vcc, v0, v11
	v_addc_co_u32_e32 v1, vcc, v1, v12, vcc
	v_add_co_u32_e32 v8, vcc, 0x200, v8
	v_addc_co_u32_e32 v9, vcc, 0, v9, vcc
	v_cmp_lt_u32_e32 vcc, s81, v10
	s_or_b64 s[22:23], vcc, s[22:23]
	s_andn2_b64 exec, exec, s[22:23]
	s_cbranch_execz .LBB110_12
.LBB110_61:                             ;   Parent Loop BB110_13 Depth=1
                                        ; =>  This Inner Loop Header: Depth=2
	ds_read_u8 v19, v10 offset:8704
	ds_read_b32 v11, v3
	s_waitcnt lgkmcnt(0)
	s_barrier
	v_cmp_ne_u16_e32 vcc, 0, v19
	s_bcnt1_i32_b64 s46, vcc
	v_mov_b32_e32 v12, s46
	ds_write_b32 v37, v12
	s_waitcnt lgkmcnt(0)
	s_barrier
	ds_read_b128 v[12:15], v34
	v_and_b32_e32 v17, vcc_lo, v6
	v_and_b32_e32 v16, vcc_hi, v7
	v_bcnt_u32_b32 v17, v17, 0
	v_bcnt_u32_b32 v20, v16, v17
	ds_read_b96 v[16:18], v34 offset:16
	s_waitcnt lgkmcnt(1)
	v_cndmask_b32_e64 v12, v12, 0, s[8:9]
	v_add_u32_e32 v12, v12, v20
	v_cndmask_b32_e64 v13, v13, 0, s[10:11]
	v_cndmask_b32_e64 v14, v14, 0, s[12:13]
	v_add3_u32 v12, v12, v13, v14
	v_cndmask_b32_e64 v13, v15, 0, s[14:15]
	s_waitcnt lgkmcnt(0)
	v_cndmask_b32_e64 v14, v16, 0, s[16:17]
	v_add3_u32 v12, v12, v13, v14
	v_cndmask_b32_e64 v13, v17, 0, s[18:19]
	v_cndmask_b32_e64 v14, v18, 0, s[20:21]
	v_add3_u32 v12, v12, v13, v14
	v_and_b32_e32 v13, 1, v19
	v_cmp_eq_u32_e32 vcc, 1, v13
	s_and_saveexec_b64 s[46:47], vcc
	s_cbranch_execz .LBB110_63
; %bb.62:                               ;   in Loop: Header=BB110_61 Depth=2
	v_ashrrev_i32_e32 v13, 31, v12
	v_add_co_u32_e32 v14, vcc, v0, v12
	v_addc_co_u32_e32 v15, vcc, v1, v13, vcc
	v_lshlrev_b64 v[16:17], 3, v[14:15]
	v_mov_b32_e32 v13, s78
	v_add_co_u32_e32 v16, vcc, s77, v16
	v_addc_co_u32_e32 v17, vcc, v13, v17, vcc
	v_lshlrev_b64 v[14:15], 2, v[14:15]
	v_mov_b32_e32 v13, s80
	v_add_co_u32_e32 v14, vcc, s79, v14
	v_addc_co_u32_e32 v15, vcc, v13, v15, vcc
	global_store_dwordx2 v[16:17], v[8:9], off
	global_store_dword v[14:15], v11, off
.LBB110_63:                             ;   in Loop: Header=BB110_61 Depth=2
	s_or_b64 exec, exec, s[46:47]
	s_and_saveexec_b64 s[46:47], s[6:7]
	s_cbranch_execz .LBB110_60
; %bb.64:                               ;   in Loop: Header=BB110_61 Depth=2
	ds_write_b32 v34, v12 offset:28
	s_branch .LBB110_60
.LBB110_65:
	s_endpgm
	.section	.rodata,"a",@progbits
	.p2align	6, 0x0
	.amdhsa_kernel _ZN9rocsparseL36csrgemm_fill_block_per_row_multipassILj512ELj16ELj2048ELj64EllfEEvT4_PKS1_S3_NS_24const_host_device_scalarIT5_EEPKT3_S3_PKS5_S9_S3_SB_S6_S9_S3_SB_S9_PS1_PS5_PS7_21rocsparse_index_base_SF_SF_SF_bbb
		.amdhsa_group_segment_fixed_size 10248
		.amdhsa_private_segment_fixed_size 0
		.amdhsa_kernarg_size 164
		.amdhsa_user_sgpr_count 6
		.amdhsa_user_sgpr_private_segment_buffer 1
		.amdhsa_user_sgpr_dispatch_ptr 0
		.amdhsa_user_sgpr_queue_ptr 0
		.amdhsa_user_sgpr_kernarg_segment_ptr 1
		.amdhsa_user_sgpr_dispatch_id 0
		.amdhsa_user_sgpr_flat_scratch_init 0
		.amdhsa_user_sgpr_kernarg_preload_length 0
		.amdhsa_user_sgpr_kernarg_preload_offset 0
		.amdhsa_user_sgpr_private_segment_size 0
		.amdhsa_uses_dynamic_stack 0
		.amdhsa_system_sgpr_private_segment_wavefront_offset 0
		.amdhsa_system_sgpr_workgroup_id_x 1
		.amdhsa_system_sgpr_workgroup_id_y 0
		.amdhsa_system_sgpr_workgroup_id_z 0
		.amdhsa_system_sgpr_workgroup_info 0
		.amdhsa_system_vgpr_workitem_id 0
		.amdhsa_next_free_vgpr 43
		.amdhsa_next_free_sgpr 84
		.amdhsa_accum_offset 44
		.amdhsa_reserve_vcc 1
		.amdhsa_reserve_flat_scratch 0
		.amdhsa_float_round_mode_32 0
		.amdhsa_float_round_mode_16_64 0
		.amdhsa_float_denorm_mode_32 3
		.amdhsa_float_denorm_mode_16_64 3
		.amdhsa_dx10_clamp 1
		.amdhsa_ieee_mode 1
		.amdhsa_fp16_overflow 0
		.amdhsa_tg_split 0
		.amdhsa_exception_fp_ieee_invalid_op 0
		.amdhsa_exception_fp_denorm_src 0
		.amdhsa_exception_fp_ieee_div_zero 0
		.amdhsa_exception_fp_ieee_overflow 0
		.amdhsa_exception_fp_ieee_underflow 0
		.amdhsa_exception_fp_ieee_inexact 0
		.amdhsa_exception_int_div_zero 0
	.end_amdhsa_kernel
	.section	.text._ZN9rocsparseL36csrgemm_fill_block_per_row_multipassILj512ELj16ELj2048ELj64EllfEEvT4_PKS1_S3_NS_24const_host_device_scalarIT5_EEPKT3_S3_PKS5_S9_S3_SB_S6_S9_S3_SB_S9_PS1_PS5_PS7_21rocsparse_index_base_SF_SF_SF_bbb,"axG",@progbits,_ZN9rocsparseL36csrgemm_fill_block_per_row_multipassILj512ELj16ELj2048ELj64EllfEEvT4_PKS1_S3_NS_24const_host_device_scalarIT5_EEPKT3_S3_PKS5_S9_S3_SB_S6_S9_S3_SB_S9_PS1_PS5_PS7_21rocsparse_index_base_SF_SF_SF_bbb,comdat
.Lfunc_end110:
	.size	_ZN9rocsparseL36csrgemm_fill_block_per_row_multipassILj512ELj16ELj2048ELj64EllfEEvT4_PKS1_S3_NS_24const_host_device_scalarIT5_EEPKT3_S3_PKS5_S9_S3_SB_S6_S9_S3_SB_S9_PS1_PS5_PS7_21rocsparse_index_base_SF_SF_SF_bbb, .Lfunc_end110-_ZN9rocsparseL36csrgemm_fill_block_per_row_multipassILj512ELj16ELj2048ELj64EllfEEvT4_PKS1_S3_NS_24const_host_device_scalarIT5_EEPKT3_S3_PKS5_S9_S3_SB_S6_S9_S3_SB_S9_PS1_PS5_PS7_21rocsparse_index_base_SF_SF_SF_bbb
                                        ; -- End function
	.section	.AMDGPU.csdata,"",@progbits
; Kernel info:
; codeLenInByte = 2752
; NumSgprs: 88
; NumVgprs: 43
; NumAgprs: 0
; TotalNumVgprs: 43
; ScratchSize: 0
; MemoryBound: 0
; FloatMode: 240
; IeeeMode: 1
; LDSByteSize: 10248 bytes/workgroup (compile time only)
; SGPRBlocks: 10
; VGPRBlocks: 5
; NumSGPRsForWavesPerEU: 88
; NumVGPRsForWavesPerEU: 43
; AccumOffset: 44
; Occupancy: 8
; WaveLimiterHint : 1
; COMPUTE_PGM_RSRC2:SCRATCH_EN: 0
; COMPUTE_PGM_RSRC2:USER_SGPR: 6
; COMPUTE_PGM_RSRC2:TRAP_HANDLER: 0
; COMPUTE_PGM_RSRC2:TGID_X_EN: 1
; COMPUTE_PGM_RSRC2:TGID_Y_EN: 0
; COMPUTE_PGM_RSRC2:TGID_Z_EN: 0
; COMPUTE_PGM_RSRC2:TIDIG_COMP_CNT: 0
; COMPUTE_PGM_RSRC3_GFX90A:ACCUM_OFFSET: 10
; COMPUTE_PGM_RSRC3_GFX90A:TG_SPLIT: 0
	.section	.text._ZN9rocsparseL26csrgemm_group_reduce_part2ILj256ELj11EdllEEvT3_PKT2_PS1_Pij,"axG",@progbits,_ZN9rocsparseL26csrgemm_group_reduce_part2ILj256ELj11EdllEEvT3_PKT2_PS1_Pij,comdat
	.globl	_ZN9rocsparseL26csrgemm_group_reduce_part2ILj256ELj11EdllEEvT3_PKT2_PS1_Pij ; -- Begin function _ZN9rocsparseL26csrgemm_group_reduce_part2ILj256ELj11EdllEEvT3_PKT2_PS1_Pij
	.p2align	8
	.type	_ZN9rocsparseL26csrgemm_group_reduce_part2ILj256ELj11EdllEEvT3_PKT2_PS1_Pij,@function
_ZN9rocsparseL26csrgemm_group_reduce_part2ILj256ELj11EdllEEvT3_PKT2_PS1_Pij: ; @_ZN9rocsparseL26csrgemm_group_reduce_part2ILj256ELj11EdllEEvT3_PKT2_PS1_Pij
; %bb.0:
	s_mov_b32 s9, 0
	v_mul_u32_u24_e32 v1, 11, v0
	s_mov_b32 s8, s9
	s_mov_b32 s10, s9
	;; [unrolled: 1-line block ×3, first 2 shown]
	s_load_dwordx2 s[2:3], s[4:5], 0x0
	s_load_dwordx2 s[0:1], s[4:5], 0x10
	v_lshlrev_b32_e32 v1, 3, v1
	v_pk_mov_b32 v[2:3], s[8:9], s[8:9] op_sel:[0,1]
	v_pk_mov_b32 v[4:5], s[10:11], s[10:11] op_sel:[0,1]
	ds_write2_b64 v1, v[2:3], v[4:5] offset1:1
	ds_write2_b64 v1, v[2:3], v[4:5] offset0:2 offset1:3
	ds_write2_b64 v1, v[2:3], v[4:5] offset0:4 offset1:5
	;; [unrolled: 1-line block ×4, first 2 shown]
	v_mov_b32_e32 v3, 0
	v_lshl_or_b32 v6, s6, 8, v0
	v_mov_b32_e32 v2, v3
	ds_write_b64 v1, v[2:3] offset:80
	v_mov_b32_e32 v2, v6
	s_waitcnt lgkmcnt(0)
	v_cmp_gt_i64_e32 vcc, s[2:3], v[2:3]
	s_and_saveexec_b64 s[10:11], vcc
	s_cbranch_execz .LBB111_43
; %bb.1:
	s_load_dword s7, s[4:5], 0x20
	s_load_dwordx2 s[12:13], s[4:5], 0x8
	s_load_dwordx2 s[14:15], s[4:5], 0x18
	s_load_dword s8, s[4:5], 0x28
	v_lshlrev_b64 v[4:5], 2, v[2:3]
	s_waitcnt lgkmcnt(0)
	s_cmp_lt_u32 s7, 0x10108
	s_cselect_b64 s[26:27], -1, 0
	s_cmp_lt_u32 s7, 0x20108
	s_cselect_b64 s[30:31], -1, 0
	;; [unrolled: 2-line block ×3, first 2 shown]
	s_cmp_lt_u32 s7, 0x80108
	v_mov_b32_e32 v6, s15
	v_add_co_u32_e32 v4, vcc, s14, v4
	s_cselect_b64 s[40:41], -1, 0
	s_lshl_b32 s8, s8, 8
	v_addc_co_u32_e32 v5, vcc, v6, v5, vcc
	v_lshlrev_b64 v[6:7], 3, v[2:3]
	s_lshl_b64 s[4:5], s[8:9], 2
	v_mov_b32_e32 v8, s13
	v_add_co_u32_e32 v6, vcc, s12, v6
	s_lshl_b64 s[12:13], s[8:9], 3
	v_addc_co_u32_e32 v7, vcc, v8, v7, vcc
	s_mov_b64 s[14:15], 0
	s_mov_b64 s[16:17], 0x100
	;; [unrolled: 1-line block ×6, first 2 shown]
	s_xor_b64 s[26:27], s[26:27], -1
	v_mov_b32_e32 v12, 6
	s_mov_b64 s[28:29], 0x2001
	s_xor_b64 s[30:31], s[30:31], -1
	v_mov_b32_e32 v13, 7
	s_mov_b64 s[34:35], 0x4001
	;; [unrolled: 3-line block ×3, first 2 shown]
	s_xor_b64 s[40:41], s[40:41], -1
	v_mov_b32_e32 v15, 9
	v_mov_b32_e32 v16, 10
	;; [unrolled: 1-line block ×10, first 2 shown]
	v_pk_mov_b32 v[8:9], v[2:3], v[2:3] op_sel:[0,1]
	s_branch .LBB111_3
.LBB111_2:                              ;   in Loop: Header=BB111_3 Depth=1
	s_or_b64 exec, exec, s[42:43]
	v_add_co_u32_e32 v8, vcc, s8, v8
	v_addc_co_u32_e32 v9, vcc, v9, v22, vcc
	v_add_co_u32_e32 v4, vcc, s4, v4
	v_addc_co_u32_e32 v5, vcc, v5, v23, vcc
	v_cmp_le_i64_e32 vcc, s[2:3], v[8:9]
	s_or_b64 s[14:15], vcc, s[14:15]
	v_add_co_u32_e32 v6, vcc, s12, v6
	v_addc_co_u32_e32 v7, vcc, v7, v24, vcc
	s_andn2_b64 exec, exec, s[14:15]
	s_cbranch_execz .LBB111_43
.LBB111_3:                              ; =>This Inner Loop Header: Depth=1
	global_load_dwordx4 v[26:29], v[6:7], off
	s_waitcnt vmcnt(0)
	v_sub_co_u32_e32 v10, vcc, v28, v26
	v_subb_co_u32_e32 v11, vcc, v29, v27, vcc
	v_cmp_lt_i64_e32 vcc, 16, v[10:11]
	s_and_saveexec_b64 s[42:43], vcc
	s_xor_b64 s[42:43], exec, s[42:43]
	s_cbranch_execz .LBB111_41
; %bb.4:                                ;   in Loop: Header=BB111_3 Depth=1
	v_cmp_lt_u64_e32 vcc, 32, v[10:11]
	s_and_saveexec_b64 s[44:45], vcc
	s_xor_b64 s[44:45], exec, s[44:45]
	s_cbranch_execz .LBB111_38
; %bb.5:                                ;   in Loop: Header=BB111_3 Depth=1
	v_cmp_lt_u64_e32 vcc, s[16:17], v[10:11]
	s_and_saveexec_b64 s[46:47], vcc
	s_xor_b64 s[46:47], exec, s[46:47]
	s_cbranch_execz .LBB111_35
; %bb.6:                                ;   in Loop: Header=BB111_3 Depth=1
	v_cmp_lt_u64_e32 vcc, s[18:19], v[10:11]
	s_and_saveexec_b64 s[48:49], vcc
	s_xor_b64 s[48:49], exec, s[48:49]
	s_cbranch_execz .LBB111_32
; %bb.7:                                ;   in Loop: Header=BB111_3 Depth=1
	v_cmp_lt_u64_e32 vcc, s[20:21], v[10:11]
	s_and_saveexec_b64 s[50:51], vcc
	s_xor_b64 s[50:51], exec, s[50:51]
	s_cbranch_execz .LBB111_29
; %bb.8:                                ;   in Loop: Header=BB111_3 Depth=1
	v_cmp_lt_u64_e32 vcc, s[22:23], v[10:11]
	s_and_saveexec_b64 s[52:53], vcc
	s_xor_b64 s[52:53], exec, s[52:53]
	s_cbranch_execz .LBB111_26
; %bb.9:                                ;   in Loop: Header=BB111_3 Depth=1
	v_cmp_gt_u64_e32 vcc, s[24:25], v[10:11]
	s_and_b64 s[54:55], s[26:27], vcc
	s_and_saveexec_b64 s[56:57], s[54:55]
	s_xor_b64 s[54:55], exec, s[56:57]
	s_cbranch_execz .LBB111_11
; %bb.10:                               ;   in Loop: Header=BB111_3 Depth=1
	ds_read_b64 v[10:11], v1 offset:48
	global_store_dword v[4:5], v12, off
	s_waitcnt lgkmcnt(0)
	v_add_co_u32_e32 v10, vcc, 1, v10
	v_addc_co_u32_e32 v11, vcc, 0, v11, vcc
	ds_write_b64 v1, v[10:11] offset:48
                                        ; implicit-def: $vgpr10_vgpr11
.LBB111_11:                             ;   in Loop: Header=BB111_3 Depth=1
	s_andn2_saveexec_b64 s[54:55], s[54:55]
	s_cbranch_execz .LBB111_25
; %bb.12:                               ;   in Loop: Header=BB111_3 Depth=1
	v_cmp_gt_u64_e32 vcc, s[28:29], v[10:11]
	s_and_b64 s[56:57], s[30:31], vcc
	s_and_saveexec_b64 s[58:59], s[56:57]
	s_xor_b64 s[56:57], exec, s[58:59]
	s_cbranch_execz .LBB111_14
; %bb.13:                               ;   in Loop: Header=BB111_3 Depth=1
	ds_read_b64 v[10:11], v1 offset:56
	global_store_dword v[4:5], v13, off
	s_waitcnt lgkmcnt(0)
	v_add_co_u32_e32 v10, vcc, 1, v10
	v_addc_co_u32_e32 v11, vcc, 0, v11, vcc
	ds_write_b64 v1, v[10:11] offset:56
                                        ; implicit-def: $vgpr10_vgpr11
.LBB111_14:                             ;   in Loop: Header=BB111_3 Depth=1
	s_andn2_saveexec_b64 s[56:57], s[56:57]
	s_cbranch_execz .LBB111_24
; %bb.15:                               ;   in Loop: Header=BB111_3 Depth=1
	;; [unrolled: 17-line block ×3, first 2 shown]
	v_cmp_gt_u64_e32 vcc, s[38:39], v[10:11]
	s_and_b64 s[60:61], s[40:41], vcc
	s_and_saveexec_b64 s[62:63], s[60:61]
	s_xor_b64 s[60:61], exec, s[62:63]
	s_cbranch_execz .LBB111_20
; %bb.19:                               ;   in Loop: Header=BB111_3 Depth=1
	ds_read_b64 v[10:11], v1 offset:72
	global_store_dword v[4:5], v15, off
	s_waitcnt lgkmcnt(0)
	v_add_co_u32_e32 v10, vcc, 1, v10
	v_addc_co_u32_e32 v11, vcc, 0, v11, vcc
	ds_write_b64 v1, v[10:11] offset:72
.LBB111_20:                             ;   in Loop: Header=BB111_3 Depth=1
	s_andn2_saveexec_b64 s[60:61], s[60:61]
	s_cbranch_execz .LBB111_22
; %bb.21:                               ;   in Loop: Header=BB111_3 Depth=1
	ds_read_b64 v[10:11], v1 offset:80
	global_store_dword v[4:5], v16, off
	s_waitcnt lgkmcnt(0)
	v_add_co_u32_e32 v10, vcc, 1, v10
	v_addc_co_u32_e32 v11, vcc, 0, v11, vcc
	ds_write_b64 v1, v[10:11] offset:80
.LBB111_22:                             ;   in Loop: Header=BB111_3 Depth=1
	s_or_b64 exec, exec, s[60:61]
.LBB111_23:                             ;   in Loop: Header=BB111_3 Depth=1
	s_or_b64 exec, exec, s[58:59]
.LBB111_24:                             ;   in Loop: Header=BB111_3 Depth=1
	s_or_b64 exec, exec, s[56:57]
.LBB111_25:                             ;   in Loop: Header=BB111_3 Depth=1
	s_or_b64 exec, exec, s[54:55]
.LBB111_26:                             ;   in Loop: Header=BB111_3 Depth=1
	s_andn2_saveexec_b64 s[52:53], s[52:53]
	s_cbranch_execz .LBB111_28
; %bb.27:                               ;   in Loop: Header=BB111_3 Depth=1
	ds_read_b64 v[10:11], v1 offset:40
	global_store_dword v[4:5], v17, off
	s_waitcnt lgkmcnt(0)
	v_add_co_u32_e32 v10, vcc, 1, v10
	v_addc_co_u32_e32 v11, vcc, 0, v11, vcc
	ds_write_b64 v1, v[10:11] offset:40
.LBB111_28:                             ;   in Loop: Header=BB111_3 Depth=1
	s_or_b64 exec, exec, s[52:53]
.LBB111_29:                             ;   in Loop: Header=BB111_3 Depth=1
	s_andn2_saveexec_b64 s[50:51], s[50:51]
	s_cbranch_execz .LBB111_31
; %bb.30:                               ;   in Loop: Header=BB111_3 Depth=1
	ds_read_b64 v[10:11], v1 offset:32
	global_store_dword v[4:5], v18, off
	s_waitcnt lgkmcnt(0)
	v_add_co_u32_e32 v10, vcc, 1, v10
	v_addc_co_u32_e32 v11, vcc, 0, v11, vcc
	ds_write_b64 v1, v[10:11] offset:32
.LBB111_31:                             ;   in Loop: Header=BB111_3 Depth=1
	s_or_b64 exec, exec, s[50:51]
.LBB111_32:                             ;   in Loop: Header=BB111_3 Depth=1
	s_andn2_saveexec_b64 s[48:49], s[48:49]
	s_cbranch_execz .LBB111_34
; %bb.33:                               ;   in Loop: Header=BB111_3 Depth=1
	ds_read_b64 v[10:11], v1 offset:24
	global_store_dword v[4:5], v19, off
	s_waitcnt lgkmcnt(0)
	v_add_co_u32_e32 v10, vcc, 1, v10
	v_addc_co_u32_e32 v11, vcc, 0, v11, vcc
	ds_write_b64 v1, v[10:11] offset:24
.LBB111_34:                             ;   in Loop: Header=BB111_3 Depth=1
	s_or_b64 exec, exec, s[48:49]
.LBB111_35:                             ;   in Loop: Header=BB111_3 Depth=1
	s_andn2_saveexec_b64 s[46:47], s[46:47]
	s_cbranch_execz .LBB111_37
; %bb.36:                               ;   in Loop: Header=BB111_3 Depth=1
	ds_read_b64 v[10:11], v1 offset:16
	global_store_dword v[4:5], v20, off
	s_waitcnt lgkmcnt(0)
	v_add_co_u32_e32 v10, vcc, 1, v10
	v_addc_co_u32_e32 v11, vcc, 0, v11, vcc
	ds_write_b64 v1, v[10:11] offset:16
.LBB111_37:                             ;   in Loop: Header=BB111_3 Depth=1
	s_or_b64 exec, exec, s[46:47]
.LBB111_38:                             ;   in Loop: Header=BB111_3 Depth=1
	s_andn2_saveexec_b64 s[44:45], s[44:45]
	s_cbranch_execz .LBB111_40
; %bb.39:                               ;   in Loop: Header=BB111_3 Depth=1
	ds_read_b64 v[10:11], v1 offset:8
	global_store_dword v[4:5], v21, off
	s_waitcnt lgkmcnt(0)
	v_add_co_u32_e32 v10, vcc, 1, v10
	v_addc_co_u32_e32 v11, vcc, 0, v11, vcc
	ds_write_b64 v1, v[10:11] offset:8
.LBB111_40:                             ;   in Loop: Header=BB111_3 Depth=1
	s_or_b64 exec, exec, s[44:45]
.LBB111_41:                             ;   in Loop: Header=BB111_3 Depth=1
	s_andn2_saveexec_b64 s[42:43], s[42:43]
	s_cbranch_execz .LBB111_2
; %bb.42:                               ;   in Loop: Header=BB111_3 Depth=1
	ds_read_b64 v[10:11], v1
	global_store_dword v[4:5], v3, off
	s_waitcnt lgkmcnt(0)
	v_add_co_u32_e32 v10, vcc, 1, v10
	v_addc_co_u32_e32 v11, vcc, 0, v11, vcc
	ds_write_b64 v1, v[10:11]
	s_branch .LBB111_2
.LBB111_43:
	s_or_b64 exec, exec, s[10:11]
	s_movk_i32 s2, 0x80
	v_cmp_gt_u32_e32 vcc, s2, v0
	s_waitcnt lgkmcnt(0)
	s_barrier
	s_barrier
	;; [unrolled: 1-line block ×3, first 2 shown]
	s_and_saveexec_b64 s[2:3], vcc
	s_cbranch_execz .LBB111_45
; %bb.44:
	v_add_u32_e32 v2, 0x2c00, v1
	ds_read2_b64 v[2:5], v2 offset1:1
	ds_read2_b64 v[6:9], v1 offset1:1
	ds_read2_b64 v[10:13], v1 offset0:2 offset1:3
	ds_read2_b64 v[14:17], v1 offset0:8 offset1:9
	;; [unrolled: 1-line block ×3, first 2 shown]
	s_waitcnt lgkmcnt(3)
	v_add_co_u32_e32 v6, vcc, v6, v2
	v_addc_co_u32_e32 v7, vcc, v7, v3, vcc
	v_add_co_u32_e32 v8, vcc, v8, v4
	v_add_u32_e32 v2, 0x2c10, v1
	v_addc_co_u32_e32 v9, vcc, v9, v5, vcc
	ds_read2_b64 v[2:5], v2 offset1:1
	ds_write2_b64 v1, v[6:7], v[8:9] offset1:1
	v_add_u32_e32 v6, 0x2c20, v1
	ds_read2_b64 v[6:9], v6 offset1:1
	s_waitcnt lgkmcnt(2)
	v_add_co_u32_e32 v2, vcc, v10, v2
	v_addc_co_u32_e32 v3, vcc, v11, v3, vcc
	v_add_co_u32_e32 v4, vcc, v12, v4
	v_addc_co_u32_e32 v5, vcc, v13, v5, vcc
	ds_write2_b64 v1, v[2:3], v[4:5] offset0:2 offset1:3
	ds_read2_b64 v[2:5], v1 offset0:6 offset1:7
	s_waitcnt lgkmcnt(2)
	v_add_co_u32_e32 v10, vcc, v18, v6
	v_addc_co_u32_e32 v11, vcc, v19, v7, vcc
	v_add_co_u32_e32 v12, vcc, v20, v8
	v_add_u32_e32 v6, 0x2c30, v1
	v_addc_co_u32_e32 v13, vcc, v21, v9, vcc
	ds_read2_b64 v[6:9], v6 offset1:1
	ds_write2_b64 v1, v[10:11], v[12:13] offset0:4 offset1:5
	v_add_u32_e32 v10, 0x2c40, v1
	ds_read2_b64 v[10:13], v10 offset1:1
	s_waitcnt lgkmcnt(2)
	v_add_co_u32_e32 v2, vcc, v2, v6
	v_addc_co_u32_e32 v3, vcc, v3, v7, vcc
	v_add_co_u32_e32 v4, vcc, v4, v8
	v_addc_co_u32_e32 v5, vcc, v5, v9, vcc
	ds_write2_b64 v1, v[2:3], v[4:5] offset0:6 offset1:7
	v_add_u32_e32 v2, 0x50, v1
	ds_read2st64_b64 v[2:5], v2 offset1:22
	s_waitcnt lgkmcnt(2)
	v_add_co_u32_e32 v6, vcc, v14, v10
	v_addc_co_u32_e32 v7, vcc, v15, v11, vcc
	v_add_co_u32_e32 v8, vcc, v16, v12
	v_addc_co_u32_e32 v9, vcc, v17, v13, vcc
	s_waitcnt lgkmcnt(0)
	v_add_co_u32_e32 v2, vcc, v2, v4
	v_addc_co_u32_e32 v3, vcc, v3, v5, vcc
	ds_write2_b64 v1, v[6:7], v[8:9] offset0:8 offset1:9
	ds_write_b64 v1, v[2:3] offset:80
.LBB111_45:
	s_or_b64 exec, exec, s[2:3]
	v_cmp_gt_u32_e32 vcc, 64, v0
	s_waitcnt lgkmcnt(0)
	s_barrier
	s_and_saveexec_b64 s[2:3], vcc
	s_cbranch_execz .LBB111_47
; %bb.46:
	v_add_u32_e32 v2, 0x1600, v1
	ds_read2_b64 v[2:5], v2 offset1:1
	ds_read2_b64 v[6:9], v1 offset1:1
	ds_read2_b64 v[10:13], v1 offset0:2 offset1:3
	ds_read2_b64 v[14:17], v1 offset0:8 offset1:9
	;; [unrolled: 1-line block ×3, first 2 shown]
	s_waitcnt lgkmcnt(3)
	v_add_co_u32_e32 v6, vcc, v6, v2
	v_addc_co_u32_e32 v7, vcc, v7, v3, vcc
	v_add_co_u32_e32 v8, vcc, v8, v4
	v_add_u32_e32 v2, 0x1610, v1
	v_addc_co_u32_e32 v9, vcc, v9, v5, vcc
	ds_read2_b64 v[2:5], v2 offset1:1
	ds_write2_b64 v1, v[6:7], v[8:9] offset1:1
	v_add_u32_e32 v6, 0x1620, v1
	ds_read2_b64 v[6:9], v6 offset1:1
	s_waitcnt lgkmcnt(2)
	v_add_co_u32_e32 v2, vcc, v10, v2
	v_addc_co_u32_e32 v3, vcc, v11, v3, vcc
	v_add_co_u32_e32 v4, vcc, v12, v4
	v_addc_co_u32_e32 v5, vcc, v13, v5, vcc
	ds_write2_b64 v1, v[2:3], v[4:5] offset0:2 offset1:3
	ds_read2_b64 v[2:5], v1 offset0:6 offset1:7
	s_waitcnt lgkmcnt(2)
	v_add_co_u32_e32 v10, vcc, v18, v6
	v_addc_co_u32_e32 v11, vcc, v19, v7, vcc
	v_add_co_u32_e32 v12, vcc, v20, v8
	v_add_u32_e32 v6, 0x1630, v1
	v_addc_co_u32_e32 v13, vcc, v21, v9, vcc
	ds_read2_b64 v[6:9], v6 offset1:1
	ds_write2_b64 v1, v[10:11], v[12:13] offset0:4 offset1:5
	v_add_u32_e32 v10, 0x1640, v1
	ds_read2_b64 v[10:13], v10 offset1:1
	s_waitcnt lgkmcnt(2)
	v_add_co_u32_e32 v2, vcc, v2, v6
	v_addc_co_u32_e32 v3, vcc, v3, v7, vcc
	v_add_co_u32_e32 v4, vcc, v4, v8
	v_addc_co_u32_e32 v5, vcc, v5, v9, vcc
	ds_write2_b64 v1, v[2:3], v[4:5] offset0:6 offset1:7
	v_add_u32_e32 v2, 0x50, v1
	ds_read2st64_b64 v[2:5], v2 offset1:11
	s_waitcnt lgkmcnt(2)
	v_add_co_u32_e32 v6, vcc, v14, v10
	v_addc_co_u32_e32 v7, vcc, v15, v11, vcc
	v_add_co_u32_e32 v8, vcc, v16, v12
	v_addc_co_u32_e32 v9, vcc, v17, v13, vcc
	s_waitcnt lgkmcnt(0)
	v_add_co_u32_e32 v2, vcc, v2, v4
	v_addc_co_u32_e32 v3, vcc, v3, v5, vcc
	ds_write2_b64 v1, v[6:7], v[8:9] offset0:8 offset1:9
	ds_write_b64 v1, v[2:3] offset:80
.LBB111_47:
	s_or_b64 exec, exec, s[2:3]
	v_cmp_gt_u32_e32 vcc, 32, v0
	s_waitcnt lgkmcnt(0)
	s_barrier
	s_and_saveexec_b64 s[2:3], vcc
	s_cbranch_execz .LBB111_49
; %bb.48:
	v_add_u32_e32 v2, 0xb00, v1
	ds_read2_b64 v[2:5], v2 offset1:1
	ds_read2_b64 v[6:9], v1 offset1:1
	ds_read2_b64 v[10:13], v1 offset0:2 offset1:3
	ds_read_b64 v[18:19], v1 offset:2896
	ds_read2_b64 v[14:17], v1 offset0:4 offset1:5
	s_waitcnt lgkmcnt(3)
	v_add_co_u32_e32 v6, vcc, v6, v2
	v_addc_co_u32_e32 v7, vcc, v7, v3, vcc
	v_add_co_u32_e32 v8, vcc, v8, v4
	v_add_u32_e32 v2, 0xb10, v1
	v_addc_co_u32_e32 v9, vcc, v9, v5, vcc
	ds_read2_b64 v[2:5], v2 offset1:1
	ds_write2_b64 v1, v[6:7], v[8:9] offset1:1
	v_add_u32_e32 v6, 0xb20, v1
	ds_read2_b64 v[6:9], v6 offset1:1
	s_waitcnt lgkmcnt(2)
	v_add_co_u32_e32 v2, vcc, v10, v2
	v_addc_co_u32_e32 v3, vcc, v11, v3, vcc
	v_add_co_u32_e32 v4, vcc, v12, v4
	v_addc_co_u32_e32 v5, vcc, v13, v5, vcc
	ds_write2_b64 v1, v[2:3], v[4:5] offset0:2 offset1:3
	ds_read2_b64 v[2:5], v1 offset0:6 offset1:7
	s_waitcnt lgkmcnt(2)
	v_add_co_u32_e32 v10, vcc, v14, v6
	v_addc_co_u32_e32 v11, vcc, v15, v7, vcc
	v_add_co_u32_e32 v12, vcc, v16, v8
	v_add_u32_e32 v6, 0xb30, v1
	v_addc_co_u32_e32 v13, vcc, v17, v9, vcc
	ds_read2_b64 v[6:9], v6 offset1:1
	ds_write2_b64 v1, v[10:11], v[12:13] offset0:4 offset1:5
	v_add_u32_e32 v10, 0xb40, v1
	ds_read2_b64 v[10:13], v10 offset1:1
	ds_read2_b64 v[14:17], v1 offset0:8 offset1:9
	s_waitcnt lgkmcnt(3)
	v_add_co_u32_e32 v2, vcc, v2, v6
	v_addc_co_u32_e32 v3, vcc, v3, v7, vcc
	v_add_co_u32_e32 v4, vcc, v4, v8
	v_addc_co_u32_e32 v5, vcc, v5, v9, vcc
	ds_write2_b64 v1, v[2:3], v[4:5] offset0:6 offset1:7
	ds_read_b64 v[2:3], v1 offset:80
	s_waitcnt lgkmcnt(2)
	v_add_co_u32_e32 v4, vcc, v14, v10
	v_addc_co_u32_e32 v5, vcc, v15, v11, vcc
	v_add_co_u32_e32 v6, vcc, v16, v12
	v_addc_co_u32_e32 v7, vcc, v17, v13, vcc
	s_waitcnt lgkmcnt(0)
	v_add_co_u32_e32 v2, vcc, v2, v18
	v_addc_co_u32_e32 v3, vcc, v3, v19, vcc
	ds_write2_b64 v1, v[4:5], v[6:7] offset0:8 offset1:9
	ds_write_b64 v1, v[2:3] offset:80
.LBB111_49:
	s_or_b64 exec, exec, s[2:3]
	v_cmp_gt_u32_e32 vcc, 16, v0
	s_waitcnt lgkmcnt(0)
	s_barrier
	s_and_saveexec_b64 s[2:3], vcc
	s_cbranch_execz .LBB111_51
; %bb.50:
	ds_read2_b64 v[2:5], v1 offset0:176 offset1:177
	ds_read2_b64 v[6:9], v1 offset1:1
	ds_read2_b64 v[10:13], v1 offset0:2 offset1:3
	ds_read2_b64 v[14:17], v1 offset0:8 offset1:9
	ds_read2_b64 v[18:21], v1 offset0:178 offset1:179
	s_waitcnt lgkmcnt(3)
	v_add_co_u32_e32 v2, vcc, v6, v2
	v_addc_co_u32_e32 v3, vcc, v7, v3, vcc
	v_add_co_u32_e32 v4, vcc, v8, v4
	v_addc_co_u32_e32 v5, vcc, v9, v5, vcc
	ds_write2_b64 v1, v[2:3], v[4:5] offset1:1
	ds_read2_b64 v[2:5], v1 offset0:180 offset1:181
	s_waitcnt lgkmcnt(2)
	v_add_co_u32_e32 v10, vcc, v10, v18
	ds_read2_b64 v[6:9], v1 offset0:4 offset1:5
	v_addc_co_u32_e32 v11, vcc, v11, v19, vcc
	v_add_co_u32_e32 v12, vcc, v12, v20
	v_addc_co_u32_e32 v13, vcc, v13, v21, vcc
	ds_write2_b64 v1, v[10:11], v[12:13] offset0:2 offset1:3
	ds_read2_b64 v[10:13], v1 offset0:6 offset1:7
	ds_read2_b64 v[18:21], v1 offset0:182 offset1:183
	s_waitcnt lgkmcnt(3)
	v_add_co_u32_e32 v2, vcc, v6, v2
	v_addc_co_u32_e32 v3, vcc, v7, v3, vcc
	v_add_co_u32_e32 v4, vcc, v8, v4
	v_addc_co_u32_e32 v5, vcc, v9, v5, vcc
	ds_write2_b64 v1, v[2:3], v[4:5] offset0:4 offset1:5
	ds_read2_b64 v[2:5], v1 offset0:184 offset1:185
	s_waitcnt lgkmcnt(2)
	v_add_co_u32_e32 v6, vcc, v10, v18
	v_addc_co_u32_e32 v7, vcc, v11, v19, vcc
	v_add_co_u32_e32 v8, vcc, v12, v20
	v_addc_co_u32_e32 v9, vcc, v13, v21, vcc
	ds_write2_b64 v1, v[6:7], v[8:9] offset0:6 offset1:7
	ds_read2_b64 v[6:9], v1 offset0:10 offset1:186
	s_waitcnt lgkmcnt(2)
	v_add_co_u32_e32 v2, vcc, v14, v2
	v_addc_co_u32_e32 v3, vcc, v15, v3, vcc
	v_add_co_u32_e32 v4, vcc, v16, v4
	v_addc_co_u32_e32 v5, vcc, v17, v5, vcc
	ds_write2_b64 v1, v[2:3], v[4:5] offset0:8 offset1:9
	s_waitcnt lgkmcnt(1)
	v_add_co_u32_e32 v2, vcc, v6, v8
	v_addc_co_u32_e32 v3, vcc, v7, v9, vcc
	ds_write_b64 v1, v[2:3] offset:80
.LBB111_51:
	s_or_b64 exec, exec, s[2:3]
	v_cmp_gt_u32_e32 vcc, 8, v0
	s_waitcnt lgkmcnt(0)
	s_barrier
	s_and_saveexec_b64 s[2:3], vcc
	s_cbranch_execz .LBB111_53
; %bb.52:
	ds_read2_b64 v[2:5], v1 offset0:88 offset1:89
	ds_read2_b64 v[6:9], v1 offset1:1
	ds_read2_b64 v[10:13], v1 offset0:2 offset1:3
	ds_read2_b64 v[14:17], v1 offset0:8 offset1:9
	ds_read2_b64 v[18:21], v1 offset0:90 offset1:91
	s_waitcnt lgkmcnt(3)
	v_add_co_u32_e32 v2, vcc, v6, v2
	v_addc_co_u32_e32 v3, vcc, v7, v3, vcc
	v_add_co_u32_e32 v4, vcc, v8, v4
	v_addc_co_u32_e32 v5, vcc, v9, v5, vcc
	ds_write2_b64 v1, v[2:3], v[4:5] offset1:1
	ds_read2_b64 v[2:5], v1 offset0:92 offset1:93
	s_waitcnt lgkmcnt(2)
	v_add_co_u32_e32 v10, vcc, v10, v18
	ds_read2_b64 v[6:9], v1 offset0:4 offset1:5
	v_addc_co_u32_e32 v11, vcc, v11, v19, vcc
	v_add_co_u32_e32 v12, vcc, v12, v20
	v_addc_co_u32_e32 v13, vcc, v13, v21, vcc
	ds_write2_b64 v1, v[10:11], v[12:13] offset0:2 offset1:3
	ds_read2_b64 v[10:13], v1 offset0:6 offset1:7
	ds_read2_b64 v[18:21], v1 offset0:94 offset1:95
	s_waitcnt lgkmcnt(3)
	v_add_co_u32_e32 v2, vcc, v6, v2
	v_addc_co_u32_e32 v3, vcc, v7, v3, vcc
	v_add_co_u32_e32 v4, vcc, v8, v4
	v_addc_co_u32_e32 v5, vcc, v9, v5, vcc
	ds_write2_b64 v1, v[2:3], v[4:5] offset0:4 offset1:5
	ds_read2_b64 v[2:5], v1 offset0:96 offset1:97
	s_waitcnt lgkmcnt(2)
	v_add_co_u32_e32 v6, vcc, v10, v18
	v_addc_co_u32_e32 v7, vcc, v11, v19, vcc
	v_add_co_u32_e32 v8, vcc, v12, v20
	v_addc_co_u32_e32 v9, vcc, v13, v21, vcc
	ds_write2_b64 v1, v[6:7], v[8:9] offset0:6 offset1:7
	ds_read2_b64 v[6:9], v1 offset0:10 offset1:98
	s_waitcnt lgkmcnt(2)
	v_add_co_u32_e32 v2, vcc, v14, v2
	v_addc_co_u32_e32 v3, vcc, v15, v3, vcc
	v_add_co_u32_e32 v4, vcc, v16, v4
	v_addc_co_u32_e32 v5, vcc, v17, v5, vcc
	ds_write2_b64 v1, v[2:3], v[4:5] offset0:8 offset1:9
	s_waitcnt lgkmcnt(1)
	v_add_co_u32_e32 v2, vcc, v6, v8
	v_addc_co_u32_e32 v3, vcc, v7, v9, vcc
	ds_write_b64 v1, v[2:3] offset:80
.LBB111_53:
	s_or_b64 exec, exec, s[2:3]
	v_cmp_gt_u32_e32 vcc, 4, v0
	s_waitcnt lgkmcnt(0)
	s_barrier
	s_and_saveexec_b64 s[2:3], vcc
	s_cbranch_execz .LBB111_55
; %bb.54:
	ds_read2_b64 v[2:5], v1 offset0:44 offset1:45
	ds_read2_b64 v[6:9], v1 offset1:1
	ds_read2_b64 v[10:13], v1 offset0:2 offset1:3
	ds_read2_b64 v[14:17], v1 offset0:8 offset1:9
	ds_read2_b64 v[18:21], v1 offset0:46 offset1:47
	s_waitcnt lgkmcnt(3)
	v_add_co_u32_e32 v2, vcc, v6, v2
	v_addc_co_u32_e32 v3, vcc, v7, v3, vcc
	v_add_co_u32_e32 v4, vcc, v8, v4
	v_addc_co_u32_e32 v5, vcc, v9, v5, vcc
	ds_write2_b64 v1, v[2:3], v[4:5] offset1:1
	ds_read2_b64 v[2:5], v1 offset0:48 offset1:49
	s_waitcnt lgkmcnt(2)
	v_add_co_u32_e32 v10, vcc, v10, v18
	ds_read2_b64 v[6:9], v1 offset0:4 offset1:5
	v_addc_co_u32_e32 v11, vcc, v11, v19, vcc
	v_add_co_u32_e32 v12, vcc, v12, v20
	v_addc_co_u32_e32 v13, vcc, v13, v21, vcc
	ds_write2_b64 v1, v[10:11], v[12:13] offset0:2 offset1:3
	ds_read2_b64 v[10:13], v1 offset0:6 offset1:7
	ds_read2_b64 v[18:21], v1 offset0:50 offset1:51
	s_waitcnt lgkmcnt(3)
	v_add_co_u32_e32 v2, vcc, v6, v2
	v_addc_co_u32_e32 v3, vcc, v7, v3, vcc
	v_add_co_u32_e32 v4, vcc, v8, v4
	v_addc_co_u32_e32 v5, vcc, v9, v5, vcc
	ds_write2_b64 v1, v[2:3], v[4:5] offset0:4 offset1:5
	ds_read2_b64 v[2:5], v1 offset0:52 offset1:53
	s_waitcnt lgkmcnt(2)
	v_add_co_u32_e32 v6, vcc, v10, v18
	v_addc_co_u32_e32 v7, vcc, v11, v19, vcc
	v_add_co_u32_e32 v8, vcc, v12, v20
	v_addc_co_u32_e32 v9, vcc, v13, v21, vcc
	ds_write2_b64 v1, v[6:7], v[8:9] offset0:6 offset1:7
	ds_read2_b64 v[6:9], v1 offset0:10 offset1:54
	s_waitcnt lgkmcnt(2)
	v_add_co_u32_e32 v2, vcc, v14, v2
	v_addc_co_u32_e32 v3, vcc, v15, v3, vcc
	v_add_co_u32_e32 v4, vcc, v16, v4
	v_addc_co_u32_e32 v5, vcc, v17, v5, vcc
	ds_write2_b64 v1, v[2:3], v[4:5] offset0:8 offset1:9
	s_waitcnt lgkmcnt(1)
	v_add_co_u32_e32 v2, vcc, v6, v8
	v_addc_co_u32_e32 v3, vcc, v7, v9, vcc
	ds_write_b64 v1, v[2:3] offset:80
.LBB111_55:
	s_or_b64 exec, exec, s[2:3]
	v_cmp_gt_u32_e32 vcc, 2, v0
	s_waitcnt lgkmcnt(0)
	s_barrier
	s_and_saveexec_b64 s[2:3], vcc
	s_cbranch_execz .LBB111_57
; %bb.56:
	ds_read2_b64 v[2:5], v1 offset0:22 offset1:23
	ds_read2_b64 v[6:9], v1 offset1:1
	ds_read2_b64 v[10:13], v1 offset0:2 offset1:3
	ds_read2_b64 v[14:17], v1 offset0:8 offset1:9
	ds_read2_b64 v[18:21], v1 offset0:24 offset1:25
	s_waitcnt lgkmcnt(3)
	v_add_co_u32_e32 v2, vcc, v6, v2
	v_addc_co_u32_e32 v3, vcc, v7, v3, vcc
	v_add_co_u32_e32 v4, vcc, v8, v4
	v_addc_co_u32_e32 v5, vcc, v9, v5, vcc
	ds_write2_b64 v1, v[2:3], v[4:5] offset1:1
	ds_read2_b64 v[2:5], v1 offset0:26 offset1:27
	s_waitcnt lgkmcnt(2)
	v_add_co_u32_e32 v10, vcc, v10, v18
	ds_read2_b64 v[6:9], v1 offset0:4 offset1:5
	v_addc_co_u32_e32 v11, vcc, v11, v19, vcc
	v_add_co_u32_e32 v12, vcc, v12, v20
	v_addc_co_u32_e32 v13, vcc, v13, v21, vcc
	ds_write2_b64 v1, v[10:11], v[12:13] offset0:2 offset1:3
	ds_read2_b64 v[10:13], v1 offset0:6 offset1:7
	ds_read2_b64 v[18:21], v1 offset0:28 offset1:29
	s_waitcnt lgkmcnt(3)
	v_add_co_u32_e32 v2, vcc, v6, v2
	v_addc_co_u32_e32 v3, vcc, v7, v3, vcc
	v_add_co_u32_e32 v4, vcc, v8, v4
	v_addc_co_u32_e32 v5, vcc, v9, v5, vcc
	ds_write2_b64 v1, v[2:3], v[4:5] offset0:4 offset1:5
	ds_read2_b64 v[2:5], v1 offset0:30 offset1:31
	s_waitcnt lgkmcnt(2)
	v_add_co_u32_e32 v6, vcc, v10, v18
	v_addc_co_u32_e32 v7, vcc, v11, v19, vcc
	v_add_co_u32_e32 v8, vcc, v12, v20
	v_addc_co_u32_e32 v9, vcc, v13, v21, vcc
	ds_write2_b64 v1, v[6:7], v[8:9] offset0:6 offset1:7
	ds_read2_b64 v[6:9], v1 offset0:10 offset1:32
	s_waitcnt lgkmcnt(2)
	v_add_co_u32_e32 v2, vcc, v14, v2
	v_addc_co_u32_e32 v3, vcc, v15, v3, vcc
	v_add_co_u32_e32 v4, vcc, v16, v4
	v_addc_co_u32_e32 v5, vcc, v17, v5, vcc
	ds_write2_b64 v1, v[2:3], v[4:5] offset0:8 offset1:9
	s_waitcnt lgkmcnt(1)
	v_add_co_u32_e32 v2, vcc, v6, v8
	v_addc_co_u32_e32 v3, vcc, v7, v9, vcc
	ds_write_b64 v1, v[2:3] offset:80
.LBB111_57:
	s_or_b64 exec, exec, s[2:3]
	v_cmp_eq_u32_e32 vcc, 0, v0
	s_waitcnt lgkmcnt(0)
	s_barrier
	s_and_saveexec_b64 s[2:3], vcc
	s_cbranch_execz .LBB111_59
; %bb.58:
	v_mov_b32_e32 v1, 0
	ds_read_b128 v[2:5], v1 offset:80
	ds_read_b128 v[6:9], v1
	ds_read_b128 v[10:13], v1 offset:16
	ds_read_b128 v[14:17], v1 offset:32
	;; [unrolled: 1-line block ×5, first 2 shown]
	s_waitcnt lgkmcnt(5)
	v_add_co_u32_e32 v4, vcc, v6, v4
	v_addc_co_u32_e32 v5, vcc, v7, v5, vcc
	ds_read_b128 v[30:33], v1 offset:112
	s_waitcnt lgkmcnt(2)
	v_add_co_u32_e32 v6, vcc, v8, v22
	v_addc_co_u32_e32 v7, vcc, v9, v23, vcc
	ds_write_b128 v1, v[4:7]
	v_add_co_u32_e32 v4, vcc, v10, v24
	v_addc_co_u32_e32 v5, vcc, v11, v25, vcc
	s_waitcnt lgkmcnt(1)
	v_add_co_u32_e32 v6, vcc, v12, v30
	v_addc_co_u32_e32 v7, vcc, v13, v31, vcc
	ds_write_b128 v1, v[4:7] offset:16
	ds_read_b128 v[4:7], v1 offset:128
	v_add_co_u32_e32 v8, vcc, v14, v32
	v_addc_co_u32_e32 v9, vcc, v15, v33, vcc
	ds_read_b128 v[12:15], v1 offset:144
	s_waitcnt lgkmcnt(1)
	v_add_co_u32_e32 v10, vcc, v16, v4
	v_addc_co_u32_e32 v11, vcc, v17, v5, vcc
	v_add_co_u32_e32 v4, vcc, v18, v6
	v_addc_co_u32_e32 v5, vcc, v19, v7, vcc
	s_waitcnt lgkmcnt(0)
	v_add_co_u32_e32 v6, vcc, v20, v12
	v_addc_co_u32_e32 v7, vcc, v21, v13, vcc
	ds_write_b128 v1, v[4:7] offset:48
	ds_read_b128 v[4:7], v1 offset:160
	ds_write_b128 v1, v[8:11] offset:32
	v_add_co_u32_e32 v8, vcc, v26, v14
	v_addc_co_u32_e32 v9, vcc, v27, v15, vcc
	s_waitcnt lgkmcnt(1)
	v_add_co_u32_e32 v10, vcc, v28, v4
	v_addc_co_u32_e32 v11, vcc, v29, v5, vcc
	v_add_co_u32_e32 v2, vcc, v2, v6
	v_addc_co_u32_e32 v3, vcc, v3, v7, vcc
	ds_write_b128 v1, v[8:11] offset:64
	ds_write_b64 v1, v[2:3] offset:80
.LBB111_59:
	s_or_b64 exec, exec, s[2:3]
	v_cmp_gt_u32_e32 vcc, 11, v0
	s_waitcnt lgkmcnt(0)
	s_barrier
	s_and_saveexec_b64 s[2:3], vcc
	s_cbranch_execz .LBB111_61
; %bb.60:
	v_mad_u64_u32 v[2:3], s[2:3], s6, 11, v[0:1]
	v_lshlrev_b32_e32 v0, 3, v0
	ds_read_b64 v[0:1], v0
	v_mov_b32_e32 v3, 0
	v_lshlrev_b64 v[2:3], 3, v[2:3]
	v_mov_b32_e32 v4, s1
	v_add_co_u32_e32 v2, vcc, s0, v2
	v_addc_co_u32_e32 v3, vcc, v4, v3, vcc
	s_waitcnt lgkmcnt(0)
	global_store_dwordx2 v[2:3], v[0:1], off
.LBB111_61:
	s_endpgm
	.section	.rodata,"a",@progbits
	.p2align	6, 0x0
	.amdhsa_kernel _ZN9rocsparseL26csrgemm_group_reduce_part2ILj256ELj11EdllEEvT3_PKT2_PS1_Pij
		.amdhsa_group_segment_fixed_size 22528
		.amdhsa_private_segment_fixed_size 0
		.amdhsa_kernarg_size 296
		.amdhsa_user_sgpr_count 6
		.amdhsa_user_sgpr_private_segment_buffer 1
		.amdhsa_user_sgpr_dispatch_ptr 0
		.amdhsa_user_sgpr_queue_ptr 0
		.amdhsa_user_sgpr_kernarg_segment_ptr 1
		.amdhsa_user_sgpr_dispatch_id 0
		.amdhsa_user_sgpr_flat_scratch_init 0
		.amdhsa_user_sgpr_kernarg_preload_length 0
		.amdhsa_user_sgpr_kernarg_preload_offset 0
		.amdhsa_user_sgpr_private_segment_size 0
		.amdhsa_uses_dynamic_stack 0
		.amdhsa_system_sgpr_private_segment_wavefront_offset 0
		.amdhsa_system_sgpr_workgroup_id_x 1
		.amdhsa_system_sgpr_workgroup_id_y 0
		.amdhsa_system_sgpr_workgroup_id_z 0
		.amdhsa_system_sgpr_workgroup_info 0
		.amdhsa_system_vgpr_workitem_id 0
		.amdhsa_next_free_vgpr 34
		.amdhsa_next_free_sgpr 64
		.amdhsa_accum_offset 36
		.amdhsa_reserve_vcc 1
		.amdhsa_reserve_flat_scratch 0
		.amdhsa_float_round_mode_32 0
		.amdhsa_float_round_mode_16_64 0
		.amdhsa_float_denorm_mode_32 3
		.amdhsa_float_denorm_mode_16_64 3
		.amdhsa_dx10_clamp 1
		.amdhsa_ieee_mode 1
		.amdhsa_fp16_overflow 0
		.amdhsa_tg_split 0
		.amdhsa_exception_fp_ieee_invalid_op 0
		.amdhsa_exception_fp_denorm_src 0
		.amdhsa_exception_fp_ieee_div_zero 0
		.amdhsa_exception_fp_ieee_overflow 0
		.amdhsa_exception_fp_ieee_underflow 0
		.amdhsa_exception_fp_ieee_inexact 0
		.amdhsa_exception_int_div_zero 0
	.end_amdhsa_kernel
	.section	.text._ZN9rocsparseL26csrgemm_group_reduce_part2ILj256ELj11EdllEEvT3_PKT2_PS1_Pij,"axG",@progbits,_ZN9rocsparseL26csrgemm_group_reduce_part2ILj256ELj11EdllEEvT3_PKT2_PS1_Pij,comdat
.Lfunc_end111:
	.size	_ZN9rocsparseL26csrgemm_group_reduce_part2ILj256ELj11EdllEEvT3_PKT2_PS1_Pij, .Lfunc_end111-_ZN9rocsparseL26csrgemm_group_reduce_part2ILj256ELj11EdllEEvT3_PKT2_PS1_Pij
                                        ; -- End function
	.section	.AMDGPU.csdata,"",@progbits
; Kernel info:
; codeLenInByte = 3600
; NumSgprs: 68
; NumVgprs: 34
; NumAgprs: 0
; TotalNumVgprs: 34
; ScratchSize: 0
; MemoryBound: 0
; FloatMode: 240
; IeeeMode: 1
; LDSByteSize: 22528 bytes/workgroup (compile time only)
; SGPRBlocks: 8
; VGPRBlocks: 4
; NumSGPRsForWavesPerEU: 68
; NumVGPRsForWavesPerEU: 34
; AccumOffset: 36
; Occupancy: 2
; WaveLimiterHint : 0
; COMPUTE_PGM_RSRC2:SCRATCH_EN: 0
; COMPUTE_PGM_RSRC2:USER_SGPR: 6
; COMPUTE_PGM_RSRC2:TRAP_HANDLER: 0
; COMPUTE_PGM_RSRC2:TGID_X_EN: 1
; COMPUTE_PGM_RSRC2:TGID_Y_EN: 0
; COMPUTE_PGM_RSRC2:TGID_Z_EN: 0
; COMPUTE_PGM_RSRC2:TIDIG_COMP_CNT: 0
; COMPUTE_PGM_RSRC3_GFX90A:ACCUM_OFFSET: 8
; COMPUTE_PGM_RSRC3_GFX90A:TG_SPLIT: 0
	.section	.text._ZN9rocsparseL23csrgemm_fill_wf_per_rowILj256ELj8ELj16ELj137ElldEEvT4_S1_PKS1_S3_NS_24const_host_device_scalarIT5_EEPKT3_S3_PKS5_S9_S3_SB_S6_S9_S3_SB_S9_PS1_PS5_21rocsparse_index_base_SE_SE_SE_bbb,"axG",@progbits,_ZN9rocsparseL23csrgemm_fill_wf_per_rowILj256ELj8ELj16ELj137ElldEEvT4_S1_PKS1_S3_NS_24const_host_device_scalarIT5_EEPKT3_S3_PKS5_S9_S3_SB_S6_S9_S3_SB_S9_PS1_PS5_21rocsparse_index_base_SE_SE_SE_bbb,comdat
	.globl	_ZN9rocsparseL23csrgemm_fill_wf_per_rowILj256ELj8ELj16ELj137ElldEEvT4_S1_PKS1_S3_NS_24const_host_device_scalarIT5_EEPKT3_S3_PKS5_S9_S3_SB_S6_S9_S3_SB_S9_PS1_PS5_21rocsparse_index_base_SE_SE_SE_bbb ; -- Begin function _ZN9rocsparseL23csrgemm_fill_wf_per_rowILj256ELj8ELj16ELj137ElldEEvT4_S1_PKS1_S3_NS_24const_host_device_scalarIT5_EEPKT3_S3_PKS5_S9_S3_SB_S6_S9_S3_SB_S9_PS1_PS5_21rocsparse_index_base_SE_SE_SE_bbb
	.p2align	8
	.type	_ZN9rocsparseL23csrgemm_fill_wf_per_rowILj256ELj8ELj16ELj137ElldEEvT4_S1_PKS1_S3_NS_24const_host_device_scalarIT5_EEPKT3_S3_PKS5_S9_S3_SB_S6_S9_S3_SB_S9_PS1_PS5_21rocsparse_index_base_SE_SE_SE_bbb,@function
_ZN9rocsparseL23csrgemm_fill_wf_per_rowILj256ELj8ELj16ELj137ElldEEvT4_S1_PKS1_S3_NS_24const_host_device_scalarIT5_EEPKT3_S3_PKS5_S9_S3_SB_S6_S9_S3_SB_S9_PS1_PS5_21rocsparse_index_base_SE_SE_SE_bbb: ; @_ZN9rocsparseL23csrgemm_fill_wf_per_rowILj256ELj8ELj16ELj137ElldEEvT4_S1_PKS1_S3_NS_24const_host_device_scalarIT5_EEPKT3_S3_PKS5_S9_S3_SB_S6_S9_S3_SB_S9_PS1_PS5_21rocsparse_index_base_SE_SE_SE_bbb
; %bb.0:
	s_load_dword s7, s[4:5], 0xa0
	s_load_dwordx4 s[0:3], s[4:5], 0x90
	s_load_dwordx2 s[8:9], s[4:5], 0x20
	s_load_dwordx2 s[28:29], s[4:5], 0x58
	s_waitcnt lgkmcnt(0)
	s_and_b32 s10, 1, s7
	s_bitcmp1_b32 s7, 16
	s_cselect_b64 s[30:31], -1, 0
	s_cmp_eq_u32 s10, 1
	s_cselect_b64 s[44:45], -1, 0
	s_and_b64 s[10:11], s[44:45], exec
	s_cselect_b32 s11, s9, 0
	s_cselect_b32 s10, s8, 0
	s_xor_b64 s[12:13], s[44:45], -1
	s_or_b64 s[12:13], s[12:13], s[30:31]
	s_and_b64 vcc, exec, s[12:13]
	v_pk_mov_b32 v[8:9], s[10:11], s[10:11] op_sel:[0,1]
	s_cbranch_vccnz .LBB112_2
; %bb.1:
	v_pk_mov_b32 v[2:3], s[8:9], s[8:9] op_sel:[0,1]
	flat_load_dwordx2 v[8:9], v[2:3]
.LBB112_2:
	s_load_dwordx4 s[24:27], s[4:5], 0x80
	s_load_dwordx8 s[8:15], s[4:5], 0x60
	s_load_dwordx4 s[36:39], s[4:5], 0x48
	s_load_dwordx4 s[40:43], s[4:5], 0x10
	s_load_dwordx8 s[16:23], s[4:5], 0x28
	s_bitcmp1_b32 s7, 8
	s_cselect_b64 s[34:35], -1, 0
	s_and_b64 s[46:47], s[34:35], exec
	s_cselect_b32 s47, s29, 0
	s_cselect_b32 s46, s28, 0
	s_xor_b64 s[48:49], s[34:35], -1
	s_or_b64 s[30:31], s[48:49], s[30:31]
	s_and_b64 vcc, exec, s[30:31]
	v_pk_mov_b32 v[4:5], s[46:47], s[46:47] op_sel:[0,1]
	s_cbranch_vccnz .LBB112_4
; %bb.3:
	v_pk_mov_b32 v[2:3], s[28:29], s[28:29] op_sel:[0,1]
	flat_load_dwordx2 v[4:5], v[2:3]
.LBB112_4:
	s_load_dwordx4 s[28:31], s[4:5], 0x0
	v_and_b32_e32 v27, 7, v0
	v_lshrrev_b32_e32 v6, 3, v0
	v_lshlrev_b32_e32 v0, 3, v27
	v_or_b32_e32 v21, -8, v27
	v_lshl_or_b32 v24, v6, 7, v0
	v_mov_b32_e32 v2, 0
	s_mov_b64 s[4:5], 0
	s_waitcnt lgkmcnt(0)
	v_pk_mov_b32 v[0:1], s[30:31], s[30:31] op_sel:[0,1]
	v_mov_b32_e32 v3, v2
	v_mov_b32_e32 v7, v24
	;; [unrolled: 1-line block ×3, first 2 shown]
.LBB112_5:                              ; =>This Inner Loop Header: Depth=1
	v_add_co_u32_e32 v10, vcc, 8, v10
	s_xor_b64 s[46:47], vcc, -1
	s_and_b64 s[46:47], exec, s[46:47]
	ds_write2st64_b64 v7, v[2:3], v[0:1] offset1:8
	s_or_b64 s[4:5], s[46:47], s[4:5]
	v_add_u32_e32 v7, 64, v7
	s_andn2_b64 exec, exec, s[4:5]
	s_cbranch_execnz .LBB112_5
; %bb.6:
	s_or_b64 exec, exec, s[4:5]
	s_lshl_b32 s4, s6, 5
	s_and_b32 s4, s4, 0x1fffffe0
	v_or_b32_e32 v0, s4, v6
	v_mov_b32_e32 v1, 0
	v_cmp_gt_i64_e32 vcc, s[28:29], v[0:1]
	s_waitcnt lgkmcnt(0)
	s_and_saveexec_b64 s[4:5], vcc
	s_cbranch_execz .LBB112_50
; %bb.7:
	s_cmp_eq_u64 s[42:43], 0
	s_cbranch_scc1 .LBB112_9
; %bb.8:
	s_load_dwordx2 s[4:5], s[40:41], 0x0
	v_lshlrev_b32_e32 v0, 3, v0
	s_waitcnt lgkmcnt(0)
	s_lshl_b64 s[4:5], s[4:5], 3
	s_add_u32 s4, s42, s4
	s_addc_u32 s5, s43, s5
	global_load_dwordx2 v[0:1], v0, s[4:5]
.LBB112_9:
	v_lshlrev_b32_e32 v26, 7, v6
	v_or_b32_e32 v25, 0x1000, v26
	s_andn2_b64 vcc, exec, s[44:45]
	s_waitcnt vmcnt(0)
	v_lshlrev_b64 v[6:7], 3, v[0:1]
	s_cbranch_vccnz .LBB112_29
; %bb.10:
	v_mov_b32_e32 v1, s17
	v_add_co_u32_e32 v0, vcc, s16, v6
	v_addc_co_u32_e32 v1, vcc, v1, v7, vcc
	global_load_dwordx4 v[0:3], v[0:1], off
	v_subrev_co_u32_e32 v12, vcc, s0, v27
	v_subb_co_u32_e64 v13, s[4:5], 0, 0, vcc
	s_mov_b32 s6, 0
	s_waitcnt vmcnt(0)
	v_subrev_co_u32_e32 v10, vcc, s0, v2
	v_subbrev_co_u32_e32 v11, vcc, 0, v3, vcc
	v_add_co_u32_e32 v12, vcc, v0, v12
	v_addc_co_u32_e32 v13, vcc, v1, v13, vcc
	v_cmp_lt_i64_e32 vcc, v[12:13], v[10:11]
	s_and_saveexec_b64 s[4:5], vcc
	s_cbranch_execz .LBB112_28
; %bb.11:
	s_mov_b32 s33, s0
	s_mov_b32 s50, s1
	;; [unrolled: 1-line block ×3, first 2 shown]
	s_mov_b64 s[0:1], 0
	v_mov_b32_e32 v28, s19
	v_mov_b32_e32 v29, s6
	;; [unrolled: 1-line block ×3, first 2 shown]
	s_branch .LBB112_13
.LBB112_12:                             ;   in Loop: Header=BB112_13 Depth=1
	s_or_b64 exec, exec, s[6:7]
	v_add_co_u32_e32 v12, vcc, 8, v12
	v_addc_co_u32_e32 v13, vcc, 0, v13, vcc
	v_cmp_ge_i64_e32 vcc, v[12:13], v[10:11]
	s_or_b64 s[0:1], vcc, s[0:1]
	s_andn2_b64 exec, exec, s[0:1]
	s_cbranch_execz .LBB112_28
.LBB112_13:                             ; =>This Loop Header: Depth=1
                                        ;     Child Loop BB112_16 Depth 2
                                        ;       Child Loop BB112_18 Depth 3
	v_lshlrev_b64 v[14:15], 3, v[12:13]
	v_add_co_u32_e32 v0, vcc, s18, v14
	v_addc_co_u32_e32 v1, vcc, v28, v15, vcc
	global_load_dwordx2 v[0:1], v[0:1], off
	s_waitcnt vmcnt(0)
	v_subrev_co_u32_e32 v0, vcc, s33, v0
	v_subb_co_u32_e32 v1, vcc, v1, v29, vcc
	v_lshlrev_b64 v[0:1], 3, v[0:1]
	v_add_co_u32_e32 v0, vcc, s22, v0
	v_addc_co_u32_e32 v1, vcc, v30, v1, vcc
	global_load_dwordx4 v[0:3], v[0:1], off
	s_waitcnt vmcnt(0)
	v_cmp_lt_i64_e32 vcc, v[0:1], v[2:3]
	s_and_saveexec_b64 s[6:7], vcc
	s_cbranch_execz .LBB112_12
; %bb.14:                               ;   in Loop: Header=BB112_13 Depth=1
	v_mov_b32_e32 v16, s21
	v_add_co_u32_e32 v14, vcc, s20, v14
	v_addc_co_u32_e32 v15, vcc, v16, v15, vcc
	global_load_dwordx2 v[14:15], v[14:15], off
	v_mov_b32_e32 v16, s51
	v_subrev_co_u32_e32 v2, vcc, s50, v2
	v_subb_co_u32_e32 v3, vcc, v3, v16, vcc
	v_subrev_co_u32_e32 v0, vcc, s50, v0
	v_subb_co_u32_e32 v1, vcc, v1, v16, vcc
	s_mov_b64 s[16:17], 0
	s_waitcnt vmcnt(0)
	v_mul_f64 v[14:15], v[8:9], v[14:15]
	s_branch .LBB112_16
.LBB112_15:                             ;   in Loop: Header=BB112_16 Depth=2
	s_or_b64 exec, exec, s[28:29]
	v_add_co_u32_e32 v0, vcc, 1, v0
	v_addc_co_u32_e32 v1, vcc, 0, v1, vcc
	v_cmp_ge_i64_e32 vcc, v[0:1], v[2:3]
	s_or_b64 s[16:17], vcc, s[16:17]
	s_andn2_b64 exec, exec, s[16:17]
	s_cbranch_execz .LBB112_12
.LBB112_16:                             ;   Parent Loop BB112_13 Depth=1
                                        ; =>  This Loop Header: Depth=2
                                        ;       Child Loop BB112_18 Depth 3
	v_lshlrev_b64 v[16:17], 3, v[0:1]
	v_mov_b32_e32 v19, s37
	v_add_co_u32_e32 v18, vcc, s36, v16
	v_addc_co_u32_e32 v19, vcc, v19, v17, vcc
	global_load_dwordx2 v[18:19], v[18:19], off
	v_mov_b32_e32 v20, s39
	v_add_co_u32_e32 v16, vcc, s38, v16
	v_addc_co_u32_e32 v17, vcc, v20, v17, vcc
	global_load_dwordx2 v[22:23], v[16:17], off
	v_mov_b32_e32 v17, s51
	s_mov_b64 s[28:29], 0
	s_waitcnt vmcnt(1)
	v_subrev_co_u32_e32 v16, vcc, s50, v18
	v_lshl_add_u32 v20, v16, 3, v16
	v_subb_co_u32_e32 v17, vcc, v19, v17, vcc
	v_and_b32_e32 v20, 15, v20
	s_waitcnt vmcnt(0)
	v_mul_f64 v[18:19], v[14:15], v[22:23]
	s_branch .LBB112_18
.LBB112_17:                             ;   in Loop: Header=BB112_18 Depth=3
	s_or_b64 exec, exec, s[40:41]
	s_xor_b64 s[40:41], s[42:43], -1
	s_and_b64 s[40:41], exec, s[40:41]
	s_or_b64 s[28:29], s[40:41], s[28:29]
	s_andn2_b64 exec, exec, s[28:29]
	s_cbranch_execz .LBB112_15
.LBB112_18:                             ;   Parent Loop BB112_13 Depth=1
                                        ;     Parent Loop BB112_16 Depth=2
                                        ; =>    This Inner Loop Header: Depth=3
	v_lshl_add_u32 v31, v20, 3, v25
	ds_read_b64 v[22:23], v31
                                        ; implicit-def: $sgpr42_sgpr43
	s_waitcnt lgkmcnt(0)
	v_cmp_ne_u64_e32 vcc, v[22:23], v[16:17]
	s_and_saveexec_b64 s[40:41], vcc
	s_xor_b64 s[40:41], exec, s[40:41]
	s_cbranch_execz .LBB112_26
; %bb.19:                               ;   in Loop: Header=BB112_18 Depth=3
	v_cmp_ne_u64_e32 vcc, s[30:31], v[22:23]
                                        ; implicit-def: $sgpr42_sgpr43
	s_and_saveexec_b64 s[44:45], vcc
	s_xor_b64 s[44:45], exec, s[44:45]
; %bb.20:                               ;   in Loop: Header=BB112_18 Depth=3
	v_add_u32_e32 v20, 1, v20
	v_and_b32_e32 v20, 15, v20
	s_mov_b64 s[42:43], -1
                                        ; implicit-def: $vgpr31
; %bb.21:                               ;   in Loop: Header=BB112_18 Depth=3
	s_andn2_saveexec_b64 s[44:45], s[44:45]
	s_cbranch_execz .LBB112_25
; %bb.22:                               ;   in Loop: Header=BB112_18 Depth=3
	v_pk_mov_b32 v[22:23], s[30:31], s[30:31] op_sel:[0,1]
	ds_cmpst_rtn_b64 v[22:23], v31, v[22:23], v[16:17]
	s_mov_b64 s[46:47], -1
	s_waitcnt lgkmcnt(0)
	v_cmp_eq_u64_e32 vcc, s[30:31], v[22:23]
	s_and_saveexec_b64 s[48:49], vcc
	s_cbranch_execz .LBB112_24
; %bb.23:                               ;   in Loop: Header=BB112_18 Depth=3
	v_lshl_add_u32 v22, v20, 3, v26
	ds_add_f64 v22, v[18:19]
	s_xor_b64 s[46:47], exec, -1
.LBB112_24:                             ;   in Loop: Header=BB112_18 Depth=3
	s_or_b64 exec, exec, s[48:49]
	s_andn2_b64 s[42:43], s[42:43], exec
	s_and_b64 s[46:47], s[46:47], exec
	s_or_b64 s[42:43], s[42:43], s[46:47]
.LBB112_25:                             ;   in Loop: Header=BB112_18 Depth=3
	s_or_b64 exec, exec, s[44:45]
	s_and_b64 s[42:43], s[42:43], exec
.LBB112_26:                             ;   in Loop: Header=BB112_18 Depth=3
	s_andn2_saveexec_b64 s[40:41], s[40:41]
	s_cbranch_execz .LBB112_17
; %bb.27:                               ;   in Loop: Header=BB112_18 Depth=3
	v_lshl_add_u32 v22, v20, 3, v26
	ds_add_f64 v22, v[18:19]
	s_andn2_b64 s[42:43], s[42:43], exec
	s_branch .LBB112_17
.LBB112_28:
	s_or_b64 exec, exec, s[4:5]
.LBB112_29:
	s_andn2_b64 vcc, exec, s[34:35]
	s_cbranch_vccnz .LBB112_46
; %bb.30:
	v_mov_b32_e32 v1, s9
	v_add_co_u32_e32 v0, vcc, s8, v6
	v_addc_co_u32_e32 v1, vcc, v1, v7, vcc
	global_load_dwordx4 v[8:11], v[0:1], off
	v_subrev_co_u32_e32 v2, vcc, s3, v27
	v_subb_co_u32_e64 v3, s[0:1], 0, 0, vcc
	s_mov_b32 s6, 0
	s_waitcnt vmcnt(0)
	v_subrev_co_u32_e32 v0, vcc, s3, v10
	v_subbrev_co_u32_e32 v1, vcc, 0, v11, vcc
	v_add_co_u32_e32 v2, vcc, v8, v2
	v_addc_co_u32_e32 v3, vcc, v9, v3, vcc
	v_cmp_lt_i64_e32 vcc, v[2:3], v[0:1]
	s_and_saveexec_b64 s[0:1], vcc
	s_cbranch_execz .LBB112_45
; %bb.31:
	s_mov_b32 s28, s3
	s_mov_b64 s[4:5], 0
	v_mov_b32_e32 v13, s11
	v_mov_b32_e32 v16, s6
	;; [unrolled: 1-line block ×3, first 2 shown]
	s_branch .LBB112_33
.LBB112_32:                             ;   in Loop: Header=BB112_33 Depth=1
	s_or_b64 exec, exec, s[6:7]
	v_add_co_u32_e32 v2, vcc, 8, v2
	v_addc_co_u32_e32 v3, vcc, 0, v3, vcc
	v_cmp_ge_i64_e32 vcc, v[2:3], v[0:1]
	s_or_b64 s[4:5], vcc, s[4:5]
	s_andn2_b64 exec, exec, s[4:5]
	s_cbranch_execz .LBB112_45
.LBB112_33:                             ; =>This Loop Header: Depth=1
                                        ;     Child Loop BB112_35 Depth 2
	v_lshlrev_b64 v[8:9], 3, v[2:3]
	v_add_co_u32_e32 v10, vcc, s10, v8
	v_addc_co_u32_e32 v11, vcc, v13, v9, vcc
	global_load_dwordx2 v[10:11], v[10:11], off
	v_add_co_u32_e32 v8, vcc, s12, v8
	v_addc_co_u32_e32 v9, vcc, v17, v9, vcc
	global_load_dwordx2 v[14:15], v[8:9], off
	s_mov_b64 s[6:7], 0
	s_waitcnt vmcnt(1)
	v_subrev_co_u32_e32 v8, vcc, s28, v10
	v_lshl_add_u32 v12, v8, 3, v8
	v_subb_co_u32_e32 v9, vcc, v11, v16, vcc
	s_waitcnt vmcnt(0)
	v_mul_f64 v[10:11], v[4:5], v[14:15]
	v_and_b32_e32 v12, 15, v12
	s_branch .LBB112_35
.LBB112_34:                             ;   in Loop: Header=BB112_35 Depth=2
	s_or_b64 exec, exec, s[8:9]
	s_xor_b64 s[8:9], s[16:17], -1
	s_and_b64 s[8:9], exec, s[8:9]
	s_or_b64 s[6:7], s[8:9], s[6:7]
	s_andn2_b64 exec, exec, s[6:7]
	s_cbranch_execz .LBB112_32
.LBB112_35:                             ;   Parent Loop BB112_33 Depth=1
                                        ; =>  This Inner Loop Header: Depth=2
	v_lshl_add_u32 v18, v12, 3, v25
	ds_read_b64 v[14:15], v18
                                        ; implicit-def: $sgpr16_sgpr17
	s_waitcnt lgkmcnt(0)
	v_cmp_ne_u64_e32 vcc, v[14:15], v[8:9]
	s_and_saveexec_b64 s[8:9], vcc
	s_xor_b64 s[8:9], exec, s[8:9]
	s_cbranch_execz .LBB112_43
; %bb.36:                               ;   in Loop: Header=BB112_35 Depth=2
	v_cmp_ne_u64_e32 vcc, s[30:31], v[14:15]
                                        ; implicit-def: $sgpr16_sgpr17
	s_and_saveexec_b64 s[18:19], vcc
	s_xor_b64 s[18:19], exec, s[18:19]
; %bb.37:                               ;   in Loop: Header=BB112_35 Depth=2
	v_add_u32_e32 v12, 1, v12
	v_and_b32_e32 v12, 15, v12
	s_mov_b64 s[16:17], -1
                                        ; implicit-def: $vgpr18
; %bb.38:                               ;   in Loop: Header=BB112_35 Depth=2
	s_andn2_saveexec_b64 s[18:19], s[18:19]
	s_cbranch_execz .LBB112_42
; %bb.39:                               ;   in Loop: Header=BB112_35 Depth=2
	v_pk_mov_b32 v[14:15], s[30:31], s[30:31] op_sel:[0,1]
	ds_cmpst_rtn_b64 v[14:15], v18, v[14:15], v[8:9]
	s_mov_b64 s[20:21], -1
	s_waitcnt lgkmcnt(0)
	v_cmp_eq_u64_e32 vcc, s[30:31], v[14:15]
	s_and_saveexec_b64 s[22:23], vcc
	s_cbranch_execz .LBB112_41
; %bb.40:                               ;   in Loop: Header=BB112_35 Depth=2
	v_lshl_add_u32 v14, v12, 3, v26
	ds_add_f64 v14, v[10:11]
	s_xor_b64 s[20:21], exec, -1
.LBB112_41:                             ;   in Loop: Header=BB112_35 Depth=2
	s_or_b64 exec, exec, s[22:23]
	s_andn2_b64 s[16:17], s[16:17], exec
	s_and_b64 s[20:21], s[20:21], exec
	s_or_b64 s[16:17], s[16:17], s[20:21]
.LBB112_42:                             ;   in Loop: Header=BB112_35 Depth=2
	s_or_b64 exec, exec, s[18:19]
	s_and_b64 s[16:17], s[16:17], exec
.LBB112_43:                             ;   in Loop: Header=BB112_35 Depth=2
	s_andn2_saveexec_b64 s[8:9], s[8:9]
	s_cbranch_execz .LBB112_34
; %bb.44:                               ;   in Loop: Header=BB112_35 Depth=2
	v_lshl_add_u32 v14, v12, 3, v26
	ds_add_f64 v14, v[10:11]
	s_andn2_b64 s[16:17], s[16:17], exec
	s_branch .LBB112_34
.LBB112_45:
	s_or_b64 exec, exec, s[0:1]
.LBB112_46:
	v_mov_b32_e32 v1, s15
	v_add_co_u32_e32 v0, vcc, s14, v6
	v_addc_co_u32_e32 v1, vcc, v1, v7, vcc
	s_waitcnt lgkmcnt(0)
	global_load_dwordx2 v[0:1], v[0:1], off
	s_mov_b32 s3, 0
	s_mov_b64 s[0:1], 0
	s_waitcnt vmcnt(0)
	v_subrev_co_u32_e32 v2, vcc, s2, v0
	v_subbrev_co_u32_e32 v3, vcc, 0, v1, vcc
	s_branch .LBB112_48
.LBB112_47:                             ;   in Loop: Header=BB112_48 Depth=1
	s_or_b64 exec, exec, s[4:5]
	v_add_co_u32_e32 v21, vcc, 8, v21
	s_xor_b64 s[4:5], vcc, -1
	s_and_b64 s[4:5], exec, s[4:5]
	s_or_b64 s[0:1], s[4:5], s[0:1]
	v_add_u32_e32 v24, 64, v24
	s_andn2_b64 exec, exec, s[0:1]
	s_cbranch_execz .LBB112_50
.LBB112_48:                             ; =>This Inner Loop Header: Depth=1
	ds_read_b64 v[0:1], v24 offset:4096
	s_waitcnt lgkmcnt(0)
	v_cmp_gt_i64_e32 vcc, s[30:31], v[0:1]
	s_and_saveexec_b64 s[4:5], vcc
	s_cbranch_execz .LBB112_47
; %bb.49:                               ;   in Loop: Header=BB112_48 Depth=1
	ds_read_b128 v[4:7], v25
	ds_read_b128 v[8:11], v25 offset:16
	ds_read_b128 v[12:15], v25 offset:32
	;; [unrolled: 1-line block ×3, first 2 shown]
	s_waitcnt lgkmcnt(3)
	v_cmp_gt_i64_e32 vcc, v[0:1], v[4:5]
	v_cndmask_b32_e64 v4, 0, 1, vcc
	v_add_co_u32_e32 v4, vcc, v2, v4
	v_addc_co_u32_e32 v5, vcc, 0, v3, vcc
	v_cmp_gt_i64_e32 vcc, v[0:1], v[6:7]
	v_cndmask_b32_e64 v6, 0, 1, vcc
	v_add_co_u32_e32 v4, vcc, v4, v6
	v_addc_co_u32_e32 v5, vcc, 0, v5, vcc
	s_waitcnt lgkmcnt(2)
	v_cmp_gt_i64_e32 vcc, v[0:1], v[8:9]
	v_cndmask_b32_e64 v6, 0, 1, vcc
	v_add_co_u32_e32 v4, vcc, v4, v6
	v_addc_co_u32_e32 v5, vcc, 0, v5, vcc
	v_cmp_gt_i64_e32 vcc, v[0:1], v[10:11]
	v_cndmask_b32_e64 v6, 0, 1, vcc
	v_add_co_u32_e32 v4, vcc, v4, v6
	v_addc_co_u32_e32 v5, vcc, 0, v5, vcc
	;; [unrolled: 9-line block ×3, first 2 shown]
	s_waitcnt lgkmcnt(0)
	v_cmp_gt_i64_e32 vcc, v[0:1], v[16:17]
	v_cndmask_b32_e64 v6, 0, 1, vcc
	v_add_co_u32_e32 v8, vcc, v4, v6
	v_addc_co_u32_e32 v9, vcc, 0, v5, vcc
	ds_read_b128 v[4:7], v25 offset:64
	v_cmp_gt_i64_e32 vcc, v[0:1], v[18:19]
	v_cndmask_b32_e64 v10, 0, 1, vcc
	v_add_co_u32_e32 v12, vcc, v8, v10
	v_addc_co_u32_e32 v13, vcc, 0, v9, vcc
	ds_read_b128 v[8:11], v25 offset:80
	s_waitcnt lgkmcnt(1)
	v_cmp_gt_i64_e32 vcc, v[0:1], v[4:5]
	v_cndmask_b32_e64 v4, 0, 1, vcc
	v_add_co_u32_e32 v4, vcc, v12, v4
	v_addc_co_u32_e32 v5, vcc, 0, v13, vcc
	v_cmp_gt_i64_e32 vcc, v[0:1], v[6:7]
	v_cndmask_b32_e64 v6, 0, 1, vcc
	v_add_co_u32_e32 v4, vcc, v4, v6
	v_addc_co_u32_e32 v5, vcc, 0, v5, vcc
	s_waitcnt lgkmcnt(0)
	v_cmp_gt_i64_e32 vcc, v[0:1], v[8:9]
	v_cndmask_b32_e64 v6, 0, 1, vcc
	v_add_co_u32_e32 v8, vcc, v4, v6
	v_addc_co_u32_e32 v9, vcc, 0, v5, vcc
	ds_read_b128 v[4:7], v25 offset:96
	v_cmp_gt_i64_e32 vcc, v[0:1], v[10:11]
	v_cndmask_b32_e64 v10, 0, 1, vcc
	v_add_co_u32_e32 v12, vcc, v8, v10
	v_addc_co_u32_e32 v13, vcc, 0, v9, vcc
	ds_read_b128 v[8:11], v25 offset:112
	s_waitcnt lgkmcnt(1)
	v_cmp_gt_i64_e32 vcc, v[0:1], v[4:5]
	v_cndmask_b32_e64 v4, 0, 1, vcc
	v_add_co_u32_e32 v4, vcc, v12, v4
	v_addc_co_u32_e32 v5, vcc, 0, v13, vcc
	v_cmp_gt_i64_e32 vcc, v[0:1], v[6:7]
	v_cndmask_b32_e64 v6, 0, 1, vcc
	v_add_co_u32_e32 v4, vcc, v4, v6
	v_addc_co_u32_e32 v5, vcc, 0, v5, vcc
	s_waitcnt lgkmcnt(0)
	v_cmp_gt_i64_e32 vcc, v[0:1], v[8:9]
	v_cndmask_b32_e64 v6, 0, 1, vcc
	v_add_co_u32_e32 v4, vcc, v4, v6
	v_addc_co_u32_e32 v5, vcc, 0, v5, vcc
	v_cmp_gt_i64_e32 vcc, v[0:1], v[10:11]
	v_cndmask_b32_e64 v6, 0, 1, vcc
	v_add_co_u32_e32 v4, vcc, v4, v6
	v_addc_co_u32_e32 v5, vcc, 0, v5, vcc
	v_mov_b32_e32 v6, s3
	v_add_co_u32_e32 v0, vcc, s2, v0
	v_addc_co_u32_e32 v1, vcc, v1, v6, vcc
	v_lshlrev_b64 v[4:5], 3, v[4:5]
	v_mov_b32_e32 v7, s25
	v_add_co_u32_e32 v6, vcc, s24, v4
	v_addc_co_u32_e32 v7, vcc, v7, v5, vcc
	global_store_dwordx2 v[6:7], v[0:1], off
	ds_read_b64 v[0:1], v24
	v_mov_b32_e32 v6, s27
	v_add_co_u32_e32 v4, vcc, s26, v4
	v_addc_co_u32_e32 v5, vcc, v6, v5, vcc
	s_waitcnt lgkmcnt(0)
	global_store_dwordx2 v[4:5], v[0:1], off
	s_branch .LBB112_47
.LBB112_50:
	s_endpgm
	.section	.rodata,"a",@progbits
	.p2align	6, 0x0
	.amdhsa_kernel _ZN9rocsparseL23csrgemm_fill_wf_per_rowILj256ELj8ELj16ELj137ElldEEvT4_S1_PKS1_S3_NS_24const_host_device_scalarIT5_EEPKT3_S3_PKS5_S9_S3_SB_S6_S9_S3_SB_S9_PS1_PS5_21rocsparse_index_base_SE_SE_SE_bbb
		.amdhsa_group_segment_fixed_size 8192
		.amdhsa_private_segment_fixed_size 0
		.amdhsa_kernarg_size 164
		.amdhsa_user_sgpr_count 6
		.amdhsa_user_sgpr_private_segment_buffer 1
		.amdhsa_user_sgpr_dispatch_ptr 0
		.amdhsa_user_sgpr_queue_ptr 0
		.amdhsa_user_sgpr_kernarg_segment_ptr 1
		.amdhsa_user_sgpr_dispatch_id 0
		.amdhsa_user_sgpr_flat_scratch_init 0
		.amdhsa_user_sgpr_kernarg_preload_length 0
		.amdhsa_user_sgpr_kernarg_preload_offset 0
		.amdhsa_user_sgpr_private_segment_size 0
		.amdhsa_uses_dynamic_stack 0
		.amdhsa_system_sgpr_private_segment_wavefront_offset 0
		.amdhsa_system_sgpr_workgroup_id_x 1
		.amdhsa_system_sgpr_workgroup_id_y 0
		.amdhsa_system_sgpr_workgroup_id_z 0
		.amdhsa_system_sgpr_workgroup_info 0
		.amdhsa_system_vgpr_workitem_id 0
		.amdhsa_next_free_vgpr 32
		.amdhsa_next_free_sgpr 52
		.amdhsa_accum_offset 32
		.amdhsa_reserve_vcc 1
		.amdhsa_reserve_flat_scratch 0
		.amdhsa_float_round_mode_32 0
		.amdhsa_float_round_mode_16_64 0
		.amdhsa_float_denorm_mode_32 3
		.amdhsa_float_denorm_mode_16_64 3
		.amdhsa_dx10_clamp 1
		.amdhsa_ieee_mode 1
		.amdhsa_fp16_overflow 0
		.amdhsa_tg_split 0
		.amdhsa_exception_fp_ieee_invalid_op 0
		.amdhsa_exception_fp_denorm_src 0
		.amdhsa_exception_fp_ieee_div_zero 0
		.amdhsa_exception_fp_ieee_overflow 0
		.amdhsa_exception_fp_ieee_underflow 0
		.amdhsa_exception_fp_ieee_inexact 0
		.amdhsa_exception_int_div_zero 0
	.end_amdhsa_kernel
	.section	.text._ZN9rocsparseL23csrgemm_fill_wf_per_rowILj256ELj8ELj16ELj137ElldEEvT4_S1_PKS1_S3_NS_24const_host_device_scalarIT5_EEPKT3_S3_PKS5_S9_S3_SB_S6_S9_S3_SB_S9_PS1_PS5_21rocsparse_index_base_SE_SE_SE_bbb,"axG",@progbits,_ZN9rocsparseL23csrgemm_fill_wf_per_rowILj256ELj8ELj16ELj137ElldEEvT4_S1_PKS1_S3_NS_24const_host_device_scalarIT5_EEPKT3_S3_PKS5_S9_S3_SB_S6_S9_S3_SB_S9_PS1_PS5_21rocsparse_index_base_SE_SE_SE_bbb,comdat
.Lfunc_end112:
	.size	_ZN9rocsparseL23csrgemm_fill_wf_per_rowILj256ELj8ELj16ELj137ElldEEvT4_S1_PKS1_S3_NS_24const_host_device_scalarIT5_EEPKT3_S3_PKS5_S9_S3_SB_S6_S9_S3_SB_S9_PS1_PS5_21rocsparse_index_base_SE_SE_SE_bbb, .Lfunc_end112-_ZN9rocsparseL23csrgemm_fill_wf_per_rowILj256ELj8ELj16ELj137ElldEEvT4_S1_PKS1_S3_NS_24const_host_device_scalarIT5_EEPKT3_S3_PKS5_S9_S3_SB_S6_S9_S3_SB_S9_PS1_PS5_21rocsparse_index_base_SE_SE_SE_bbb
                                        ; -- End function
	.section	.AMDGPU.csdata,"",@progbits
; Kernel info:
; codeLenInByte = 2040
; NumSgprs: 56
; NumVgprs: 32
; NumAgprs: 0
; TotalNumVgprs: 32
; ScratchSize: 0
; MemoryBound: 0
; FloatMode: 240
; IeeeMode: 1
; LDSByteSize: 8192 bytes/workgroup (compile time only)
; SGPRBlocks: 6
; VGPRBlocks: 3
; NumSGPRsForWavesPerEU: 56
; NumVGPRsForWavesPerEU: 32
; AccumOffset: 32
; Occupancy: 8
; WaveLimiterHint : 1
; COMPUTE_PGM_RSRC2:SCRATCH_EN: 0
; COMPUTE_PGM_RSRC2:USER_SGPR: 6
; COMPUTE_PGM_RSRC2:TRAP_HANDLER: 0
; COMPUTE_PGM_RSRC2:TGID_X_EN: 1
; COMPUTE_PGM_RSRC2:TGID_Y_EN: 0
; COMPUTE_PGM_RSRC2:TGID_Z_EN: 0
; COMPUTE_PGM_RSRC2:TIDIG_COMP_CNT: 0
; COMPUTE_PGM_RSRC3_GFX90A:ACCUM_OFFSET: 7
; COMPUTE_PGM_RSRC3_GFX90A:TG_SPLIT: 0
	.section	.text._ZN9rocsparseL23csrgemm_fill_wf_per_rowILj256ELj16ELj32ELj137ElldEEvT4_S1_PKS1_S3_NS_24const_host_device_scalarIT5_EEPKT3_S3_PKS5_S9_S3_SB_S6_S9_S3_SB_S9_PS1_PS5_21rocsparse_index_base_SE_SE_SE_bbb,"axG",@progbits,_ZN9rocsparseL23csrgemm_fill_wf_per_rowILj256ELj16ELj32ELj137ElldEEvT4_S1_PKS1_S3_NS_24const_host_device_scalarIT5_EEPKT3_S3_PKS5_S9_S3_SB_S6_S9_S3_SB_S9_PS1_PS5_21rocsparse_index_base_SE_SE_SE_bbb,comdat
	.globl	_ZN9rocsparseL23csrgemm_fill_wf_per_rowILj256ELj16ELj32ELj137ElldEEvT4_S1_PKS1_S3_NS_24const_host_device_scalarIT5_EEPKT3_S3_PKS5_S9_S3_SB_S6_S9_S3_SB_S9_PS1_PS5_21rocsparse_index_base_SE_SE_SE_bbb ; -- Begin function _ZN9rocsparseL23csrgemm_fill_wf_per_rowILj256ELj16ELj32ELj137ElldEEvT4_S1_PKS1_S3_NS_24const_host_device_scalarIT5_EEPKT3_S3_PKS5_S9_S3_SB_S6_S9_S3_SB_S9_PS1_PS5_21rocsparse_index_base_SE_SE_SE_bbb
	.p2align	8
	.type	_ZN9rocsparseL23csrgemm_fill_wf_per_rowILj256ELj16ELj32ELj137ElldEEvT4_S1_PKS1_S3_NS_24const_host_device_scalarIT5_EEPKT3_S3_PKS5_S9_S3_SB_S6_S9_S3_SB_S9_PS1_PS5_21rocsparse_index_base_SE_SE_SE_bbb,@function
_ZN9rocsparseL23csrgemm_fill_wf_per_rowILj256ELj16ELj32ELj137ElldEEvT4_S1_PKS1_S3_NS_24const_host_device_scalarIT5_EEPKT3_S3_PKS5_S9_S3_SB_S6_S9_S3_SB_S9_PS1_PS5_21rocsparse_index_base_SE_SE_SE_bbb: ; @_ZN9rocsparseL23csrgemm_fill_wf_per_rowILj256ELj16ELj32ELj137ElldEEvT4_S1_PKS1_S3_NS_24const_host_device_scalarIT5_EEPKT3_S3_PKS5_S9_S3_SB_S6_S9_S3_SB_S9_PS1_PS5_21rocsparse_index_base_SE_SE_SE_bbb
; %bb.0:
	s_load_dword s7, s[4:5], 0xa0
	s_load_dwordx4 s[0:3], s[4:5], 0x90
	s_load_dwordx2 s[8:9], s[4:5], 0x20
	s_load_dwordx2 s[28:29], s[4:5], 0x58
	s_waitcnt lgkmcnt(0)
	s_and_b32 s10, 1, s7
	s_bitcmp1_b32 s7, 16
	s_cselect_b64 s[30:31], -1, 0
	s_cmp_eq_u32 s10, 1
	s_cselect_b64 s[44:45], -1, 0
	s_and_b64 s[10:11], s[44:45], exec
	s_cselect_b32 s11, s9, 0
	s_cselect_b32 s10, s8, 0
	s_xor_b64 s[12:13], s[44:45], -1
	s_or_b64 s[12:13], s[12:13], s[30:31]
	s_and_b64 vcc, exec, s[12:13]
	v_pk_mov_b32 v[8:9], s[10:11], s[10:11] op_sel:[0,1]
	s_cbranch_vccnz .LBB113_2
; %bb.1:
	v_pk_mov_b32 v[2:3], s[8:9], s[8:9] op_sel:[0,1]
	flat_load_dwordx2 v[8:9], v[2:3]
.LBB113_2:
	s_load_dwordx4 s[24:27], s[4:5], 0x80
	s_load_dwordx8 s[8:15], s[4:5], 0x60
	s_load_dwordx4 s[36:39], s[4:5], 0x48
	s_load_dwordx4 s[40:43], s[4:5], 0x10
	s_load_dwordx8 s[16:23], s[4:5], 0x28
	s_bitcmp1_b32 s7, 8
	s_cselect_b64 s[34:35], -1, 0
	s_and_b64 s[46:47], s[34:35], exec
	s_cselect_b32 s47, s29, 0
	s_cselect_b32 s46, s28, 0
	s_xor_b64 s[48:49], s[34:35], -1
	s_or_b64 s[30:31], s[48:49], s[30:31]
	s_and_b64 vcc, exec, s[30:31]
	v_pk_mov_b32 v[4:5], s[46:47], s[46:47] op_sel:[0,1]
	s_cbranch_vccnz .LBB113_4
; %bb.3:
	v_pk_mov_b32 v[2:3], s[28:29], s[28:29] op_sel:[0,1]
	flat_load_dwordx2 v[4:5], v[2:3]
.LBB113_4:
	s_load_dwordx4 s[28:31], s[4:5], 0x0
	v_and_b32_e32 v27, 15, v0
	v_lshrrev_b32_e32 v6, 4, v0
	v_lshlrev_b32_e32 v0, 3, v27
	v_or_b32_e32 v21, -16, v27
	v_lshl_or_b32 v24, v6, 8, v0
	v_mov_b32_e32 v2, 0
	s_mov_b64 s[4:5], 0
	s_waitcnt lgkmcnt(0)
	v_pk_mov_b32 v[0:1], s[30:31], s[30:31] op_sel:[0,1]
	v_mov_b32_e32 v3, v2
	v_mov_b32_e32 v7, v24
	;; [unrolled: 1-line block ×3, first 2 shown]
.LBB113_5:                              ; =>This Inner Loop Header: Depth=1
	v_add_co_u32_e32 v10, vcc, 16, v10
	s_xor_b64 s[46:47], vcc, -1
	s_and_b64 s[46:47], exec, s[46:47]
	ds_write2st64_b64 v7, v[2:3], v[0:1] offset1:8
	s_or_b64 s[4:5], s[46:47], s[4:5]
	v_add_u32_e32 v7, 0x80, v7
	s_andn2_b64 exec, exec, s[4:5]
	s_cbranch_execnz .LBB113_5
; %bb.6:
	s_or_b64 exec, exec, s[4:5]
	s_lshl_b32 s4, s6, 4
	s_and_b32 s4, s4, 0xffffff0
	v_or_b32_e32 v0, s4, v6
	v_mov_b32_e32 v1, 0
	v_cmp_gt_i64_e32 vcc, s[28:29], v[0:1]
	s_waitcnt lgkmcnt(0)
	s_and_saveexec_b64 s[4:5], vcc
	s_cbranch_execz .LBB113_50
; %bb.7:
	s_cmp_eq_u64 s[42:43], 0
	s_cbranch_scc1 .LBB113_9
; %bb.8:
	s_load_dwordx2 s[4:5], s[40:41], 0x0
	v_lshlrev_b32_e32 v0, 3, v0
	s_waitcnt lgkmcnt(0)
	s_lshl_b64 s[4:5], s[4:5], 3
	s_add_u32 s4, s42, s4
	s_addc_u32 s5, s43, s5
	global_load_dwordx2 v[0:1], v0, s[4:5]
.LBB113_9:
	v_lshlrev_b32_e32 v26, 8, v6
	v_or_b32_e32 v25, 0x1000, v26
	s_andn2_b64 vcc, exec, s[44:45]
	s_waitcnt vmcnt(0)
	v_lshlrev_b64 v[6:7], 3, v[0:1]
	s_cbranch_vccnz .LBB113_29
; %bb.10:
	v_mov_b32_e32 v1, s17
	v_add_co_u32_e32 v0, vcc, s16, v6
	v_addc_co_u32_e32 v1, vcc, v1, v7, vcc
	global_load_dwordx4 v[0:3], v[0:1], off
	v_subrev_co_u32_e32 v12, vcc, s0, v27
	v_subb_co_u32_e64 v13, s[4:5], 0, 0, vcc
	s_mov_b32 s6, 0
	s_waitcnt vmcnt(0)
	v_subrev_co_u32_e32 v10, vcc, s0, v2
	v_subbrev_co_u32_e32 v11, vcc, 0, v3, vcc
	v_add_co_u32_e32 v12, vcc, v0, v12
	v_addc_co_u32_e32 v13, vcc, v1, v13, vcc
	v_cmp_lt_i64_e32 vcc, v[12:13], v[10:11]
	s_and_saveexec_b64 s[4:5], vcc
	s_cbranch_execz .LBB113_28
; %bb.11:
	s_mov_b32 s33, s0
	s_mov_b32 s50, s1
	;; [unrolled: 1-line block ×3, first 2 shown]
	s_mov_b64 s[0:1], 0
	v_mov_b32_e32 v28, s19
	v_mov_b32_e32 v29, s6
	;; [unrolled: 1-line block ×3, first 2 shown]
	s_branch .LBB113_13
.LBB113_12:                             ;   in Loop: Header=BB113_13 Depth=1
	s_or_b64 exec, exec, s[6:7]
	v_add_co_u32_e32 v12, vcc, 16, v12
	v_addc_co_u32_e32 v13, vcc, 0, v13, vcc
	v_cmp_ge_i64_e32 vcc, v[12:13], v[10:11]
	s_or_b64 s[0:1], vcc, s[0:1]
	s_andn2_b64 exec, exec, s[0:1]
	s_cbranch_execz .LBB113_28
.LBB113_13:                             ; =>This Loop Header: Depth=1
                                        ;     Child Loop BB113_16 Depth 2
                                        ;       Child Loop BB113_18 Depth 3
	v_lshlrev_b64 v[14:15], 3, v[12:13]
	v_add_co_u32_e32 v0, vcc, s18, v14
	v_addc_co_u32_e32 v1, vcc, v28, v15, vcc
	global_load_dwordx2 v[0:1], v[0:1], off
	s_waitcnt vmcnt(0)
	v_subrev_co_u32_e32 v0, vcc, s33, v0
	v_subb_co_u32_e32 v1, vcc, v1, v29, vcc
	v_lshlrev_b64 v[0:1], 3, v[0:1]
	v_add_co_u32_e32 v0, vcc, s22, v0
	v_addc_co_u32_e32 v1, vcc, v30, v1, vcc
	global_load_dwordx4 v[0:3], v[0:1], off
	s_waitcnt vmcnt(0)
	v_cmp_lt_i64_e32 vcc, v[0:1], v[2:3]
	s_and_saveexec_b64 s[6:7], vcc
	s_cbranch_execz .LBB113_12
; %bb.14:                               ;   in Loop: Header=BB113_13 Depth=1
	v_mov_b32_e32 v16, s21
	v_add_co_u32_e32 v14, vcc, s20, v14
	v_addc_co_u32_e32 v15, vcc, v16, v15, vcc
	global_load_dwordx2 v[14:15], v[14:15], off
	v_mov_b32_e32 v16, s51
	v_subrev_co_u32_e32 v2, vcc, s50, v2
	v_subb_co_u32_e32 v3, vcc, v3, v16, vcc
	v_subrev_co_u32_e32 v0, vcc, s50, v0
	v_subb_co_u32_e32 v1, vcc, v1, v16, vcc
	s_mov_b64 s[16:17], 0
	s_waitcnt vmcnt(0)
	v_mul_f64 v[14:15], v[8:9], v[14:15]
	s_branch .LBB113_16
.LBB113_15:                             ;   in Loop: Header=BB113_16 Depth=2
	s_or_b64 exec, exec, s[28:29]
	v_add_co_u32_e32 v0, vcc, 1, v0
	v_addc_co_u32_e32 v1, vcc, 0, v1, vcc
	v_cmp_ge_i64_e32 vcc, v[0:1], v[2:3]
	s_or_b64 s[16:17], vcc, s[16:17]
	s_andn2_b64 exec, exec, s[16:17]
	s_cbranch_execz .LBB113_12
.LBB113_16:                             ;   Parent Loop BB113_13 Depth=1
                                        ; =>  This Loop Header: Depth=2
                                        ;       Child Loop BB113_18 Depth 3
	v_lshlrev_b64 v[16:17], 3, v[0:1]
	v_mov_b32_e32 v19, s37
	v_add_co_u32_e32 v18, vcc, s36, v16
	v_addc_co_u32_e32 v19, vcc, v19, v17, vcc
	global_load_dwordx2 v[18:19], v[18:19], off
	v_mov_b32_e32 v20, s39
	v_add_co_u32_e32 v16, vcc, s38, v16
	v_addc_co_u32_e32 v17, vcc, v20, v17, vcc
	global_load_dwordx2 v[22:23], v[16:17], off
	v_mov_b32_e32 v17, s51
	s_mov_b64 s[28:29], 0
	s_waitcnt vmcnt(1)
	v_subrev_co_u32_e32 v16, vcc, s50, v18
	v_lshl_add_u32 v20, v16, 3, v16
	v_subb_co_u32_e32 v17, vcc, v19, v17, vcc
	v_and_b32_e32 v20, 31, v20
	s_waitcnt vmcnt(0)
	v_mul_f64 v[18:19], v[14:15], v[22:23]
	s_branch .LBB113_18
.LBB113_17:                             ;   in Loop: Header=BB113_18 Depth=3
	s_or_b64 exec, exec, s[40:41]
	s_xor_b64 s[40:41], s[42:43], -1
	s_and_b64 s[40:41], exec, s[40:41]
	s_or_b64 s[28:29], s[40:41], s[28:29]
	s_andn2_b64 exec, exec, s[28:29]
	s_cbranch_execz .LBB113_15
.LBB113_18:                             ;   Parent Loop BB113_13 Depth=1
                                        ;     Parent Loop BB113_16 Depth=2
                                        ; =>    This Inner Loop Header: Depth=3
	v_lshl_add_u32 v31, v20, 3, v25
	ds_read_b64 v[22:23], v31
                                        ; implicit-def: $sgpr42_sgpr43
	s_waitcnt lgkmcnt(0)
	v_cmp_ne_u64_e32 vcc, v[22:23], v[16:17]
	s_and_saveexec_b64 s[40:41], vcc
	s_xor_b64 s[40:41], exec, s[40:41]
	s_cbranch_execz .LBB113_26
; %bb.19:                               ;   in Loop: Header=BB113_18 Depth=3
	v_cmp_ne_u64_e32 vcc, s[30:31], v[22:23]
                                        ; implicit-def: $sgpr42_sgpr43
	s_and_saveexec_b64 s[44:45], vcc
	s_xor_b64 s[44:45], exec, s[44:45]
; %bb.20:                               ;   in Loop: Header=BB113_18 Depth=3
	v_add_u32_e32 v20, 1, v20
	v_and_b32_e32 v20, 31, v20
	s_mov_b64 s[42:43], -1
                                        ; implicit-def: $vgpr31
; %bb.21:                               ;   in Loop: Header=BB113_18 Depth=3
	s_andn2_saveexec_b64 s[44:45], s[44:45]
	s_cbranch_execz .LBB113_25
; %bb.22:                               ;   in Loop: Header=BB113_18 Depth=3
	v_pk_mov_b32 v[22:23], s[30:31], s[30:31] op_sel:[0,1]
	ds_cmpst_rtn_b64 v[22:23], v31, v[22:23], v[16:17]
	s_mov_b64 s[46:47], -1
	s_waitcnt lgkmcnt(0)
	v_cmp_eq_u64_e32 vcc, s[30:31], v[22:23]
	s_and_saveexec_b64 s[48:49], vcc
	s_cbranch_execz .LBB113_24
; %bb.23:                               ;   in Loop: Header=BB113_18 Depth=3
	v_lshl_add_u32 v22, v20, 3, v26
	ds_add_f64 v22, v[18:19]
	s_xor_b64 s[46:47], exec, -1
.LBB113_24:                             ;   in Loop: Header=BB113_18 Depth=3
	s_or_b64 exec, exec, s[48:49]
	s_andn2_b64 s[42:43], s[42:43], exec
	s_and_b64 s[46:47], s[46:47], exec
	s_or_b64 s[42:43], s[42:43], s[46:47]
.LBB113_25:                             ;   in Loop: Header=BB113_18 Depth=3
	s_or_b64 exec, exec, s[44:45]
	s_and_b64 s[42:43], s[42:43], exec
.LBB113_26:                             ;   in Loop: Header=BB113_18 Depth=3
	s_andn2_saveexec_b64 s[40:41], s[40:41]
	s_cbranch_execz .LBB113_17
; %bb.27:                               ;   in Loop: Header=BB113_18 Depth=3
	v_lshl_add_u32 v22, v20, 3, v26
	ds_add_f64 v22, v[18:19]
	s_andn2_b64 s[42:43], s[42:43], exec
	s_branch .LBB113_17
.LBB113_28:
	s_or_b64 exec, exec, s[4:5]
.LBB113_29:
	s_andn2_b64 vcc, exec, s[34:35]
	s_cbranch_vccnz .LBB113_46
; %bb.30:
	v_mov_b32_e32 v1, s9
	v_add_co_u32_e32 v0, vcc, s8, v6
	v_addc_co_u32_e32 v1, vcc, v1, v7, vcc
	global_load_dwordx4 v[8:11], v[0:1], off
	v_subrev_co_u32_e32 v2, vcc, s3, v27
	v_subb_co_u32_e64 v3, s[0:1], 0, 0, vcc
	s_mov_b32 s6, 0
	s_waitcnt vmcnt(0)
	v_subrev_co_u32_e32 v0, vcc, s3, v10
	v_subbrev_co_u32_e32 v1, vcc, 0, v11, vcc
	v_add_co_u32_e32 v2, vcc, v8, v2
	v_addc_co_u32_e32 v3, vcc, v9, v3, vcc
	v_cmp_lt_i64_e32 vcc, v[2:3], v[0:1]
	s_and_saveexec_b64 s[0:1], vcc
	s_cbranch_execz .LBB113_45
; %bb.31:
	s_mov_b32 s28, s3
	s_mov_b64 s[4:5], 0
	v_mov_b32_e32 v13, s11
	v_mov_b32_e32 v16, s6
	;; [unrolled: 1-line block ×3, first 2 shown]
	s_branch .LBB113_33
.LBB113_32:                             ;   in Loop: Header=BB113_33 Depth=1
	s_or_b64 exec, exec, s[6:7]
	v_add_co_u32_e32 v2, vcc, 16, v2
	v_addc_co_u32_e32 v3, vcc, 0, v3, vcc
	v_cmp_ge_i64_e32 vcc, v[2:3], v[0:1]
	s_or_b64 s[4:5], vcc, s[4:5]
	s_andn2_b64 exec, exec, s[4:5]
	s_cbranch_execz .LBB113_45
.LBB113_33:                             ; =>This Loop Header: Depth=1
                                        ;     Child Loop BB113_35 Depth 2
	v_lshlrev_b64 v[8:9], 3, v[2:3]
	v_add_co_u32_e32 v10, vcc, s10, v8
	v_addc_co_u32_e32 v11, vcc, v13, v9, vcc
	global_load_dwordx2 v[10:11], v[10:11], off
	v_add_co_u32_e32 v8, vcc, s12, v8
	v_addc_co_u32_e32 v9, vcc, v17, v9, vcc
	global_load_dwordx2 v[14:15], v[8:9], off
	s_mov_b64 s[6:7], 0
	s_waitcnt vmcnt(1)
	v_subrev_co_u32_e32 v8, vcc, s28, v10
	v_lshl_add_u32 v12, v8, 3, v8
	v_subb_co_u32_e32 v9, vcc, v11, v16, vcc
	s_waitcnt vmcnt(0)
	v_mul_f64 v[10:11], v[4:5], v[14:15]
	v_and_b32_e32 v12, 31, v12
	s_branch .LBB113_35
.LBB113_34:                             ;   in Loop: Header=BB113_35 Depth=2
	s_or_b64 exec, exec, s[8:9]
	s_xor_b64 s[8:9], s[16:17], -1
	s_and_b64 s[8:9], exec, s[8:9]
	s_or_b64 s[6:7], s[8:9], s[6:7]
	s_andn2_b64 exec, exec, s[6:7]
	s_cbranch_execz .LBB113_32
.LBB113_35:                             ;   Parent Loop BB113_33 Depth=1
                                        ; =>  This Inner Loop Header: Depth=2
	v_lshl_add_u32 v18, v12, 3, v25
	ds_read_b64 v[14:15], v18
                                        ; implicit-def: $sgpr16_sgpr17
	s_waitcnt lgkmcnt(0)
	v_cmp_ne_u64_e32 vcc, v[14:15], v[8:9]
	s_and_saveexec_b64 s[8:9], vcc
	s_xor_b64 s[8:9], exec, s[8:9]
	s_cbranch_execz .LBB113_43
; %bb.36:                               ;   in Loop: Header=BB113_35 Depth=2
	v_cmp_ne_u64_e32 vcc, s[30:31], v[14:15]
                                        ; implicit-def: $sgpr16_sgpr17
	s_and_saveexec_b64 s[18:19], vcc
	s_xor_b64 s[18:19], exec, s[18:19]
; %bb.37:                               ;   in Loop: Header=BB113_35 Depth=2
	v_add_u32_e32 v12, 1, v12
	v_and_b32_e32 v12, 31, v12
	s_mov_b64 s[16:17], -1
                                        ; implicit-def: $vgpr18
; %bb.38:                               ;   in Loop: Header=BB113_35 Depth=2
	s_andn2_saveexec_b64 s[18:19], s[18:19]
	s_cbranch_execz .LBB113_42
; %bb.39:                               ;   in Loop: Header=BB113_35 Depth=2
	v_pk_mov_b32 v[14:15], s[30:31], s[30:31] op_sel:[0,1]
	ds_cmpst_rtn_b64 v[14:15], v18, v[14:15], v[8:9]
	s_mov_b64 s[20:21], -1
	s_waitcnt lgkmcnt(0)
	v_cmp_eq_u64_e32 vcc, s[30:31], v[14:15]
	s_and_saveexec_b64 s[22:23], vcc
	s_cbranch_execz .LBB113_41
; %bb.40:                               ;   in Loop: Header=BB113_35 Depth=2
	v_lshl_add_u32 v14, v12, 3, v26
	ds_add_f64 v14, v[10:11]
	s_xor_b64 s[20:21], exec, -1
.LBB113_41:                             ;   in Loop: Header=BB113_35 Depth=2
	s_or_b64 exec, exec, s[22:23]
	s_andn2_b64 s[16:17], s[16:17], exec
	s_and_b64 s[20:21], s[20:21], exec
	s_or_b64 s[16:17], s[16:17], s[20:21]
.LBB113_42:                             ;   in Loop: Header=BB113_35 Depth=2
	s_or_b64 exec, exec, s[18:19]
	s_and_b64 s[16:17], s[16:17], exec
.LBB113_43:                             ;   in Loop: Header=BB113_35 Depth=2
	s_andn2_saveexec_b64 s[8:9], s[8:9]
	s_cbranch_execz .LBB113_34
; %bb.44:                               ;   in Loop: Header=BB113_35 Depth=2
	v_lshl_add_u32 v14, v12, 3, v26
	ds_add_f64 v14, v[10:11]
	s_andn2_b64 s[16:17], s[16:17], exec
	s_branch .LBB113_34
.LBB113_45:
	s_or_b64 exec, exec, s[0:1]
.LBB113_46:
	v_mov_b32_e32 v1, s15
	v_add_co_u32_e32 v0, vcc, s14, v6
	v_addc_co_u32_e32 v1, vcc, v1, v7, vcc
	s_waitcnt lgkmcnt(0)
	global_load_dwordx2 v[0:1], v[0:1], off
	s_mov_b32 s3, 0
	s_mov_b64 s[0:1], 0
	s_waitcnt vmcnt(0)
	v_subrev_co_u32_e32 v2, vcc, s2, v0
	v_subbrev_co_u32_e32 v3, vcc, 0, v1, vcc
	s_branch .LBB113_48
.LBB113_47:                             ;   in Loop: Header=BB113_48 Depth=1
	s_or_b64 exec, exec, s[4:5]
	v_add_co_u32_e32 v21, vcc, 16, v21
	s_xor_b64 s[4:5], vcc, -1
	s_and_b64 s[4:5], exec, s[4:5]
	s_or_b64 s[0:1], s[4:5], s[0:1]
	v_add_u32_e32 v24, 0x80, v24
	s_andn2_b64 exec, exec, s[0:1]
	s_cbranch_execz .LBB113_50
.LBB113_48:                             ; =>This Inner Loop Header: Depth=1
	ds_read_b64 v[0:1], v24 offset:4096
	s_waitcnt lgkmcnt(0)
	v_cmp_gt_i64_e32 vcc, s[30:31], v[0:1]
	s_and_saveexec_b64 s[4:5], vcc
	s_cbranch_execz .LBB113_47
; %bb.49:                               ;   in Loop: Header=BB113_48 Depth=1
	ds_read_b128 v[4:7], v25
	ds_read_b128 v[8:11], v25 offset:16
	ds_read_b128 v[12:15], v25 offset:32
	;; [unrolled: 1-line block ×3, first 2 shown]
	s_waitcnt lgkmcnt(3)
	v_cmp_gt_i64_e32 vcc, v[0:1], v[4:5]
	v_cndmask_b32_e64 v4, 0, 1, vcc
	v_add_co_u32_e32 v4, vcc, v2, v4
	v_addc_co_u32_e32 v5, vcc, 0, v3, vcc
	v_cmp_gt_i64_e32 vcc, v[0:1], v[6:7]
	v_cndmask_b32_e64 v6, 0, 1, vcc
	v_add_co_u32_e32 v4, vcc, v4, v6
	v_addc_co_u32_e32 v5, vcc, 0, v5, vcc
	s_waitcnt lgkmcnt(2)
	v_cmp_gt_i64_e32 vcc, v[0:1], v[8:9]
	v_cndmask_b32_e64 v6, 0, 1, vcc
	v_add_co_u32_e32 v4, vcc, v4, v6
	v_addc_co_u32_e32 v5, vcc, 0, v5, vcc
	v_cmp_gt_i64_e32 vcc, v[0:1], v[10:11]
	v_cndmask_b32_e64 v6, 0, 1, vcc
	v_add_co_u32_e32 v4, vcc, v4, v6
	v_addc_co_u32_e32 v5, vcc, 0, v5, vcc
	;; [unrolled: 9-line block ×3, first 2 shown]
	s_waitcnt lgkmcnt(0)
	v_cmp_gt_i64_e32 vcc, v[0:1], v[16:17]
	v_cndmask_b32_e64 v6, 0, 1, vcc
	v_add_co_u32_e32 v8, vcc, v4, v6
	v_addc_co_u32_e32 v9, vcc, 0, v5, vcc
	ds_read_b128 v[4:7], v25 offset:64
	v_cmp_gt_i64_e32 vcc, v[0:1], v[18:19]
	v_cndmask_b32_e64 v10, 0, 1, vcc
	v_add_co_u32_e32 v12, vcc, v8, v10
	v_addc_co_u32_e32 v13, vcc, 0, v9, vcc
	ds_read_b128 v[8:11], v25 offset:80
	s_waitcnt lgkmcnt(1)
	v_cmp_gt_i64_e32 vcc, v[0:1], v[4:5]
	v_cndmask_b32_e64 v4, 0, 1, vcc
	v_add_co_u32_e32 v4, vcc, v12, v4
	v_addc_co_u32_e32 v5, vcc, 0, v13, vcc
	v_cmp_gt_i64_e32 vcc, v[0:1], v[6:7]
	v_cndmask_b32_e64 v6, 0, 1, vcc
	v_add_co_u32_e32 v4, vcc, v4, v6
	v_addc_co_u32_e32 v5, vcc, 0, v5, vcc
	s_waitcnt lgkmcnt(0)
	v_cmp_gt_i64_e32 vcc, v[0:1], v[8:9]
	v_cndmask_b32_e64 v6, 0, 1, vcc
	v_add_co_u32_e32 v8, vcc, v4, v6
	v_addc_co_u32_e32 v9, vcc, 0, v5, vcc
	ds_read_b128 v[4:7], v25 offset:96
	v_cmp_gt_i64_e32 vcc, v[0:1], v[10:11]
	v_cndmask_b32_e64 v10, 0, 1, vcc
	v_add_co_u32_e32 v12, vcc, v8, v10
	v_addc_co_u32_e32 v13, vcc, 0, v9, vcc
	ds_read_b128 v[8:11], v25 offset:112
	s_waitcnt lgkmcnt(1)
	v_cmp_gt_i64_e32 vcc, v[0:1], v[4:5]
	v_cndmask_b32_e64 v4, 0, 1, vcc
	v_add_co_u32_e32 v4, vcc, v12, v4
	v_addc_co_u32_e32 v5, vcc, 0, v13, vcc
	v_cmp_gt_i64_e32 vcc, v[0:1], v[6:7]
	v_cndmask_b32_e64 v6, 0, 1, vcc
	v_add_co_u32_e32 v4, vcc, v4, v6
	v_addc_co_u32_e32 v5, vcc, 0, v5, vcc
	s_waitcnt lgkmcnt(0)
	v_cmp_gt_i64_e32 vcc, v[0:1], v[8:9]
	v_cndmask_b32_e64 v6, 0, 1, vcc
	v_add_co_u32_e32 v8, vcc, v4, v6
	v_addc_co_u32_e32 v9, vcc, 0, v5, vcc
	ds_read_b128 v[4:7], v25 offset:128
	v_cmp_gt_i64_e32 vcc, v[0:1], v[10:11]
	v_cndmask_b32_e64 v10, 0, 1, vcc
	v_add_co_u32_e32 v12, vcc, v8, v10
	v_addc_co_u32_e32 v13, vcc, 0, v9, vcc
	ds_read_b128 v[8:11], v25 offset:144
	s_waitcnt lgkmcnt(1)
	v_cmp_gt_i64_e32 vcc, v[0:1], v[4:5]
	v_cndmask_b32_e64 v4, 0, 1, vcc
	v_add_co_u32_e32 v4, vcc, v12, v4
	v_addc_co_u32_e32 v5, vcc, 0, v13, vcc
	v_cmp_gt_i64_e32 vcc, v[0:1], v[6:7]
	v_cndmask_b32_e64 v6, 0, 1, vcc
	v_add_co_u32_e32 v4, vcc, v4, v6
	v_addc_co_u32_e32 v5, vcc, 0, v5, vcc
	s_waitcnt lgkmcnt(0)
	v_cmp_gt_i64_e32 vcc, v[0:1], v[8:9]
	v_cndmask_b32_e64 v6, 0, 1, vcc
	v_add_co_u32_e32 v8, vcc, v4, v6
	v_addc_co_u32_e32 v9, vcc, 0, v5, vcc
	ds_read_b128 v[4:7], v25 offset:160
	v_cmp_gt_i64_e32 vcc, v[0:1], v[10:11]
	v_cndmask_b32_e64 v10, 0, 1, vcc
	v_add_co_u32_e32 v12, vcc, v8, v10
	v_addc_co_u32_e32 v13, vcc, 0, v9, vcc
	ds_read_b128 v[8:11], v25 offset:176
	s_waitcnt lgkmcnt(1)
	v_cmp_gt_i64_e32 vcc, v[0:1], v[4:5]
	v_cndmask_b32_e64 v4, 0, 1, vcc
	v_add_co_u32_e32 v4, vcc, v12, v4
	v_addc_co_u32_e32 v5, vcc, 0, v13, vcc
	v_cmp_gt_i64_e32 vcc, v[0:1], v[6:7]
	v_cndmask_b32_e64 v6, 0, 1, vcc
	v_add_co_u32_e32 v4, vcc, v4, v6
	v_addc_co_u32_e32 v5, vcc, 0, v5, vcc
	s_waitcnt lgkmcnt(0)
	v_cmp_gt_i64_e32 vcc, v[0:1], v[8:9]
	v_cndmask_b32_e64 v6, 0, 1, vcc
	v_add_co_u32_e32 v8, vcc, v4, v6
	v_addc_co_u32_e32 v9, vcc, 0, v5, vcc
	ds_read_b128 v[4:7], v25 offset:192
	v_cmp_gt_i64_e32 vcc, v[0:1], v[10:11]
	v_cndmask_b32_e64 v10, 0, 1, vcc
	v_add_co_u32_e32 v12, vcc, v8, v10
	v_addc_co_u32_e32 v13, vcc, 0, v9, vcc
	ds_read_b128 v[8:11], v25 offset:208
	s_waitcnt lgkmcnt(1)
	v_cmp_gt_i64_e32 vcc, v[0:1], v[4:5]
	v_cndmask_b32_e64 v4, 0, 1, vcc
	v_add_co_u32_e32 v4, vcc, v12, v4
	v_addc_co_u32_e32 v5, vcc, 0, v13, vcc
	v_cmp_gt_i64_e32 vcc, v[0:1], v[6:7]
	v_cndmask_b32_e64 v6, 0, 1, vcc
	v_add_co_u32_e32 v4, vcc, v4, v6
	v_addc_co_u32_e32 v5, vcc, 0, v5, vcc
	s_waitcnt lgkmcnt(0)
	v_cmp_gt_i64_e32 vcc, v[0:1], v[8:9]
	v_cndmask_b32_e64 v6, 0, 1, vcc
	v_add_co_u32_e32 v8, vcc, v4, v6
	v_addc_co_u32_e32 v9, vcc, 0, v5, vcc
	ds_read_b128 v[4:7], v25 offset:224
	v_cmp_gt_i64_e32 vcc, v[0:1], v[10:11]
	v_cndmask_b32_e64 v10, 0, 1, vcc
	v_add_co_u32_e32 v12, vcc, v8, v10
	v_addc_co_u32_e32 v13, vcc, 0, v9, vcc
	ds_read_b128 v[8:11], v25 offset:240
	s_waitcnt lgkmcnt(1)
	v_cmp_gt_i64_e32 vcc, v[0:1], v[4:5]
	v_cndmask_b32_e64 v4, 0, 1, vcc
	v_add_co_u32_e32 v4, vcc, v12, v4
	v_addc_co_u32_e32 v5, vcc, 0, v13, vcc
	v_cmp_gt_i64_e32 vcc, v[0:1], v[6:7]
	v_cndmask_b32_e64 v6, 0, 1, vcc
	v_add_co_u32_e32 v4, vcc, v4, v6
	v_addc_co_u32_e32 v5, vcc, 0, v5, vcc
	s_waitcnt lgkmcnt(0)
	v_cmp_gt_i64_e32 vcc, v[0:1], v[8:9]
	v_cndmask_b32_e64 v6, 0, 1, vcc
	v_add_co_u32_e32 v4, vcc, v4, v6
	v_addc_co_u32_e32 v5, vcc, 0, v5, vcc
	v_cmp_gt_i64_e32 vcc, v[0:1], v[10:11]
	v_cndmask_b32_e64 v6, 0, 1, vcc
	v_add_co_u32_e32 v4, vcc, v4, v6
	v_addc_co_u32_e32 v5, vcc, 0, v5, vcc
	v_mov_b32_e32 v6, s3
	v_add_co_u32_e32 v0, vcc, s2, v0
	v_addc_co_u32_e32 v1, vcc, v1, v6, vcc
	v_lshlrev_b64 v[4:5], 3, v[4:5]
	v_mov_b32_e32 v7, s25
	v_add_co_u32_e32 v6, vcc, s24, v4
	v_addc_co_u32_e32 v7, vcc, v7, v5, vcc
	global_store_dwordx2 v[6:7], v[0:1], off
	ds_read_b64 v[0:1], v24
	v_mov_b32_e32 v6, s27
	v_add_co_u32_e32 v4, vcc, s26, v4
	v_addc_co_u32_e32 v5, vcc, v6, v5, vcc
	s_waitcnt lgkmcnt(0)
	global_store_dwordx2 v[4:5], v[0:1], off
	s_branch .LBB113_47
.LBB113_50:
	s_endpgm
	.section	.rodata,"a",@progbits
	.p2align	6, 0x0
	.amdhsa_kernel _ZN9rocsparseL23csrgemm_fill_wf_per_rowILj256ELj16ELj32ELj137ElldEEvT4_S1_PKS1_S3_NS_24const_host_device_scalarIT5_EEPKT3_S3_PKS5_S9_S3_SB_S6_S9_S3_SB_S9_PS1_PS5_21rocsparse_index_base_SE_SE_SE_bbb
		.amdhsa_group_segment_fixed_size 8192
		.amdhsa_private_segment_fixed_size 0
		.amdhsa_kernarg_size 164
		.amdhsa_user_sgpr_count 6
		.amdhsa_user_sgpr_private_segment_buffer 1
		.amdhsa_user_sgpr_dispatch_ptr 0
		.amdhsa_user_sgpr_queue_ptr 0
		.amdhsa_user_sgpr_kernarg_segment_ptr 1
		.amdhsa_user_sgpr_dispatch_id 0
		.amdhsa_user_sgpr_flat_scratch_init 0
		.amdhsa_user_sgpr_kernarg_preload_length 0
		.amdhsa_user_sgpr_kernarg_preload_offset 0
		.amdhsa_user_sgpr_private_segment_size 0
		.amdhsa_uses_dynamic_stack 0
		.amdhsa_system_sgpr_private_segment_wavefront_offset 0
		.amdhsa_system_sgpr_workgroup_id_x 1
		.amdhsa_system_sgpr_workgroup_id_y 0
		.amdhsa_system_sgpr_workgroup_id_z 0
		.amdhsa_system_sgpr_workgroup_info 0
		.amdhsa_system_vgpr_workitem_id 0
		.amdhsa_next_free_vgpr 32
		.amdhsa_next_free_sgpr 52
		.amdhsa_accum_offset 32
		.amdhsa_reserve_vcc 1
		.amdhsa_reserve_flat_scratch 0
		.amdhsa_float_round_mode_32 0
		.amdhsa_float_round_mode_16_64 0
		.amdhsa_float_denorm_mode_32 3
		.amdhsa_float_denorm_mode_16_64 3
		.amdhsa_dx10_clamp 1
		.amdhsa_ieee_mode 1
		.amdhsa_fp16_overflow 0
		.amdhsa_tg_split 0
		.amdhsa_exception_fp_ieee_invalid_op 0
		.amdhsa_exception_fp_denorm_src 0
		.amdhsa_exception_fp_ieee_div_zero 0
		.amdhsa_exception_fp_ieee_overflow 0
		.amdhsa_exception_fp_ieee_underflow 0
		.amdhsa_exception_fp_ieee_inexact 0
		.amdhsa_exception_int_div_zero 0
	.end_amdhsa_kernel
	.section	.text._ZN9rocsparseL23csrgemm_fill_wf_per_rowILj256ELj16ELj32ELj137ElldEEvT4_S1_PKS1_S3_NS_24const_host_device_scalarIT5_EEPKT3_S3_PKS5_S9_S3_SB_S6_S9_S3_SB_S9_PS1_PS5_21rocsparse_index_base_SE_SE_SE_bbb,"axG",@progbits,_ZN9rocsparseL23csrgemm_fill_wf_per_rowILj256ELj16ELj32ELj137ElldEEvT4_S1_PKS1_S3_NS_24const_host_device_scalarIT5_EEPKT3_S3_PKS5_S9_S3_SB_S6_S9_S3_SB_S9_PS1_PS5_21rocsparse_index_base_SE_SE_SE_bbb,comdat
.Lfunc_end113:
	.size	_ZN9rocsparseL23csrgemm_fill_wf_per_rowILj256ELj16ELj32ELj137ElldEEvT4_S1_PKS1_S3_NS_24const_host_device_scalarIT5_EEPKT3_S3_PKS5_S9_S3_SB_S6_S9_S3_SB_S9_PS1_PS5_21rocsparse_index_base_SE_SE_SE_bbb, .Lfunc_end113-_ZN9rocsparseL23csrgemm_fill_wf_per_rowILj256ELj16ELj32ELj137ElldEEvT4_S1_PKS1_S3_NS_24const_host_device_scalarIT5_EEPKT3_S3_PKS5_S9_S3_SB_S6_S9_S3_SB_S9_PS1_PS5_21rocsparse_index_base_SE_SE_SE_bbb
                                        ; -- End function
	.section	.AMDGPU.csdata,"",@progbits
; Kernel info:
; codeLenInByte = 2464
; NumSgprs: 56
; NumVgprs: 32
; NumAgprs: 0
; TotalNumVgprs: 32
; ScratchSize: 0
; MemoryBound: 0
; FloatMode: 240
; IeeeMode: 1
; LDSByteSize: 8192 bytes/workgroup (compile time only)
; SGPRBlocks: 6
; VGPRBlocks: 3
; NumSGPRsForWavesPerEU: 56
; NumVGPRsForWavesPerEU: 32
; AccumOffset: 32
; Occupancy: 8
; WaveLimiterHint : 1
; COMPUTE_PGM_RSRC2:SCRATCH_EN: 0
; COMPUTE_PGM_RSRC2:USER_SGPR: 6
; COMPUTE_PGM_RSRC2:TRAP_HANDLER: 0
; COMPUTE_PGM_RSRC2:TGID_X_EN: 1
; COMPUTE_PGM_RSRC2:TGID_Y_EN: 0
; COMPUTE_PGM_RSRC2:TGID_Z_EN: 0
; COMPUTE_PGM_RSRC2:TIDIG_COMP_CNT: 0
; COMPUTE_PGM_RSRC3_GFX90A:ACCUM_OFFSET: 7
; COMPUTE_PGM_RSRC3_GFX90A:TG_SPLIT: 0
	.section	.text._ZN9rocsparseL26csrgemm_fill_block_per_rowILj128ELj16ELj256ELj137ELj32ElldEEvT5_PKS1_S3_NS_24const_host_device_scalarIT6_EEPKT4_S3_PKS5_S9_S3_SB_S6_S9_S3_SB_S9_PS1_PS5_21rocsparse_index_base_SE_SE_SE_bbb,"axG",@progbits,_ZN9rocsparseL26csrgemm_fill_block_per_rowILj128ELj16ELj256ELj137ELj32ElldEEvT5_PKS1_S3_NS_24const_host_device_scalarIT6_EEPKT4_S3_PKS5_S9_S3_SB_S6_S9_S3_SB_S9_PS1_PS5_21rocsparse_index_base_SE_SE_SE_bbb,comdat
	.globl	_ZN9rocsparseL26csrgemm_fill_block_per_rowILj128ELj16ELj256ELj137ELj32ElldEEvT5_PKS1_S3_NS_24const_host_device_scalarIT6_EEPKT4_S3_PKS5_S9_S3_SB_S6_S9_S3_SB_S9_PS1_PS5_21rocsparse_index_base_SE_SE_SE_bbb ; -- Begin function _ZN9rocsparseL26csrgemm_fill_block_per_rowILj128ELj16ELj256ELj137ELj32ElldEEvT5_PKS1_S3_NS_24const_host_device_scalarIT6_EEPKT4_S3_PKS5_S9_S3_SB_S6_S9_S3_SB_S9_PS1_PS5_21rocsparse_index_base_SE_SE_SE_bbb
	.p2align	8
	.type	_ZN9rocsparseL26csrgemm_fill_block_per_rowILj128ELj16ELj256ELj137ELj32ElldEEvT5_PKS1_S3_NS_24const_host_device_scalarIT6_EEPKT4_S3_PKS5_S9_S3_SB_S6_S9_S3_SB_S9_PS1_PS5_21rocsparse_index_base_SE_SE_SE_bbb,@function
_ZN9rocsparseL26csrgemm_fill_block_per_rowILj128ELj16ELj256ELj137ELj32ElldEEvT5_PKS1_S3_NS_24const_host_device_scalarIT6_EEPKT4_S3_PKS5_S9_S3_SB_S6_S9_S3_SB_S9_PS1_PS5_21rocsparse_index_base_SE_SE_SE_bbb: ; @_ZN9rocsparseL26csrgemm_fill_block_per_rowILj128ELj16ELj256ELj137ELj32ElldEEvT5_PKS1_S3_NS_24const_host_device_scalarIT6_EEPKT4_S3_PKS5_S9_S3_SB_S6_S9_S3_SB_S9_PS1_PS5_21rocsparse_index_base_SE_SE_SE_bbb
; %bb.0:
	s_load_dword s7, s[4:5], 0x98
	s_load_dwordx2 s[2:3], s[4:5], 0x18
	s_load_dwordx2 s[0:1], s[4:5], 0x50
	s_waitcnt lgkmcnt(0)
	s_and_b32 s10, 1, s7
	s_bitcmp1_b32 s7, 16
	s_cselect_b64 s[8:9], -1, 0
	s_cmp_eq_u32 s10, 1
	s_cselect_b64 s[44:45], -1, 0
	s_and_b64 s[10:11], s[44:45], exec
	s_cselect_b32 s11, s3, 0
	s_cselect_b32 s10, s2, 0
	s_xor_b64 s[12:13], s[44:45], -1
	s_or_b64 s[12:13], s[12:13], s[8:9]
	s_and_b64 vcc, exec, s[12:13]
	v_pk_mov_b32 v[4:5], s[10:11], s[10:11] op_sel:[0,1]
	s_cbranch_vccnz .LBB114_2
; %bb.1:
	v_pk_mov_b32 v[2:3], s[2:3], s[2:3] op_sel:[0,1]
	flat_load_dwordx2 v[4:5], v[2:3]
.LBB114_2:
	s_bitcmp1_b32 s7, 8
	s_load_dwordx4 s[24:27], s[4:5], 0x88
	s_cselect_b64 s[2:3], -1, 0
	s_and_b64 s[10:11], s[2:3], exec
	s_cselect_b32 s11, s1, 0
	s_cselect_b32 s10, s0, 0
	s_xor_b64 s[12:13], s[2:3], -1
	s_or_b64 s[8:9], s[12:13], s[8:9]
	s_and_b64 vcc, exec, s[8:9]
	v_pk_mov_b32 v[2:3], s[10:11], s[10:11] op_sel:[0,1]
	s_cbranch_vccnz .LBB114_4
; %bb.3:
	v_pk_mov_b32 v[2:3], s[0:1], s[0:1] op_sel:[0,1]
	flat_load_dwordx2 v[2:3], v[2:3]
.LBB114_4:
	s_load_dwordx4 s[28:31], s[4:5], 0x78
	s_load_dwordx8 s[8:15], s[4:5], 0x58
	s_load_dwordx4 s[40:43], s[4:5], 0x40
	s_load_dwordx4 s[36:39], s[4:5], 0x0
	s_load_dwordx2 s[34:35], s[4:5], 0x10
	s_load_dwordx8 s[16:23], s[4:5], 0x20
	s_movk_i32 s0, 0x100
	v_cmp_gt_u32_e64 s[0:1], s0, v0
	v_lshl_add_u32 v1, v0, 3, 0
	s_and_saveexec_b64 s[4:5], s[0:1]
	s_cbranch_execz .LBB114_7
; %bb.5:
	v_mov_b32_e32 v6, 0
	v_or_b32_e32 v10, 0xffffff80, v0
	v_lshl_add_u32 v11, v0, 3, 0
	s_mov_b64 s[46:47], 0
	s_waitcnt lgkmcnt(0)
	v_pk_mov_b32 v[8:9], s[36:37], s[36:37] op_sel:[0,1]
	v_mov_b32_e32 v7, v6
.LBB114_6:                              ; =>This Inner Loop Header: Depth=1
	v_add_co_u32_e32 v10, vcc, 0x80, v10
	s_xor_b64 s[48:49], vcc, -1
	s_and_b64 s[48:49], exec, s[48:49]
	ds_write2st64_b64 v11, v[8:9], v[6:7] offset1:4
	s_or_b64 s[46:47], s[48:49], s[46:47]
	v_add_u32_e32 v11, 0x400, v11
	s_andn2_b64 exec, exec, s[46:47]
	s_cbranch_execnz .LBB114_6
.LBB114_7:
	s_or_b64 exec, exec, s[4:5]
	s_waitcnt lgkmcnt(0)
	s_barrier
	s_load_dwordx2 s[4:5], s[38:39], 0x0
	s_mov_b32 s7, 0
	s_waitcnt lgkmcnt(0)
	s_lshl_b64 s[4:5], s[4:5], 3
	s_add_u32 s33, s34, s4
	s_addc_u32 s34, s35, s5
	s_lshl_b64 s[4:5], s[6:7], 3
	s_add_u32 s4, s33, s4
	s_addc_u32 s5, s34, s5
	s_load_dwordx2 s[34:35], s[4:5], 0x0
	s_and_b64 vcc, exec, s[44:45]
	s_cbranch_vccz .LBB114_27
; %bb.8:
	s_waitcnt lgkmcnt(0)
	s_lshl_b64 s[4:5], s[34:35], 3
	s_add_u32 s4, s16, s4
	s_addc_u32 s5, s17, s5
	s_load_dwordx4 s[44:47], s[4:5], 0x0
	v_lshrrev_b32_e32 v6, 4, v0
	v_subrev_co_u32_e32 v6, vcc, s24, v6
	v_subb_co_u32_e64 v7, s[16:17], 0, 0, vcc
	s_waitcnt lgkmcnt(0)
	s_sub_u32 s4, s46, s24
	v_mov_b32_e32 v8, s45
	v_add_co_u32_e32 v6, vcc, s44, v6
	s_subb_u32 s5, s47, 0
	v_addc_co_u32_e32 v7, vcc, v8, v7, vcc
	v_cmp_gt_i64_e32 vcc, s[4:5], v[6:7]
	s_and_saveexec_b64 s[16:17], vcc
	s_cbranch_execz .LBB114_26
; %bb.9:
	v_and_b32_e32 v8, 15, v0
	v_subrev_co_u32_e32 v19, vcc, s25, v8
	s_mov_b32 s33, s24
	s_mov_b32 s6, 0
	;; [unrolled: 1-line block ×3, first 2 shown]
	v_subb_co_u32_e64 v22, s[24:25], 0, 0, vcc
	s_mov_b64 s[24:25], 0
	v_mov_b32_e32 v23, s19
	v_mov_b32_e32 v24, s7
	;; [unrolled: 1-line block ×4, first 2 shown]
	s_movk_i32 s19, 0x89
	s_branch .LBB114_11
.LBB114_10:                             ;   in Loop: Header=BB114_11 Depth=1
	s_or_b64 exec, exec, s[6:7]
	v_add_co_u32_e32 v6, vcc, 8, v6
	v_addc_co_u32_e32 v7, vcc, 0, v7, vcc
	v_cmp_le_i64_e32 vcc, s[4:5], v[6:7]
	s_or_b64 s[24:25], vcc, s[24:25]
	s_andn2_b64 exec, exec, s[24:25]
	s_cbranch_execz .LBB114_26
.LBB114_11:                             ; =>This Loop Header: Depth=1
                                        ;     Child Loop BB114_14 Depth 2
                                        ;       Child Loop BB114_16 Depth 3
	v_lshlrev_b64 v[12:13], 3, v[6:7]
	v_add_co_u32_e32 v8, vcc, s18, v12
	v_addc_co_u32_e32 v9, vcc, v23, v13, vcc
	global_load_dwordx2 v[8:9], v[8:9], off
	s_waitcnt vmcnt(0)
	v_subrev_co_u32_e32 v8, vcc, s33, v8
	v_subb_co_u32_e32 v9, vcc, v9, v24, vcc
	v_lshlrev_b64 v[8:9], 3, v[8:9]
	v_add_co_u32_e32 v8, vcc, s22, v8
	v_addc_co_u32_e32 v9, vcc, v25, v9, vcc
	global_load_dwordx4 v[14:17], v[8:9], off
	s_waitcnt vmcnt(0)
	v_subrev_co_u32_e32 v8, vcc, s56, v16
	v_subb_co_u32_e32 v9, vcc, v17, v26, vcc
	v_add_co_u32_e32 v10, vcc, v14, v19
	v_addc_co_u32_e32 v11, vcc, v15, v22, vcc
	v_cmp_lt_i64_e32 vcc, v[10:11], v[8:9]
	s_and_saveexec_b64 s[6:7], vcc
	s_cbranch_execz .LBB114_10
; %bb.12:                               ;   in Loop: Header=BB114_11 Depth=1
	v_mov_b32_e32 v14, s21
	v_add_co_u32_e32 v12, vcc, s20, v12
	v_addc_co_u32_e32 v13, vcc, v14, v13, vcc
	global_load_dwordx2 v[12:13], v[12:13], off
	s_mov_b64 s[38:39], 0
	s_waitcnt vmcnt(0)
	v_mul_f64 v[12:13], v[4:5], v[12:13]
	s_branch .LBB114_14
.LBB114_13:                             ;   in Loop: Header=BB114_14 Depth=2
	s_or_b64 exec, exec, s[44:45]
	v_add_co_u32_e32 v10, vcc, 16, v10
	v_addc_co_u32_e32 v11, vcc, 0, v11, vcc
	v_cmp_ge_i64_e32 vcc, v[10:11], v[8:9]
	s_or_b64 s[38:39], vcc, s[38:39]
	s_andn2_b64 exec, exec, s[38:39]
	s_cbranch_execz .LBB114_10
.LBB114_14:                             ;   Parent Loop BB114_11 Depth=1
                                        ; =>  This Loop Header: Depth=2
                                        ;       Child Loop BB114_16 Depth 3
	v_lshlrev_b64 v[14:15], 3, v[10:11]
	v_mov_b32_e32 v17, s41
	v_add_co_u32_e32 v16, vcc, s40, v14
	v_addc_co_u32_e32 v17, vcc, v17, v15, vcc
	global_load_dwordx2 v[16:17], v[16:17], off
	v_mov_b32_e32 v18, s43
	v_add_co_u32_e32 v14, vcc, s42, v14
	v_addc_co_u32_e32 v15, vcc, v18, v15, vcc
	global_load_dwordx2 v[20:21], v[14:15], off
	s_mov_b64 s[44:45], 0
	s_waitcnt vmcnt(1)
	v_subrev_co_u32_e32 v14, vcc, s56, v16
	v_mul_lo_u32 v18, v14, s19
	v_subb_co_u32_e32 v15, vcc, v17, v26, vcc
	v_and_b32_e32 v18, 0xff, v18
	s_waitcnt vmcnt(0)
	v_mul_f64 v[16:17], v[12:13], v[20:21]
	s_branch .LBB114_16
.LBB114_15:                             ;   in Loop: Header=BB114_16 Depth=3
	s_or_b64 exec, exec, s[46:47]
	s_xor_b64 s[46:47], s[48:49], -1
	s_and_b64 s[46:47], exec, s[46:47]
	s_or_b64 s[44:45], s[46:47], s[44:45]
	s_andn2_b64 exec, exec, s[44:45]
	s_cbranch_execz .LBB114_13
.LBB114_16:                             ;   Parent Loop BB114_11 Depth=1
                                        ;     Parent Loop BB114_14 Depth=2
                                        ; =>    This Inner Loop Header: Depth=3
	v_lshl_add_u32 v27, v18, 3, 0
	ds_read_b64 v[20:21], v27
                                        ; implicit-def: $sgpr48_sgpr49
	s_waitcnt lgkmcnt(0)
	v_cmp_ne_u64_e32 vcc, v[20:21], v[14:15]
	s_and_saveexec_b64 s[46:47], vcc
	s_xor_b64 s[46:47], exec, s[46:47]
	s_cbranch_execz .LBB114_24
; %bb.17:                               ;   in Loop: Header=BB114_16 Depth=3
	v_cmp_ne_u64_e32 vcc, s[36:37], v[20:21]
                                        ; implicit-def: $sgpr48_sgpr49
	s_and_saveexec_b64 s[50:51], vcc
	s_xor_b64 s[50:51], exec, s[50:51]
; %bb.18:                               ;   in Loop: Header=BB114_16 Depth=3
	v_add_u32_e32 v18, 1, v18
	v_and_b32_e32 v18, 0xff, v18
	s_mov_b64 s[48:49], -1
                                        ; implicit-def: $vgpr27
; %bb.19:                               ;   in Loop: Header=BB114_16 Depth=3
	s_andn2_saveexec_b64 s[50:51], s[50:51]
	s_cbranch_execz .LBB114_23
; %bb.20:                               ;   in Loop: Header=BB114_16 Depth=3
	v_pk_mov_b32 v[20:21], s[36:37], s[36:37] op_sel:[0,1]
	ds_cmpst_rtn_b64 v[20:21], v27, v[20:21], v[14:15]
	s_mov_b64 s[52:53], -1
	s_waitcnt lgkmcnt(0)
	v_cmp_eq_u64_e32 vcc, s[36:37], v[20:21]
	s_and_saveexec_b64 s[54:55], vcc
	s_cbranch_execz .LBB114_22
; %bb.21:                               ;   in Loop: Header=BB114_16 Depth=3
	ds_add_f64 v27, v[16:17] offset:2048
	s_xor_b64 s[52:53], exec, -1
.LBB114_22:                             ;   in Loop: Header=BB114_16 Depth=3
	s_or_b64 exec, exec, s[54:55]
	s_andn2_b64 s[48:49], s[48:49], exec
	s_and_b64 s[52:53], s[52:53], exec
	s_or_b64 s[48:49], s[48:49], s[52:53]
.LBB114_23:                             ;   in Loop: Header=BB114_16 Depth=3
	s_or_b64 exec, exec, s[50:51]
	s_and_b64 s[48:49], s[48:49], exec
                                        ; implicit-def: $vgpr27
.LBB114_24:                             ;   in Loop: Header=BB114_16 Depth=3
	s_andn2_saveexec_b64 s[46:47], s[46:47]
	s_cbranch_execz .LBB114_15
; %bb.25:                               ;   in Loop: Header=BB114_16 Depth=3
	ds_add_f64 v27, v[16:17] offset:2048
	s_andn2_b64 s[48:49], s[48:49], exec
	s_branch .LBB114_15
.LBB114_26:
	s_or_b64 exec, exec, s[16:17]
.LBB114_27:
	s_andn2_b64 vcc, exec, s[2:3]
	s_cbranch_vccnz .LBB114_44
; %bb.28:
	s_waitcnt lgkmcnt(0)
	s_lshl_b64 s[2:3], s[34:35], 3
	s_add_u32 s2, s8, s2
	s_addc_u32 s3, s9, s3
	s_load_dwordx4 s[4:7], s[2:3], 0x0
	s_waitcnt vmcnt(0)
	v_subrev_co_u32_e32 v4, vcc, s27, v0
	s_mov_b32 s8, 0
	s_waitcnt lgkmcnt(0)
	s_sub_u32 s2, s6, s27
	s_subb_u32 s3, s7, 0
	v_subb_co_u32_e64 v5, s[6:7], 0, 0, vcc
	v_mov_b32_e32 v6, s5
	v_add_co_u32_e32 v4, vcc, s4, v4
	v_addc_co_u32_e32 v5, vcc, v6, v5, vcc
	v_cmp_gt_i64_e32 vcc, s[2:3], v[4:5]
	s_and_saveexec_b64 s[4:5], vcc
	s_cbranch_execz .LBB114_43
; %bb.29:
	s_mov_b32 s33, s27
	s_mov_b64 s[6:7], 0
	v_mov_b32_e32 v11, s11
	v_mov_b32_e32 v14, s8
	;; [unrolled: 1-line block ×3, first 2 shown]
	s_movk_i32 s11, 0x89
	s_branch .LBB114_31
.LBB114_30:                             ;   in Loop: Header=BB114_31 Depth=1
	s_or_b64 exec, exec, s[8:9]
	v_add_co_u32_e32 v4, vcc, 0x80, v4
	v_addc_co_u32_e32 v5, vcc, 0, v5, vcc
	v_cmp_le_i64_e32 vcc, s[2:3], v[4:5]
	s_or_b64 s[6:7], vcc, s[6:7]
	s_andn2_b64 exec, exec, s[6:7]
	s_cbranch_execz .LBB114_43
.LBB114_31:                             ; =>This Loop Header: Depth=1
                                        ;     Child Loop BB114_33 Depth 2
	v_lshlrev_b64 v[6:7], 3, v[4:5]
	v_add_co_u32_e32 v8, vcc, s10, v6
	v_addc_co_u32_e32 v9, vcc, v11, v7, vcc
	global_load_dwordx2 v[8:9], v[8:9], off
	v_add_co_u32_e32 v6, vcc, s12, v6
	v_addc_co_u32_e32 v7, vcc, v15, v7, vcc
	global_load_dwordx2 v[12:13], v[6:7], off
	s_mov_b64 s[8:9], 0
	s_waitcnt vmcnt(1)
	v_subrev_co_u32_e32 v6, vcc, s33, v8
	v_mul_lo_u32 v10, v6, s11
	v_subb_co_u32_e32 v7, vcc, v9, v14, vcc
	s_waitcnt vmcnt(0)
	v_mul_f64 v[8:9], v[2:3], v[12:13]
	v_and_b32_e32 v10, 0xff, v10
	s_branch .LBB114_33
.LBB114_32:                             ;   in Loop: Header=BB114_33 Depth=2
	s_or_b64 exec, exec, s[16:17]
	s_xor_b64 s[16:17], s[18:19], -1
	s_and_b64 s[16:17], exec, s[16:17]
	s_or_b64 s[8:9], s[16:17], s[8:9]
	s_andn2_b64 exec, exec, s[8:9]
	s_cbranch_execz .LBB114_30
.LBB114_33:                             ;   Parent Loop BB114_31 Depth=1
                                        ; =>  This Inner Loop Header: Depth=2
	v_lshl_add_u32 v16, v10, 3, 0
	ds_read_b64 v[12:13], v16
                                        ; implicit-def: $sgpr18_sgpr19
	s_waitcnt lgkmcnt(0)
	v_cmp_ne_u64_e32 vcc, v[12:13], v[6:7]
	s_and_saveexec_b64 s[16:17], vcc
	s_xor_b64 s[16:17], exec, s[16:17]
	s_cbranch_execz .LBB114_41
; %bb.34:                               ;   in Loop: Header=BB114_33 Depth=2
	v_cmp_ne_u64_e32 vcc, s[36:37], v[12:13]
                                        ; implicit-def: $sgpr18_sgpr19
	s_and_saveexec_b64 s[20:21], vcc
	s_xor_b64 s[20:21], exec, s[20:21]
; %bb.35:                               ;   in Loop: Header=BB114_33 Depth=2
	v_add_u32_e32 v10, 1, v10
	v_and_b32_e32 v10, 0xff, v10
	s_mov_b64 s[18:19], -1
                                        ; implicit-def: $vgpr16
; %bb.36:                               ;   in Loop: Header=BB114_33 Depth=2
	s_andn2_saveexec_b64 s[20:21], s[20:21]
	s_cbranch_execz .LBB114_40
; %bb.37:                               ;   in Loop: Header=BB114_33 Depth=2
	v_pk_mov_b32 v[12:13], s[36:37], s[36:37] op_sel:[0,1]
	ds_cmpst_rtn_b64 v[12:13], v16, v[12:13], v[6:7]
	s_mov_b64 s[22:23], -1
	s_waitcnt lgkmcnt(0)
	v_cmp_eq_u64_e32 vcc, s[36:37], v[12:13]
	s_and_saveexec_b64 s[24:25], vcc
	s_cbranch_execz .LBB114_39
; %bb.38:                               ;   in Loop: Header=BB114_33 Depth=2
	ds_add_f64 v16, v[8:9] offset:2048
	s_xor_b64 s[22:23], exec, -1
.LBB114_39:                             ;   in Loop: Header=BB114_33 Depth=2
	s_or_b64 exec, exec, s[24:25]
	s_andn2_b64 s[18:19], s[18:19], exec
	s_and_b64 s[22:23], s[22:23], exec
	s_or_b64 s[18:19], s[18:19], s[22:23]
.LBB114_40:                             ;   in Loop: Header=BB114_33 Depth=2
	s_or_b64 exec, exec, s[20:21]
	s_and_b64 s[18:19], s[18:19], exec
                                        ; implicit-def: $vgpr16
.LBB114_41:                             ;   in Loop: Header=BB114_33 Depth=2
	s_andn2_saveexec_b64 s[16:17], s[16:17]
	s_cbranch_execz .LBB114_32
; %bb.42:                               ;   in Loop: Header=BB114_33 Depth=2
	ds_add_f64 v16, v[8:9] offset:2048
	s_andn2_b64 s[18:19], s[18:19], exec
	s_branch .LBB114_32
.LBB114_43:
	s_or_b64 exec, exec, s[4:5]
.LBB114_44:
	s_waitcnt lgkmcnt(0)
	s_barrier
	s_and_saveexec_b64 s[8:9], s[0:1]
	s_cbranch_execz .LBB114_57
; %bb.45:
	s_waitcnt vmcnt(0)
	v_mbcnt_lo_u32_b32 v2, -1, 0
	v_mbcnt_hi_u32_b32 v2, -1, v2
	v_sub_u32_e32 v2, 63, v2
	v_lshrrev_b64 v[8:9], v2, -1
	v_lshrrev_b32_e32 v2, 2, v0
	v_and_b32_e32 v2, 24, v2
	s_movk_i32 s0, 0x7f
	s_movk_i32 s6, 0x5f
	v_mov_b32_e32 v7, 0
	v_add_u32_e32 v14, 0, v2
	v_cmp_eq_u32_e64 s[0:1], s0, v0
	v_cmp_lt_u32_e64 s[2:3], 31, v0
	v_cmp_lt_u32_e64 s[4:5], 63, v0
	;; [unrolled: 1-line block ×3, first 2 shown]
	v_or_b32_e32 v15, 0xffffff80, v0
	s_mov_b64 s[10:11], 0
	v_pk_mov_b32 v[10:11], 0, 0
	s_branch .LBB114_47
.LBB114_46:                             ;   in Loop: Header=BB114_47 Depth=1
	s_or_b64 exec, exec, s[12:13]
	s_waitcnt lgkmcnt(0)
	s_barrier
	ds_read_b64 v[2:3], v7 offset:4120
	v_add_u32_e32 v1, 0x400, v1
	s_waitcnt lgkmcnt(0)
	v_add_co_u32_e32 v10, vcc, v2, v10
	v_addc_co_u32_e32 v11, vcc, v3, v11, vcc
	v_add_co_u32_e32 v15, vcc, 0x80, v15
	s_xor_b64 s[12:13], vcc, -1
	s_and_b64 s[12:13], exec, s[12:13]
	s_or_b64 s[10:11], s[12:13], s[10:11]
	s_andn2_b64 exec, exec, s[10:11]
	s_cbranch_execz .LBB114_57
.LBB114_47:                             ; =>This Inner Loop Header: Depth=1
	ds_read2st64_b64 v[2:5], v1 offset1:4
	s_waitcnt lgkmcnt(0)
	s_barrier
	v_cmp_gt_i64_e32 vcc, s[36:37], v[2:3]
	v_and_b32_e32 v13, vcc_lo, v8
	s_bcnt1_i32_b64 s12, vcc
	v_and_b32_e32 v12, vcc_hi, v9
	v_bcnt_u32_b32 v13, v13, 0
	v_mov_b32_e32 v6, s12
	v_bcnt_u32_b32 v12, v12, v13
	ds_write_b64 v14, v[6:7] offset:4096
	s_waitcnt lgkmcnt(0)
	s_barrier
	s_and_saveexec_b64 s[12:13], s[2:3]
	s_cbranch_execnz .LBB114_52
; %bb.48:                               ;   in Loop: Header=BB114_47 Depth=1
	s_or_b64 exec, exec, s[12:13]
	s_and_saveexec_b64 s[12:13], s[4:5]
	s_cbranch_execnz .LBB114_53
.LBB114_49:                             ;   in Loop: Header=BB114_47 Depth=1
	s_or_b64 exec, exec, s[12:13]
	s_and_saveexec_b64 s[12:13], s[6:7]
	s_cbranch_execnz .LBB114_54
.LBB114_50:                             ;   in Loop: Header=BB114_47 Depth=1
	s_or_b64 exec, exec, s[12:13]
	v_ashrrev_i32_e32 v13, 31, v12
	s_and_saveexec_b64 s[12:13], vcc
	s_cbranch_execnz .LBB114_55
.LBB114_51:                             ;   in Loop: Header=BB114_47 Depth=1
	s_or_b64 exec, exec, s[12:13]
	s_and_saveexec_b64 s[12:13], s[0:1]
	s_cbranch_execz .LBB114_46
	s_branch .LBB114_56
.LBB114_52:                             ;   in Loop: Header=BB114_47 Depth=1
	ds_read_b32 v6, v7 offset:4096
	s_waitcnt lgkmcnt(0)
	v_add_u32_e32 v12, v6, v12
	s_or_b64 exec, exec, s[12:13]
	s_and_saveexec_b64 s[12:13], s[4:5]
	s_cbranch_execz .LBB114_49
.LBB114_53:                             ;   in Loop: Header=BB114_47 Depth=1
	ds_read_b32 v6, v7 offset:4104
	s_waitcnt lgkmcnt(0)
	v_add_u32_e32 v12, v12, v6
	s_or_b64 exec, exec, s[12:13]
	s_and_saveexec_b64 s[12:13], s[6:7]
	s_cbranch_execz .LBB114_50
.LBB114_54:                             ;   in Loop: Header=BB114_47 Depth=1
	ds_read_b32 v6, v7 offset:4112
	s_waitcnt lgkmcnt(0)
	v_add_u32_e32 v12, v12, v6
	s_or_b64 exec, exec, s[12:13]
	v_ashrrev_i32_e32 v13, 31, v12
	s_and_saveexec_b64 s[12:13], vcc
	s_cbranch_execz .LBB114_51
.LBB114_55:                             ;   in Loop: Header=BB114_47 Depth=1
	v_add3_u32 v6, v10, -1, v12
	v_lshl_add_u32 v6, v6, 3, 0
	ds_write2st64_b64 v6, v[2:3], v[4:5] offset1:4
	s_or_b64 exec, exec, s[12:13]
	s_and_saveexec_b64 s[12:13], s[0:1]
	s_cbranch_execz .LBB114_46
.LBB114_56:                             ;   in Loop: Header=BB114_47 Depth=1
	ds_write_b64 v7, v[12:13] offset:4120
	s_branch .LBB114_46
.LBB114_57:
	s_or_b64 exec, exec, s[8:9]
	s_lshl_b64 s[0:1], s[34:35], 3
	s_add_u32 s0, s14, s0
	s_addc_u32 s1, s15, s1
	s_load_dwordx4 s[0:3], s[0:1], 0x0
	v_mov_b32_e32 v1, 0
	s_waitcnt lgkmcnt(0)
	s_sub_u32 s4, s2, s0
	s_subb_u32 s5, s3, s1
	v_cmp_gt_i64_e32 vcc, s[4:5], v[0:1]
	s_and_saveexec_b64 s[6:7], vcc
	s_cbranch_execz .LBB114_67
; %bb.58:
	s_sub_u32 s6, s0, s26
	s_subb_u32 s7, s1, 0
	s_and_b32 s8, s4, 7
	s_sub_u32 s0, s0, s2
	s_mov_b32 s16, 0
	s_subb_u32 s1, s1, s3
	s_mov_b32 s9, s16
	s_and_b32 s2, s4, -8
	v_cmp_lt_u64_e64 s[0:1], s[0:1], -7
	s_cmp_lg_u64 s[8:9], 0
	s_waitcnt vmcnt(0)
	v_cndmask_b32_e64 v2, 0, 1, s[0:1]
	s_mov_b32 s3, s5
	s_mov_b64 s[10:11], 0
	s_cselect_b64 s[12:13], -1, 0
	v_cmp_ne_u32_e64 s[0:1], 1, v2
	s_branch .LBB114_60
.LBB114_59:                             ;   in Loop: Header=BB114_60 Depth=1
	v_mov_b32_e32 v8, s16
	s_waitcnt lgkmcnt(0)
	v_add_co_u32_e32 v2, vcc, s26, v2
	v_addc_co_u32_e32 v3, vcc, v3, v8, vcc
	v_lshlrev_b64 v[6:7], 3, v[6:7]
	v_mov_b32_e32 v9, s29
	v_add_co_u32_e32 v8, vcc, s28, v6
	v_addc_co_u32_e32 v9, vcc, v9, v7, vcc
	global_store_dwordx2 v[8:9], v[2:3], off
	v_mov_b32_e32 v3, s31
	v_add_co_u32_e32 v2, vcc, s30, v6
	v_addc_co_u32_e32 v3, vcc, v3, v7, vcc
	v_add_co_u32_e32 v0, vcc, 0x80, v0
	v_addc_co_u32_e32 v1, vcc, 0, v1, vcc
	v_cmp_le_i64_e32 vcc, s[4:5], v[0:1]
	s_or_b64 s[10:11], vcc, s[10:11]
	global_store_dwordx2 v[2:3], v[4:5], off
	s_andn2_b64 exec, exec, s[10:11]
	s_cbranch_execz .LBB114_67
.LBB114_60:                             ; =>This Loop Header: Depth=1
                                        ;     Child Loop BB114_62 Depth 2
                                        ;     Child Loop BB114_66 Depth 2
	v_lshl_add_u32 v2, v0, 3, 0
	ds_read2st64_b64 v[2:5], v2 offset1:4
	s_and_b64 vcc, exec, s[0:1]
	v_pk_mov_b32 v[6:7], s[6:7], s[6:7] op_sel:[0,1]
	s_mov_b64 s[14:15], 0
	s_cbranch_vccnz .LBB114_64
; %bb.61:                               ;   in Loop: Header=BB114_60 Depth=1
	s_mov_b32 s17, 0
	v_pk_mov_b32 v[6:7], s[6:7], s[6:7] op_sel:[0,1]
.LBB114_62:                             ;   Parent Loop BB114_60 Depth=1
                                        ; =>  This Inner Loop Header: Depth=2
	v_mov_b32_e32 v20, s17
	ds_read2_b64 v[8:11], v20 offset1:1
	ds_read2_b64 v[12:15], v20 offset0:2 offset1:3
	ds_read2_b64 v[16:19], v20 offset0:4 offset1:5
	;; [unrolled: 1-line block ×3, first 2 shown]
	s_add_u32 s14, s14, 8
	s_waitcnt lgkmcnt(3)
	v_cmp_gt_i64_e32 vcc, v[2:3], v[8:9]
	v_cndmask_b32_e64 v8, 0, 1, vcc
	v_cmp_gt_i64_e32 vcc, v[2:3], v[10:11]
	v_cndmask_b32_e64 v9, 0, 1, vcc
	s_waitcnt lgkmcnt(2)
	v_cmp_gt_i64_e32 vcc, v[2:3], v[12:13]
	v_cndmask_b32_e64 v10, 0, 1, vcc
	v_cmp_gt_i64_e32 vcc, v[2:3], v[14:15]
	v_cndmask_b32_e64 v11, 0, 1, vcc
	;; [unrolled: 5-line block ×4, first 2 shown]
	v_add_co_u32_e32 v6, vcc, v6, v8
	v_addc_co_u32_e32 v7, vcc, 0, v7, vcc
	v_add_co_u32_e32 v6, vcc, v6, v9
	v_addc_co_u32_e32 v7, vcc, 0, v7, vcc
	;; [unrolled: 2-line block ×7, first 2 shown]
	s_addc_u32 s15, s15, 0
	s_add_i32 s17, s17, 64
	v_add_co_u32_e32 v6, vcc, v6, v15
	s_cmp_eq_u64 s[2:3], s[14:15]
	v_addc_co_u32_e32 v7, vcc, 0, v7, vcc
	s_cbranch_scc0 .LBB114_62
; %bb.63:                               ;   in Loop: Header=BB114_60 Depth=1
	s_mov_b64 s[14:15], s[2:3]
.LBB114_64:                             ;   in Loop: Header=BB114_60 Depth=1
	s_andn2_b64 vcc, exec, s[12:13]
	s_cbranch_vccnz .LBB114_59
; %bb.65:                               ;   in Loop: Header=BB114_60 Depth=1
	s_lshl_b32 s14, s14, 3
	s_add_i32 s17, s14, 0
	s_mov_b64 s[14:15], s[8:9]
.LBB114_66:                             ;   Parent Loop BB114_60 Depth=1
                                        ; =>  This Inner Loop Header: Depth=2
	v_mov_b32_e32 v8, s17
	ds_read_b64 v[8:9], v8
	s_add_i32 s17, s17, 8
	s_add_u32 s14, s14, -1
	s_addc_u32 s15, s15, -1
	s_cmp_lg_u64 s[14:15], 0
	s_waitcnt lgkmcnt(0)
	v_cmp_gt_i64_e32 vcc, v[2:3], v[8:9]
	v_cndmask_b32_e64 v8, 0, 1, vcc
	v_add_co_u32_e32 v6, vcc, v6, v8
	v_addc_co_u32_e32 v7, vcc, 0, v7, vcc
	s_cbranch_scc1 .LBB114_66
	s_branch .LBB114_59
.LBB114_67:
	s_endpgm
	.section	.rodata,"a",@progbits
	.p2align	6, 0x0
	.amdhsa_kernel _ZN9rocsparseL26csrgemm_fill_block_per_rowILj128ELj16ELj256ELj137ELj32ElldEEvT5_PKS1_S3_NS_24const_host_device_scalarIT6_EEPKT4_S3_PKS5_S9_S3_SB_S6_S9_S3_SB_S9_PS1_PS5_21rocsparse_index_base_SE_SE_SE_bbb
		.amdhsa_group_segment_fixed_size 0
		.amdhsa_private_segment_fixed_size 0
		.amdhsa_kernarg_size 156
		.amdhsa_user_sgpr_count 6
		.amdhsa_user_sgpr_private_segment_buffer 1
		.amdhsa_user_sgpr_dispatch_ptr 0
		.amdhsa_user_sgpr_queue_ptr 0
		.amdhsa_user_sgpr_kernarg_segment_ptr 1
		.amdhsa_user_sgpr_dispatch_id 0
		.amdhsa_user_sgpr_flat_scratch_init 0
		.amdhsa_user_sgpr_kernarg_preload_length 0
		.amdhsa_user_sgpr_kernarg_preload_offset 0
		.amdhsa_user_sgpr_private_segment_size 0
		.amdhsa_uses_dynamic_stack 0
		.amdhsa_system_sgpr_private_segment_wavefront_offset 0
		.amdhsa_system_sgpr_workgroup_id_x 1
		.amdhsa_system_sgpr_workgroup_id_y 0
		.amdhsa_system_sgpr_workgroup_id_z 0
		.amdhsa_system_sgpr_workgroup_info 0
		.amdhsa_system_vgpr_workitem_id 0
		.amdhsa_next_free_vgpr 28
		.amdhsa_next_free_sgpr 57
		.amdhsa_accum_offset 28
		.amdhsa_reserve_vcc 1
		.amdhsa_reserve_flat_scratch 0
		.amdhsa_float_round_mode_32 0
		.amdhsa_float_round_mode_16_64 0
		.amdhsa_float_denorm_mode_32 3
		.amdhsa_float_denorm_mode_16_64 3
		.amdhsa_dx10_clamp 1
		.amdhsa_ieee_mode 1
		.amdhsa_fp16_overflow 0
		.amdhsa_tg_split 0
		.amdhsa_exception_fp_ieee_invalid_op 0
		.amdhsa_exception_fp_denorm_src 0
		.amdhsa_exception_fp_ieee_div_zero 0
		.amdhsa_exception_fp_ieee_overflow 0
		.amdhsa_exception_fp_ieee_underflow 0
		.amdhsa_exception_fp_ieee_inexact 0
		.amdhsa_exception_int_div_zero 0
	.end_amdhsa_kernel
	.section	.text._ZN9rocsparseL26csrgemm_fill_block_per_rowILj128ELj16ELj256ELj137ELj32ElldEEvT5_PKS1_S3_NS_24const_host_device_scalarIT6_EEPKT4_S3_PKS5_S9_S3_SB_S6_S9_S3_SB_S9_PS1_PS5_21rocsparse_index_base_SE_SE_SE_bbb,"axG",@progbits,_ZN9rocsparseL26csrgemm_fill_block_per_rowILj128ELj16ELj256ELj137ELj32ElldEEvT5_PKS1_S3_NS_24const_host_device_scalarIT6_EEPKT4_S3_PKS5_S9_S3_SB_S6_S9_S3_SB_S9_PS1_PS5_21rocsparse_index_base_SE_SE_SE_bbb,comdat
.Lfunc_end114:
	.size	_ZN9rocsparseL26csrgemm_fill_block_per_rowILj128ELj16ELj256ELj137ELj32ElldEEvT5_PKS1_S3_NS_24const_host_device_scalarIT6_EEPKT4_S3_PKS5_S9_S3_SB_S6_S9_S3_SB_S9_PS1_PS5_21rocsparse_index_base_SE_SE_SE_bbb, .Lfunc_end114-_ZN9rocsparseL26csrgemm_fill_block_per_rowILj128ELj16ELj256ELj137ELj32ElldEEvT5_PKS1_S3_NS_24const_host_device_scalarIT6_EEPKT4_S3_PKS5_S9_S3_SB_S6_S9_S3_SB_S9_PS1_PS5_21rocsparse_index_base_SE_SE_SE_bbb
                                        ; -- End function
	.section	.AMDGPU.csdata,"",@progbits
; Kernel info:
; codeLenInByte = 2496
; NumSgprs: 61
; NumVgprs: 28
; NumAgprs: 0
; TotalNumVgprs: 28
; ScratchSize: 0
; MemoryBound: 0
; FloatMode: 240
; IeeeMode: 1
; LDSByteSize: 0 bytes/workgroup (compile time only)
; SGPRBlocks: 7
; VGPRBlocks: 3
; NumSGPRsForWavesPerEU: 61
; NumVGPRsForWavesPerEU: 28
; AccumOffset: 28
; Occupancy: 8
; WaveLimiterHint : 1
; COMPUTE_PGM_RSRC2:SCRATCH_EN: 0
; COMPUTE_PGM_RSRC2:USER_SGPR: 6
; COMPUTE_PGM_RSRC2:TRAP_HANDLER: 0
; COMPUTE_PGM_RSRC2:TGID_X_EN: 1
; COMPUTE_PGM_RSRC2:TGID_Y_EN: 0
; COMPUTE_PGM_RSRC2:TGID_Z_EN: 0
; COMPUTE_PGM_RSRC2:TIDIG_COMP_CNT: 0
; COMPUTE_PGM_RSRC3_GFX90A:ACCUM_OFFSET: 6
; COMPUTE_PGM_RSRC3_GFX90A:TG_SPLIT: 0
	.section	.text._ZN9rocsparseL26csrgemm_fill_block_per_rowILj128ELj16ELj256ELj137ELj64ElldEEvT5_PKS1_S3_NS_24const_host_device_scalarIT6_EEPKT4_S3_PKS5_S9_S3_SB_S6_S9_S3_SB_S9_PS1_PS5_21rocsparse_index_base_SE_SE_SE_bbb,"axG",@progbits,_ZN9rocsparseL26csrgemm_fill_block_per_rowILj128ELj16ELj256ELj137ELj64ElldEEvT5_PKS1_S3_NS_24const_host_device_scalarIT6_EEPKT4_S3_PKS5_S9_S3_SB_S6_S9_S3_SB_S9_PS1_PS5_21rocsparse_index_base_SE_SE_SE_bbb,comdat
	.globl	_ZN9rocsparseL26csrgemm_fill_block_per_rowILj128ELj16ELj256ELj137ELj64ElldEEvT5_PKS1_S3_NS_24const_host_device_scalarIT6_EEPKT4_S3_PKS5_S9_S3_SB_S6_S9_S3_SB_S9_PS1_PS5_21rocsparse_index_base_SE_SE_SE_bbb ; -- Begin function _ZN9rocsparseL26csrgemm_fill_block_per_rowILj128ELj16ELj256ELj137ELj64ElldEEvT5_PKS1_S3_NS_24const_host_device_scalarIT6_EEPKT4_S3_PKS5_S9_S3_SB_S6_S9_S3_SB_S9_PS1_PS5_21rocsparse_index_base_SE_SE_SE_bbb
	.p2align	8
	.type	_ZN9rocsparseL26csrgemm_fill_block_per_rowILj128ELj16ELj256ELj137ELj64ElldEEvT5_PKS1_S3_NS_24const_host_device_scalarIT6_EEPKT4_S3_PKS5_S9_S3_SB_S6_S9_S3_SB_S9_PS1_PS5_21rocsparse_index_base_SE_SE_SE_bbb,@function
_ZN9rocsparseL26csrgemm_fill_block_per_rowILj128ELj16ELj256ELj137ELj64ElldEEvT5_PKS1_S3_NS_24const_host_device_scalarIT6_EEPKT4_S3_PKS5_S9_S3_SB_S6_S9_S3_SB_S9_PS1_PS5_21rocsparse_index_base_SE_SE_SE_bbb: ; @_ZN9rocsparseL26csrgemm_fill_block_per_rowILj128ELj16ELj256ELj137ELj64ElldEEvT5_PKS1_S3_NS_24const_host_device_scalarIT6_EEPKT4_S3_PKS5_S9_S3_SB_S6_S9_S3_SB_S9_PS1_PS5_21rocsparse_index_base_SE_SE_SE_bbb
; %bb.0:
	s_load_dword s7, s[4:5], 0x98
	s_load_dwordx2 s[2:3], s[4:5], 0x18
	s_load_dwordx2 s[0:1], s[4:5], 0x50
	s_waitcnt lgkmcnt(0)
	s_and_b32 s10, 1, s7
	s_bitcmp1_b32 s7, 16
	s_cselect_b64 s[8:9], -1, 0
	s_cmp_eq_u32 s10, 1
	s_cselect_b64 s[44:45], -1, 0
	s_and_b64 s[10:11], s[44:45], exec
	s_cselect_b32 s11, s3, 0
	s_cselect_b32 s10, s2, 0
	s_xor_b64 s[12:13], s[44:45], -1
	s_or_b64 s[12:13], s[12:13], s[8:9]
	s_and_b64 vcc, exec, s[12:13]
	v_pk_mov_b32 v[4:5], s[10:11], s[10:11] op_sel:[0,1]
	s_cbranch_vccnz .LBB115_2
; %bb.1:
	v_pk_mov_b32 v[2:3], s[2:3], s[2:3] op_sel:[0,1]
	flat_load_dwordx2 v[4:5], v[2:3]
.LBB115_2:
	s_bitcmp1_b32 s7, 8
	s_load_dwordx4 s[24:27], s[4:5], 0x88
	s_cselect_b64 s[2:3], -1, 0
	s_and_b64 s[10:11], s[2:3], exec
	s_cselect_b32 s11, s1, 0
	s_cselect_b32 s10, s0, 0
	s_xor_b64 s[12:13], s[2:3], -1
	s_or_b64 s[8:9], s[12:13], s[8:9]
	s_and_b64 vcc, exec, s[8:9]
	v_pk_mov_b32 v[2:3], s[10:11], s[10:11] op_sel:[0,1]
	s_cbranch_vccnz .LBB115_4
; %bb.3:
	v_pk_mov_b32 v[2:3], s[0:1], s[0:1] op_sel:[0,1]
	flat_load_dwordx2 v[2:3], v[2:3]
.LBB115_4:
	s_load_dwordx4 s[28:31], s[4:5], 0x78
	s_load_dwordx8 s[8:15], s[4:5], 0x58
	s_load_dwordx4 s[40:43], s[4:5], 0x40
	s_load_dwordx4 s[36:39], s[4:5], 0x0
	s_load_dwordx2 s[34:35], s[4:5], 0x10
	s_load_dwordx8 s[16:23], s[4:5], 0x20
	s_movk_i32 s0, 0x100
	v_cmp_gt_u32_e64 s[0:1], s0, v0
	v_lshl_add_u32 v1, v0, 3, 0
	s_and_saveexec_b64 s[4:5], s[0:1]
	s_cbranch_execz .LBB115_7
; %bb.5:
	v_mov_b32_e32 v6, 0
	v_or_b32_e32 v10, 0xffffff80, v0
	v_lshl_add_u32 v11, v0, 3, 0
	s_mov_b64 s[46:47], 0
	s_waitcnt lgkmcnt(0)
	v_pk_mov_b32 v[8:9], s[36:37], s[36:37] op_sel:[0,1]
	v_mov_b32_e32 v7, v6
.LBB115_6:                              ; =>This Inner Loop Header: Depth=1
	v_add_co_u32_e32 v10, vcc, 0x80, v10
	s_xor_b64 s[48:49], vcc, -1
	s_and_b64 s[48:49], exec, s[48:49]
	ds_write2st64_b64 v11, v[8:9], v[6:7] offset1:4
	s_or_b64 s[46:47], s[48:49], s[46:47]
	v_add_u32_e32 v11, 0x400, v11
	s_andn2_b64 exec, exec, s[46:47]
	s_cbranch_execnz .LBB115_6
.LBB115_7:
	s_or_b64 exec, exec, s[4:5]
	s_waitcnt lgkmcnt(0)
	s_barrier
	s_load_dwordx2 s[4:5], s[38:39], 0x0
	s_mov_b32 s7, 0
	s_waitcnt lgkmcnt(0)
	s_lshl_b64 s[4:5], s[4:5], 3
	s_add_u32 s33, s34, s4
	s_addc_u32 s34, s35, s5
	s_lshl_b64 s[4:5], s[6:7], 3
	s_add_u32 s4, s33, s4
	s_addc_u32 s5, s34, s5
	s_load_dwordx2 s[34:35], s[4:5], 0x0
	s_and_b64 vcc, exec, s[44:45]
	s_cbranch_vccz .LBB115_27
; %bb.8:
	s_waitcnt lgkmcnt(0)
	s_lshl_b64 s[4:5], s[34:35], 3
	s_add_u32 s4, s16, s4
	s_addc_u32 s5, s17, s5
	s_load_dwordx4 s[44:47], s[4:5], 0x0
	v_lshrrev_b32_e32 v6, 4, v0
	v_subrev_co_u32_e32 v6, vcc, s24, v6
	v_subb_co_u32_e64 v7, s[16:17], 0, 0, vcc
	s_waitcnt lgkmcnt(0)
	s_sub_u32 s4, s46, s24
	v_mov_b32_e32 v8, s45
	v_add_co_u32_e32 v6, vcc, s44, v6
	s_subb_u32 s5, s47, 0
	v_addc_co_u32_e32 v7, vcc, v8, v7, vcc
	v_cmp_gt_i64_e32 vcc, s[4:5], v[6:7]
	s_and_saveexec_b64 s[16:17], vcc
	s_cbranch_execz .LBB115_26
; %bb.9:
	v_and_b32_e32 v8, 15, v0
	v_subrev_co_u32_e32 v19, vcc, s25, v8
	s_mov_b32 s33, s24
	s_mov_b32 s6, 0
	;; [unrolled: 1-line block ×3, first 2 shown]
	v_subb_co_u32_e64 v22, s[24:25], 0, 0, vcc
	s_mov_b64 s[24:25], 0
	v_mov_b32_e32 v23, s19
	v_mov_b32_e32 v24, s7
	;; [unrolled: 1-line block ×4, first 2 shown]
	s_movk_i32 s19, 0x89
	s_branch .LBB115_11
.LBB115_10:                             ;   in Loop: Header=BB115_11 Depth=1
	s_or_b64 exec, exec, s[6:7]
	v_add_co_u32_e32 v6, vcc, 8, v6
	v_addc_co_u32_e32 v7, vcc, 0, v7, vcc
	v_cmp_le_i64_e32 vcc, s[4:5], v[6:7]
	s_or_b64 s[24:25], vcc, s[24:25]
	s_andn2_b64 exec, exec, s[24:25]
	s_cbranch_execz .LBB115_26
.LBB115_11:                             ; =>This Loop Header: Depth=1
                                        ;     Child Loop BB115_14 Depth 2
                                        ;       Child Loop BB115_16 Depth 3
	v_lshlrev_b64 v[12:13], 3, v[6:7]
	v_add_co_u32_e32 v8, vcc, s18, v12
	v_addc_co_u32_e32 v9, vcc, v23, v13, vcc
	global_load_dwordx2 v[8:9], v[8:9], off
	s_waitcnt vmcnt(0)
	v_subrev_co_u32_e32 v8, vcc, s33, v8
	v_subb_co_u32_e32 v9, vcc, v9, v24, vcc
	v_lshlrev_b64 v[8:9], 3, v[8:9]
	v_add_co_u32_e32 v8, vcc, s22, v8
	v_addc_co_u32_e32 v9, vcc, v25, v9, vcc
	global_load_dwordx4 v[14:17], v[8:9], off
	s_waitcnt vmcnt(0)
	v_subrev_co_u32_e32 v8, vcc, s56, v16
	v_subb_co_u32_e32 v9, vcc, v17, v26, vcc
	v_add_co_u32_e32 v10, vcc, v14, v19
	v_addc_co_u32_e32 v11, vcc, v15, v22, vcc
	v_cmp_lt_i64_e32 vcc, v[10:11], v[8:9]
	s_and_saveexec_b64 s[6:7], vcc
	s_cbranch_execz .LBB115_10
; %bb.12:                               ;   in Loop: Header=BB115_11 Depth=1
	v_mov_b32_e32 v14, s21
	v_add_co_u32_e32 v12, vcc, s20, v12
	v_addc_co_u32_e32 v13, vcc, v14, v13, vcc
	global_load_dwordx2 v[12:13], v[12:13], off
	s_mov_b64 s[38:39], 0
	s_waitcnt vmcnt(0)
	v_mul_f64 v[12:13], v[4:5], v[12:13]
	s_branch .LBB115_14
.LBB115_13:                             ;   in Loop: Header=BB115_14 Depth=2
	s_or_b64 exec, exec, s[44:45]
	v_add_co_u32_e32 v10, vcc, 16, v10
	v_addc_co_u32_e32 v11, vcc, 0, v11, vcc
	v_cmp_ge_i64_e32 vcc, v[10:11], v[8:9]
	s_or_b64 s[38:39], vcc, s[38:39]
	s_andn2_b64 exec, exec, s[38:39]
	s_cbranch_execz .LBB115_10
.LBB115_14:                             ;   Parent Loop BB115_11 Depth=1
                                        ; =>  This Loop Header: Depth=2
                                        ;       Child Loop BB115_16 Depth 3
	v_lshlrev_b64 v[14:15], 3, v[10:11]
	v_mov_b32_e32 v17, s41
	v_add_co_u32_e32 v16, vcc, s40, v14
	v_addc_co_u32_e32 v17, vcc, v17, v15, vcc
	global_load_dwordx2 v[16:17], v[16:17], off
	v_mov_b32_e32 v18, s43
	v_add_co_u32_e32 v14, vcc, s42, v14
	v_addc_co_u32_e32 v15, vcc, v18, v15, vcc
	global_load_dwordx2 v[20:21], v[14:15], off
	s_mov_b64 s[44:45], 0
	s_waitcnt vmcnt(1)
	v_subrev_co_u32_e32 v14, vcc, s56, v16
	v_mul_lo_u32 v18, v14, s19
	v_subb_co_u32_e32 v15, vcc, v17, v26, vcc
	v_and_b32_e32 v18, 0xff, v18
	s_waitcnt vmcnt(0)
	v_mul_f64 v[16:17], v[12:13], v[20:21]
	s_branch .LBB115_16
.LBB115_15:                             ;   in Loop: Header=BB115_16 Depth=3
	s_or_b64 exec, exec, s[46:47]
	s_xor_b64 s[46:47], s[48:49], -1
	s_and_b64 s[46:47], exec, s[46:47]
	s_or_b64 s[44:45], s[46:47], s[44:45]
	s_andn2_b64 exec, exec, s[44:45]
	s_cbranch_execz .LBB115_13
.LBB115_16:                             ;   Parent Loop BB115_11 Depth=1
                                        ;     Parent Loop BB115_14 Depth=2
                                        ; =>    This Inner Loop Header: Depth=3
	v_lshl_add_u32 v27, v18, 3, 0
	ds_read_b64 v[20:21], v27
                                        ; implicit-def: $sgpr48_sgpr49
	s_waitcnt lgkmcnt(0)
	v_cmp_ne_u64_e32 vcc, v[20:21], v[14:15]
	s_and_saveexec_b64 s[46:47], vcc
	s_xor_b64 s[46:47], exec, s[46:47]
	s_cbranch_execz .LBB115_24
; %bb.17:                               ;   in Loop: Header=BB115_16 Depth=3
	v_cmp_ne_u64_e32 vcc, s[36:37], v[20:21]
                                        ; implicit-def: $sgpr48_sgpr49
	s_and_saveexec_b64 s[50:51], vcc
	s_xor_b64 s[50:51], exec, s[50:51]
; %bb.18:                               ;   in Loop: Header=BB115_16 Depth=3
	v_add_u32_e32 v18, 1, v18
	v_and_b32_e32 v18, 0xff, v18
	s_mov_b64 s[48:49], -1
                                        ; implicit-def: $vgpr27
; %bb.19:                               ;   in Loop: Header=BB115_16 Depth=3
	s_andn2_saveexec_b64 s[50:51], s[50:51]
	s_cbranch_execz .LBB115_23
; %bb.20:                               ;   in Loop: Header=BB115_16 Depth=3
	v_pk_mov_b32 v[20:21], s[36:37], s[36:37] op_sel:[0,1]
	ds_cmpst_rtn_b64 v[20:21], v27, v[20:21], v[14:15]
	s_mov_b64 s[52:53], -1
	s_waitcnt lgkmcnt(0)
	v_cmp_eq_u64_e32 vcc, s[36:37], v[20:21]
	s_and_saveexec_b64 s[54:55], vcc
	s_cbranch_execz .LBB115_22
; %bb.21:                               ;   in Loop: Header=BB115_16 Depth=3
	ds_add_f64 v27, v[16:17] offset:2048
	s_xor_b64 s[52:53], exec, -1
.LBB115_22:                             ;   in Loop: Header=BB115_16 Depth=3
	s_or_b64 exec, exec, s[54:55]
	s_andn2_b64 s[48:49], s[48:49], exec
	s_and_b64 s[52:53], s[52:53], exec
	s_or_b64 s[48:49], s[48:49], s[52:53]
.LBB115_23:                             ;   in Loop: Header=BB115_16 Depth=3
	s_or_b64 exec, exec, s[50:51]
	s_and_b64 s[48:49], s[48:49], exec
                                        ; implicit-def: $vgpr27
.LBB115_24:                             ;   in Loop: Header=BB115_16 Depth=3
	s_andn2_saveexec_b64 s[46:47], s[46:47]
	s_cbranch_execz .LBB115_15
; %bb.25:                               ;   in Loop: Header=BB115_16 Depth=3
	ds_add_f64 v27, v[16:17] offset:2048
	s_andn2_b64 s[48:49], s[48:49], exec
	s_branch .LBB115_15
.LBB115_26:
	s_or_b64 exec, exec, s[16:17]
.LBB115_27:
	s_andn2_b64 vcc, exec, s[2:3]
	s_cbranch_vccnz .LBB115_44
; %bb.28:
	s_waitcnt lgkmcnt(0)
	s_lshl_b64 s[2:3], s[34:35], 3
	s_add_u32 s2, s8, s2
	s_addc_u32 s3, s9, s3
	s_load_dwordx4 s[4:7], s[2:3], 0x0
	s_waitcnt vmcnt(0)
	v_subrev_co_u32_e32 v4, vcc, s27, v0
	s_mov_b32 s8, 0
	s_waitcnt lgkmcnt(0)
	s_sub_u32 s2, s6, s27
	s_subb_u32 s3, s7, 0
	v_subb_co_u32_e64 v5, s[6:7], 0, 0, vcc
	v_mov_b32_e32 v6, s5
	v_add_co_u32_e32 v4, vcc, s4, v4
	v_addc_co_u32_e32 v5, vcc, v6, v5, vcc
	v_cmp_gt_i64_e32 vcc, s[2:3], v[4:5]
	s_and_saveexec_b64 s[4:5], vcc
	s_cbranch_execz .LBB115_43
; %bb.29:
	s_mov_b32 s33, s27
	s_mov_b64 s[6:7], 0
	v_mov_b32_e32 v11, s11
	v_mov_b32_e32 v14, s8
	;; [unrolled: 1-line block ×3, first 2 shown]
	s_movk_i32 s11, 0x89
	s_branch .LBB115_31
.LBB115_30:                             ;   in Loop: Header=BB115_31 Depth=1
	s_or_b64 exec, exec, s[8:9]
	v_add_co_u32_e32 v4, vcc, 0x80, v4
	v_addc_co_u32_e32 v5, vcc, 0, v5, vcc
	v_cmp_le_i64_e32 vcc, s[2:3], v[4:5]
	s_or_b64 s[6:7], vcc, s[6:7]
	s_andn2_b64 exec, exec, s[6:7]
	s_cbranch_execz .LBB115_43
.LBB115_31:                             ; =>This Loop Header: Depth=1
                                        ;     Child Loop BB115_33 Depth 2
	v_lshlrev_b64 v[6:7], 3, v[4:5]
	v_add_co_u32_e32 v8, vcc, s10, v6
	v_addc_co_u32_e32 v9, vcc, v11, v7, vcc
	global_load_dwordx2 v[8:9], v[8:9], off
	v_add_co_u32_e32 v6, vcc, s12, v6
	v_addc_co_u32_e32 v7, vcc, v15, v7, vcc
	global_load_dwordx2 v[12:13], v[6:7], off
	s_mov_b64 s[8:9], 0
	s_waitcnt vmcnt(1)
	v_subrev_co_u32_e32 v6, vcc, s33, v8
	v_mul_lo_u32 v10, v6, s11
	v_subb_co_u32_e32 v7, vcc, v9, v14, vcc
	s_waitcnt vmcnt(0)
	v_mul_f64 v[8:9], v[2:3], v[12:13]
	v_and_b32_e32 v10, 0xff, v10
	s_branch .LBB115_33
.LBB115_32:                             ;   in Loop: Header=BB115_33 Depth=2
	s_or_b64 exec, exec, s[16:17]
	s_xor_b64 s[16:17], s[18:19], -1
	s_and_b64 s[16:17], exec, s[16:17]
	s_or_b64 s[8:9], s[16:17], s[8:9]
	s_andn2_b64 exec, exec, s[8:9]
	s_cbranch_execz .LBB115_30
.LBB115_33:                             ;   Parent Loop BB115_31 Depth=1
                                        ; =>  This Inner Loop Header: Depth=2
	v_lshl_add_u32 v16, v10, 3, 0
	ds_read_b64 v[12:13], v16
                                        ; implicit-def: $sgpr18_sgpr19
	s_waitcnt lgkmcnt(0)
	v_cmp_ne_u64_e32 vcc, v[12:13], v[6:7]
	s_and_saveexec_b64 s[16:17], vcc
	s_xor_b64 s[16:17], exec, s[16:17]
	s_cbranch_execz .LBB115_41
; %bb.34:                               ;   in Loop: Header=BB115_33 Depth=2
	v_cmp_ne_u64_e32 vcc, s[36:37], v[12:13]
                                        ; implicit-def: $sgpr18_sgpr19
	s_and_saveexec_b64 s[20:21], vcc
	s_xor_b64 s[20:21], exec, s[20:21]
; %bb.35:                               ;   in Loop: Header=BB115_33 Depth=2
	v_add_u32_e32 v10, 1, v10
	v_and_b32_e32 v10, 0xff, v10
	s_mov_b64 s[18:19], -1
                                        ; implicit-def: $vgpr16
; %bb.36:                               ;   in Loop: Header=BB115_33 Depth=2
	s_andn2_saveexec_b64 s[20:21], s[20:21]
	s_cbranch_execz .LBB115_40
; %bb.37:                               ;   in Loop: Header=BB115_33 Depth=2
	v_pk_mov_b32 v[12:13], s[36:37], s[36:37] op_sel:[0,1]
	ds_cmpst_rtn_b64 v[12:13], v16, v[12:13], v[6:7]
	s_mov_b64 s[22:23], -1
	s_waitcnt lgkmcnt(0)
	v_cmp_eq_u64_e32 vcc, s[36:37], v[12:13]
	s_and_saveexec_b64 s[24:25], vcc
	s_cbranch_execz .LBB115_39
; %bb.38:                               ;   in Loop: Header=BB115_33 Depth=2
	ds_add_f64 v16, v[8:9] offset:2048
	s_xor_b64 s[22:23], exec, -1
.LBB115_39:                             ;   in Loop: Header=BB115_33 Depth=2
	s_or_b64 exec, exec, s[24:25]
	s_andn2_b64 s[18:19], s[18:19], exec
	s_and_b64 s[22:23], s[22:23], exec
	s_or_b64 s[18:19], s[18:19], s[22:23]
.LBB115_40:                             ;   in Loop: Header=BB115_33 Depth=2
	s_or_b64 exec, exec, s[20:21]
	s_and_b64 s[18:19], s[18:19], exec
                                        ; implicit-def: $vgpr16
.LBB115_41:                             ;   in Loop: Header=BB115_33 Depth=2
	s_andn2_saveexec_b64 s[16:17], s[16:17]
	s_cbranch_execz .LBB115_32
; %bb.42:                               ;   in Loop: Header=BB115_33 Depth=2
	ds_add_f64 v16, v[8:9] offset:2048
	s_andn2_b64 s[18:19], s[18:19], exec
	s_branch .LBB115_32
.LBB115_43:
	s_or_b64 exec, exec, s[4:5]
.LBB115_44:
	s_waitcnt lgkmcnt(0)
	s_barrier
	s_and_saveexec_b64 s[6:7], s[0:1]
	s_cbranch_execz .LBB115_53
; %bb.45:
	s_waitcnt vmcnt(0)
	v_mbcnt_lo_u32_b32 v2, -1, 0
	v_mbcnt_hi_u32_b32 v2, -1, v2
	v_sub_u32_e32 v2, 63, v2
	v_lshrrev_b64 v[8:9], v2, -1
	v_lshrrev_b32_e32 v2, 3, v0
	v_and_b32_e32 v2, 8, v2
	s_movk_i32 s2, 0x7f
	v_mov_b32_e32 v7, 0
	v_add_u32_e32 v14, 0, v2
	v_cmp_lt_u32_e64 s[0:1], 63, v0
	v_cmp_eq_u32_e64 s[2:3], s2, v0
	v_or_b32_e32 v15, 0xffffff80, v0
	s_mov_b64 s[8:9], 0
	v_pk_mov_b32 v[10:11], 0, 0
	s_branch .LBB115_47
.LBB115_46:                             ;   in Loop: Header=BB115_47 Depth=1
	s_or_b64 exec, exec, s[4:5]
	s_waitcnt lgkmcnt(0)
	s_barrier
	ds_read_b64 v[2:3], v7 offset:4104
	v_add_u32_e32 v1, 0x400, v1
	s_waitcnt lgkmcnt(0)
	v_add_co_u32_e32 v10, vcc, v2, v10
	v_addc_co_u32_e32 v11, vcc, v3, v11, vcc
	v_add_co_u32_e32 v15, vcc, 0x80, v15
	s_xor_b64 s[4:5], vcc, -1
	s_and_b64 s[4:5], exec, s[4:5]
	s_or_b64 s[8:9], s[4:5], s[8:9]
	s_andn2_b64 exec, exec, s[8:9]
	s_cbranch_execz .LBB115_53
.LBB115_47:                             ; =>This Inner Loop Header: Depth=1
	ds_read2st64_b64 v[2:5], v1 offset1:4
	s_waitcnt lgkmcnt(0)
	s_barrier
	v_cmp_gt_i64_e32 vcc, s[36:37], v[2:3]
	v_and_b32_e32 v13, vcc_lo, v8
	s_bcnt1_i32_b64 s4, vcc
	v_and_b32_e32 v12, vcc_hi, v9
	v_bcnt_u32_b32 v13, v13, 0
	v_mov_b32_e32 v6, s4
	v_bcnt_u32_b32 v12, v12, v13
	ds_write_b64 v14, v[6:7] offset:4096
	s_waitcnt lgkmcnt(0)
	s_barrier
	s_and_saveexec_b64 s[10:11], s[0:1]
	s_cbranch_execnz .LBB115_50
; %bb.48:                               ;   in Loop: Header=BB115_47 Depth=1
	s_or_b64 exec, exec, s[10:11]
	s_and_saveexec_b64 s[4:5], vcc
	s_cbranch_execnz .LBB115_51
.LBB115_49:                             ;   in Loop: Header=BB115_47 Depth=1
	s_or_b64 exec, exec, s[4:5]
	s_and_saveexec_b64 s[4:5], s[2:3]
	s_cbranch_execz .LBB115_46
	s_branch .LBB115_52
.LBB115_50:                             ;   in Loop: Header=BB115_47 Depth=1
	ds_read_b64 v[16:17], v7 offset:4096
	s_waitcnt lgkmcnt(0)
	v_add_co_u32_e64 v12, s[4:5], v16, v12
	s_or_b64 exec, exec, s[10:11]
	s_and_saveexec_b64 s[4:5], vcc
	s_cbranch_execz .LBB115_49
.LBB115_51:                             ;   in Loop: Header=BB115_47 Depth=1
	v_add3_u32 v6, v10, -1, v12
	v_lshl_add_u32 v6, v6, 3, 0
	ds_write2st64_b64 v6, v[2:3], v[4:5] offset1:4
	s_or_b64 exec, exec, s[4:5]
	s_and_saveexec_b64 s[4:5], s[2:3]
	s_cbranch_execz .LBB115_46
.LBB115_52:                             ;   in Loop: Header=BB115_47 Depth=1
	v_ashrrev_i32_e32 v13, 31, v12
	ds_write_b64 v7, v[12:13] offset:4104
	s_branch .LBB115_46
.LBB115_53:
	s_or_b64 exec, exec, s[6:7]
	s_lshl_b64 s[0:1], s[34:35], 3
	s_add_u32 s0, s14, s0
	s_addc_u32 s1, s15, s1
	s_load_dwordx4 s[0:3], s[0:1], 0x0
	v_mov_b32_e32 v1, 0
	s_waitcnt lgkmcnt(0)
	s_sub_u32 s4, s2, s0
	s_subb_u32 s5, s3, s1
	v_cmp_gt_i64_e32 vcc, s[4:5], v[0:1]
	s_and_saveexec_b64 s[6:7], vcc
	s_cbranch_execz .LBB115_63
; %bb.54:
	s_sub_u32 s6, s0, s26
	s_subb_u32 s7, s1, 0
	s_and_b32 s8, s4, 7
	s_sub_u32 s0, s0, s2
	s_mov_b32 s16, 0
	s_subb_u32 s1, s1, s3
	s_mov_b32 s9, s16
	s_and_b32 s2, s4, -8
	v_cmp_lt_u64_e64 s[0:1], s[0:1], -7
	s_cmp_lg_u64 s[8:9], 0
	s_waitcnt vmcnt(0)
	v_cndmask_b32_e64 v2, 0, 1, s[0:1]
	s_mov_b32 s3, s5
	s_mov_b64 s[10:11], 0
	s_cselect_b64 s[12:13], -1, 0
	v_cmp_ne_u32_e64 s[0:1], 1, v2
	s_branch .LBB115_56
.LBB115_55:                             ;   in Loop: Header=BB115_56 Depth=1
	v_mov_b32_e32 v8, s16
	s_waitcnt lgkmcnt(0)
	v_add_co_u32_e32 v2, vcc, s26, v2
	v_addc_co_u32_e32 v3, vcc, v3, v8, vcc
	v_lshlrev_b64 v[6:7], 3, v[6:7]
	v_mov_b32_e32 v9, s29
	v_add_co_u32_e32 v8, vcc, s28, v6
	v_addc_co_u32_e32 v9, vcc, v9, v7, vcc
	global_store_dwordx2 v[8:9], v[2:3], off
	v_mov_b32_e32 v3, s31
	v_add_co_u32_e32 v2, vcc, s30, v6
	v_addc_co_u32_e32 v3, vcc, v3, v7, vcc
	v_add_co_u32_e32 v0, vcc, 0x80, v0
	v_addc_co_u32_e32 v1, vcc, 0, v1, vcc
	v_cmp_le_i64_e32 vcc, s[4:5], v[0:1]
	s_or_b64 s[10:11], vcc, s[10:11]
	global_store_dwordx2 v[2:3], v[4:5], off
	s_andn2_b64 exec, exec, s[10:11]
	s_cbranch_execz .LBB115_63
.LBB115_56:                             ; =>This Loop Header: Depth=1
                                        ;     Child Loop BB115_58 Depth 2
                                        ;     Child Loop BB115_62 Depth 2
	v_lshl_add_u32 v2, v0, 3, 0
	ds_read2st64_b64 v[2:5], v2 offset1:4
	s_and_b64 vcc, exec, s[0:1]
	v_pk_mov_b32 v[6:7], s[6:7], s[6:7] op_sel:[0,1]
	s_mov_b64 s[14:15], 0
	s_cbranch_vccnz .LBB115_60
; %bb.57:                               ;   in Loop: Header=BB115_56 Depth=1
	s_mov_b32 s17, 0
	v_pk_mov_b32 v[6:7], s[6:7], s[6:7] op_sel:[0,1]
.LBB115_58:                             ;   Parent Loop BB115_56 Depth=1
                                        ; =>  This Inner Loop Header: Depth=2
	v_mov_b32_e32 v20, s17
	ds_read2_b64 v[8:11], v20 offset1:1
	ds_read2_b64 v[12:15], v20 offset0:2 offset1:3
	ds_read2_b64 v[16:19], v20 offset0:4 offset1:5
	;; [unrolled: 1-line block ×3, first 2 shown]
	s_add_u32 s14, s14, 8
	s_waitcnt lgkmcnt(3)
	v_cmp_gt_i64_e32 vcc, v[2:3], v[8:9]
	v_cndmask_b32_e64 v8, 0, 1, vcc
	v_cmp_gt_i64_e32 vcc, v[2:3], v[10:11]
	v_cndmask_b32_e64 v9, 0, 1, vcc
	s_waitcnt lgkmcnt(2)
	v_cmp_gt_i64_e32 vcc, v[2:3], v[12:13]
	v_cndmask_b32_e64 v10, 0, 1, vcc
	v_cmp_gt_i64_e32 vcc, v[2:3], v[14:15]
	v_cndmask_b32_e64 v11, 0, 1, vcc
	;; [unrolled: 5-line block ×4, first 2 shown]
	v_add_co_u32_e32 v6, vcc, v6, v8
	v_addc_co_u32_e32 v7, vcc, 0, v7, vcc
	v_add_co_u32_e32 v6, vcc, v6, v9
	v_addc_co_u32_e32 v7, vcc, 0, v7, vcc
	;; [unrolled: 2-line block ×7, first 2 shown]
	s_addc_u32 s15, s15, 0
	s_add_i32 s17, s17, 64
	v_add_co_u32_e32 v6, vcc, v6, v15
	s_cmp_eq_u64 s[2:3], s[14:15]
	v_addc_co_u32_e32 v7, vcc, 0, v7, vcc
	s_cbranch_scc0 .LBB115_58
; %bb.59:                               ;   in Loop: Header=BB115_56 Depth=1
	s_mov_b64 s[14:15], s[2:3]
.LBB115_60:                             ;   in Loop: Header=BB115_56 Depth=1
	s_andn2_b64 vcc, exec, s[12:13]
	s_cbranch_vccnz .LBB115_55
; %bb.61:                               ;   in Loop: Header=BB115_56 Depth=1
	s_lshl_b32 s14, s14, 3
	s_add_i32 s17, s14, 0
	s_mov_b64 s[14:15], s[8:9]
.LBB115_62:                             ;   Parent Loop BB115_56 Depth=1
                                        ; =>  This Inner Loop Header: Depth=2
	v_mov_b32_e32 v8, s17
	ds_read_b64 v[8:9], v8
	s_add_i32 s17, s17, 8
	s_add_u32 s14, s14, -1
	s_addc_u32 s15, s15, -1
	s_cmp_lg_u64 s[14:15], 0
	s_waitcnt lgkmcnt(0)
	v_cmp_gt_i64_e32 vcc, v[2:3], v[8:9]
	v_cndmask_b32_e64 v8, 0, 1, vcc
	v_add_co_u32_e32 v6, vcc, v6, v8
	v_addc_co_u32_e32 v7, vcc, 0, v7, vcc
	s_cbranch_scc1 .LBB115_62
	s_branch .LBB115_55
.LBB115_63:
	s_endpgm
	.section	.rodata,"a",@progbits
	.p2align	6, 0x0
	.amdhsa_kernel _ZN9rocsparseL26csrgemm_fill_block_per_rowILj128ELj16ELj256ELj137ELj64ElldEEvT5_PKS1_S3_NS_24const_host_device_scalarIT6_EEPKT4_S3_PKS5_S9_S3_SB_S6_S9_S3_SB_S9_PS1_PS5_21rocsparse_index_base_SE_SE_SE_bbb
		.amdhsa_group_segment_fixed_size 0
		.amdhsa_private_segment_fixed_size 0
		.amdhsa_kernarg_size 156
		.amdhsa_user_sgpr_count 6
		.amdhsa_user_sgpr_private_segment_buffer 1
		.amdhsa_user_sgpr_dispatch_ptr 0
		.amdhsa_user_sgpr_queue_ptr 0
		.amdhsa_user_sgpr_kernarg_segment_ptr 1
		.amdhsa_user_sgpr_dispatch_id 0
		.amdhsa_user_sgpr_flat_scratch_init 0
		.amdhsa_user_sgpr_kernarg_preload_length 0
		.amdhsa_user_sgpr_kernarg_preload_offset 0
		.amdhsa_user_sgpr_private_segment_size 0
		.amdhsa_uses_dynamic_stack 0
		.amdhsa_system_sgpr_private_segment_wavefront_offset 0
		.amdhsa_system_sgpr_workgroup_id_x 1
		.amdhsa_system_sgpr_workgroup_id_y 0
		.amdhsa_system_sgpr_workgroup_id_z 0
		.amdhsa_system_sgpr_workgroup_info 0
		.amdhsa_system_vgpr_workitem_id 0
		.amdhsa_next_free_vgpr 28
		.amdhsa_next_free_sgpr 57
		.amdhsa_accum_offset 28
		.amdhsa_reserve_vcc 1
		.amdhsa_reserve_flat_scratch 0
		.amdhsa_float_round_mode_32 0
		.amdhsa_float_round_mode_16_64 0
		.amdhsa_float_denorm_mode_32 3
		.amdhsa_float_denorm_mode_16_64 3
		.amdhsa_dx10_clamp 1
		.amdhsa_ieee_mode 1
		.amdhsa_fp16_overflow 0
		.amdhsa_tg_split 0
		.amdhsa_exception_fp_ieee_invalid_op 0
		.amdhsa_exception_fp_denorm_src 0
		.amdhsa_exception_fp_ieee_div_zero 0
		.amdhsa_exception_fp_ieee_overflow 0
		.amdhsa_exception_fp_ieee_underflow 0
		.amdhsa_exception_fp_ieee_inexact 0
		.amdhsa_exception_int_div_zero 0
	.end_amdhsa_kernel
	.section	.text._ZN9rocsparseL26csrgemm_fill_block_per_rowILj128ELj16ELj256ELj137ELj64ElldEEvT5_PKS1_S3_NS_24const_host_device_scalarIT6_EEPKT4_S3_PKS5_S9_S3_SB_S6_S9_S3_SB_S9_PS1_PS5_21rocsparse_index_base_SE_SE_SE_bbb,"axG",@progbits,_ZN9rocsparseL26csrgemm_fill_block_per_rowILj128ELj16ELj256ELj137ELj64ElldEEvT5_PKS1_S3_NS_24const_host_device_scalarIT6_EEPKT4_S3_PKS5_S9_S3_SB_S6_S9_S3_SB_S9_PS1_PS5_21rocsparse_index_base_SE_SE_SE_bbb,comdat
.Lfunc_end115:
	.size	_ZN9rocsparseL26csrgemm_fill_block_per_rowILj128ELj16ELj256ELj137ELj64ElldEEvT5_PKS1_S3_NS_24const_host_device_scalarIT6_EEPKT4_S3_PKS5_S9_S3_SB_S6_S9_S3_SB_S9_PS1_PS5_21rocsparse_index_base_SE_SE_SE_bbb, .Lfunc_end115-_ZN9rocsparseL26csrgemm_fill_block_per_rowILj128ELj16ELj256ELj137ELj64ElldEEvT5_PKS1_S3_NS_24const_host_device_scalarIT6_EEPKT4_S3_PKS5_S9_S3_SB_S6_S9_S3_SB_S9_PS1_PS5_21rocsparse_index_base_SE_SE_SE_bbb
                                        ; -- End function
	.section	.AMDGPU.csdata,"",@progbits
; Kernel info:
; codeLenInByte = 2396
; NumSgprs: 61
; NumVgprs: 28
; NumAgprs: 0
; TotalNumVgprs: 28
; ScratchSize: 0
; MemoryBound: 0
; FloatMode: 240
; IeeeMode: 1
; LDSByteSize: 0 bytes/workgroup (compile time only)
; SGPRBlocks: 7
; VGPRBlocks: 3
; NumSGPRsForWavesPerEU: 61
; NumVGPRsForWavesPerEU: 28
; AccumOffset: 28
; Occupancy: 8
; WaveLimiterHint : 1
; COMPUTE_PGM_RSRC2:SCRATCH_EN: 0
; COMPUTE_PGM_RSRC2:USER_SGPR: 6
; COMPUTE_PGM_RSRC2:TRAP_HANDLER: 0
; COMPUTE_PGM_RSRC2:TGID_X_EN: 1
; COMPUTE_PGM_RSRC2:TGID_Y_EN: 0
; COMPUTE_PGM_RSRC2:TGID_Z_EN: 0
; COMPUTE_PGM_RSRC2:TIDIG_COMP_CNT: 0
; COMPUTE_PGM_RSRC3_GFX90A:ACCUM_OFFSET: 6
; COMPUTE_PGM_RSRC3_GFX90A:TG_SPLIT: 0
	.section	.text._ZN9rocsparseL26csrgemm_fill_block_per_rowILj256ELj32ELj512ELj137ELj32ElldEEvT5_PKS1_S3_NS_24const_host_device_scalarIT6_EEPKT4_S3_PKS5_S9_S3_SB_S6_S9_S3_SB_S9_PS1_PS5_21rocsparse_index_base_SE_SE_SE_bbb,"axG",@progbits,_ZN9rocsparseL26csrgemm_fill_block_per_rowILj256ELj32ELj512ELj137ELj32ElldEEvT5_PKS1_S3_NS_24const_host_device_scalarIT6_EEPKT4_S3_PKS5_S9_S3_SB_S6_S9_S3_SB_S9_PS1_PS5_21rocsparse_index_base_SE_SE_SE_bbb,comdat
	.globl	_ZN9rocsparseL26csrgemm_fill_block_per_rowILj256ELj32ELj512ELj137ELj32ElldEEvT5_PKS1_S3_NS_24const_host_device_scalarIT6_EEPKT4_S3_PKS5_S9_S3_SB_S6_S9_S3_SB_S9_PS1_PS5_21rocsparse_index_base_SE_SE_SE_bbb ; -- Begin function _ZN9rocsparseL26csrgemm_fill_block_per_rowILj256ELj32ELj512ELj137ELj32ElldEEvT5_PKS1_S3_NS_24const_host_device_scalarIT6_EEPKT4_S3_PKS5_S9_S3_SB_S6_S9_S3_SB_S9_PS1_PS5_21rocsparse_index_base_SE_SE_SE_bbb
	.p2align	8
	.type	_ZN9rocsparseL26csrgemm_fill_block_per_rowILj256ELj32ELj512ELj137ELj32ElldEEvT5_PKS1_S3_NS_24const_host_device_scalarIT6_EEPKT4_S3_PKS5_S9_S3_SB_S6_S9_S3_SB_S9_PS1_PS5_21rocsparse_index_base_SE_SE_SE_bbb,@function
_ZN9rocsparseL26csrgemm_fill_block_per_rowILj256ELj32ELj512ELj137ELj32ElldEEvT5_PKS1_S3_NS_24const_host_device_scalarIT6_EEPKT4_S3_PKS5_S9_S3_SB_S6_S9_S3_SB_S9_PS1_PS5_21rocsparse_index_base_SE_SE_SE_bbb: ; @_ZN9rocsparseL26csrgemm_fill_block_per_rowILj256ELj32ELj512ELj137ELj32ElldEEvT5_PKS1_S3_NS_24const_host_device_scalarIT6_EEPKT4_S3_PKS5_S9_S3_SB_S6_S9_S3_SB_S9_PS1_PS5_21rocsparse_index_base_SE_SE_SE_bbb
; %bb.0:
	s_load_dword s7, s[4:5], 0x98
	s_load_dwordx2 s[2:3], s[4:5], 0x18
	s_load_dwordx2 s[0:1], s[4:5], 0x50
	s_waitcnt lgkmcnt(0)
	s_and_b32 s10, 1, s7
	s_bitcmp1_b32 s7, 16
	s_cselect_b64 s[8:9], -1, 0
	s_cmp_eq_u32 s10, 1
	s_cselect_b64 s[44:45], -1, 0
	s_and_b64 s[10:11], s[44:45], exec
	s_cselect_b32 s11, s3, 0
	s_cselect_b32 s10, s2, 0
	s_xor_b64 s[12:13], s[44:45], -1
	s_or_b64 s[12:13], s[12:13], s[8:9]
	s_and_b64 vcc, exec, s[12:13]
	v_pk_mov_b32 v[4:5], s[10:11], s[10:11] op_sel:[0,1]
	s_cbranch_vccnz .LBB116_2
; %bb.1:
	v_pk_mov_b32 v[2:3], s[2:3], s[2:3] op_sel:[0,1]
	flat_load_dwordx2 v[4:5], v[2:3]
.LBB116_2:
	s_bitcmp1_b32 s7, 8
	s_load_dwordx4 s[28:31], s[4:5], 0x88
	s_cselect_b64 s[2:3], -1, 0
	s_and_b64 s[10:11], s[2:3], exec
	s_cselect_b32 s11, s1, 0
	s_cselect_b32 s10, s0, 0
	s_xor_b64 s[12:13], s[2:3], -1
	s_or_b64 s[8:9], s[12:13], s[8:9]
	s_and_b64 vcc, exec, s[8:9]
	v_pk_mov_b32 v[2:3], s[10:11], s[10:11] op_sel:[0,1]
	s_cbranch_vccnz .LBB116_4
; %bb.3:
	v_pk_mov_b32 v[2:3], s[0:1], s[0:1] op_sel:[0,1]
	flat_load_dwordx2 v[2:3], v[2:3]
.LBB116_4:
	s_load_dwordx4 s[36:39], s[4:5], 0x78
	s_load_dwordx8 s[12:19], s[4:5], 0x58
	s_load_dwordx4 s[8:11], s[4:5], 0x40
	s_load_dwordx4 s[40:43], s[4:5], 0x0
	s_load_dwordx2 s[34:35], s[4:5], 0x10
	s_load_dwordx8 s[20:27], s[4:5], 0x20
	s_movk_i32 s0, 0x200
	v_cmp_gt_u32_e64 s[0:1], s0, v0
	v_lshl_add_u32 v1, v0, 3, 0
	s_and_saveexec_b64 s[4:5], s[0:1]
	s_cbranch_execz .LBB116_7
; %bb.5:
	v_mov_b32_e32 v6, 0
	v_or_b32_e32 v10, 0xffffff00, v0
	v_lshl_add_u32 v11, v0, 3, 0
	s_mov_b64 s[46:47], 0
	s_waitcnt lgkmcnt(0)
	v_pk_mov_b32 v[8:9], s[40:41], s[40:41] op_sel:[0,1]
	v_mov_b32_e32 v7, v6
.LBB116_6:                              ; =>This Inner Loop Header: Depth=1
	v_add_co_u32_e32 v10, vcc, 0x100, v10
	s_xor_b64 s[48:49], vcc, -1
	s_and_b64 s[48:49], exec, s[48:49]
	ds_write2st64_b64 v11, v[8:9], v[6:7] offset1:8
	s_or_b64 s[46:47], s[48:49], s[46:47]
	v_add_u32_e32 v11, 0x800, v11
	s_andn2_b64 exec, exec, s[46:47]
	s_cbranch_execnz .LBB116_6
.LBB116_7:
	s_or_b64 exec, exec, s[4:5]
	s_waitcnt lgkmcnt(0)
	s_barrier
	s_load_dwordx2 s[4:5], s[42:43], 0x0
	s_mov_b32 s7, 0
	v_lshrrev_b32_e32 v19, 5, v0
	s_waitcnt lgkmcnt(0)
	s_lshl_b64 s[4:5], s[4:5], 3
	s_add_u32 s33, s34, s4
	s_addc_u32 s34, s35, s5
	s_lshl_b64 s[4:5], s[6:7], 3
	s_add_u32 s4, s33, s4
	s_addc_u32 s5, s34, s5
	s_load_dwordx2 s[34:35], s[4:5], 0x0
	s_and_b64 vcc, exec, s[44:45]
	s_cbranch_vccz .LBB116_27
; %bb.8:
	s_waitcnt lgkmcnt(0)
	s_lshl_b64 s[4:5], s[34:35], 3
	s_add_u32 s4, s20, s4
	s_addc_u32 s5, s21, s5
	s_load_dwordx4 s[44:47], s[4:5], 0x0
	v_subrev_co_u32_e32 v6, vcc, s28, v19
	v_subb_co_u32_e64 v7, s[20:21], 0, 0, vcc
	s_waitcnt lgkmcnt(0)
	s_sub_u32 s4, s46, s28
	v_mov_b32_e32 v8, s45
	v_add_co_u32_e32 v6, vcc, s44, v6
	s_subb_u32 s5, s47, 0
	v_addc_co_u32_e32 v7, vcc, v8, v7, vcc
	v_cmp_gt_i64_e32 vcc, s[4:5], v[6:7]
	s_and_saveexec_b64 s[20:21], vcc
	s_cbranch_execz .LBB116_26
; %bb.9:
	v_and_b32_e32 v8, 31, v0
	v_subrev_co_u32_e32 v22, vcc, s29, v8
	s_mov_b32 s33, s28
	s_mov_b32 s6, 0
	;; [unrolled: 1-line block ×3, first 2 shown]
	v_subb_co_u32_e64 v23, s[28:29], 0, 0, vcc
	s_mov_b64 s[28:29], 0
	v_mov_b32_e32 v24, s23
	v_mov_b32_e32 v25, s7
	;; [unrolled: 1-line block ×4, first 2 shown]
	s_movk_i32 s23, 0x89
	s_branch .LBB116_11
.LBB116_10:                             ;   in Loop: Header=BB116_11 Depth=1
	s_or_b64 exec, exec, s[6:7]
	v_add_co_u32_e32 v6, vcc, 8, v6
	v_addc_co_u32_e32 v7, vcc, 0, v7, vcc
	v_cmp_le_i64_e32 vcc, s[4:5], v[6:7]
	s_or_b64 s[28:29], vcc, s[28:29]
	s_andn2_b64 exec, exec, s[28:29]
	s_cbranch_execz .LBB116_26
.LBB116_11:                             ; =>This Loop Header: Depth=1
                                        ;     Child Loop BB116_14 Depth 2
                                        ;       Child Loop BB116_16 Depth 3
	v_lshlrev_b64 v[12:13], 3, v[6:7]
	v_add_co_u32_e32 v8, vcc, s22, v12
	v_addc_co_u32_e32 v9, vcc, v24, v13, vcc
	global_load_dwordx2 v[8:9], v[8:9], off
	s_waitcnt vmcnt(0)
	v_subrev_co_u32_e32 v8, vcc, s33, v8
	v_subb_co_u32_e32 v9, vcc, v9, v25, vcc
	v_lshlrev_b64 v[8:9], 3, v[8:9]
	v_add_co_u32_e32 v8, vcc, s26, v8
	v_addc_co_u32_e32 v9, vcc, v26, v9, vcc
	global_load_dwordx4 v[14:17], v[8:9], off
	s_waitcnt vmcnt(0)
	v_subrev_co_u32_e32 v8, vcc, s56, v16
	v_subb_co_u32_e32 v9, vcc, v17, v27, vcc
	v_add_co_u32_e32 v10, vcc, v14, v22
	v_addc_co_u32_e32 v11, vcc, v15, v23, vcc
	v_cmp_lt_i64_e32 vcc, v[10:11], v[8:9]
	s_and_saveexec_b64 s[6:7], vcc
	s_cbranch_execz .LBB116_10
; %bb.12:                               ;   in Loop: Header=BB116_11 Depth=1
	v_mov_b32_e32 v14, s25
	v_add_co_u32_e32 v12, vcc, s24, v12
	v_addc_co_u32_e32 v13, vcc, v14, v13, vcc
	global_load_dwordx2 v[12:13], v[12:13], off
	s_mov_b64 s[42:43], 0
	s_waitcnt vmcnt(0)
	v_mul_f64 v[12:13], v[4:5], v[12:13]
	s_branch .LBB116_14
.LBB116_13:                             ;   in Loop: Header=BB116_14 Depth=2
	s_or_b64 exec, exec, s[44:45]
	v_add_co_u32_e32 v10, vcc, 32, v10
	v_addc_co_u32_e32 v11, vcc, 0, v11, vcc
	v_cmp_ge_i64_e32 vcc, v[10:11], v[8:9]
	s_or_b64 s[42:43], vcc, s[42:43]
	s_andn2_b64 exec, exec, s[42:43]
	s_cbranch_execz .LBB116_10
.LBB116_14:                             ;   Parent Loop BB116_11 Depth=1
                                        ; =>  This Loop Header: Depth=2
                                        ;       Child Loop BB116_16 Depth 3
	v_lshlrev_b64 v[14:15], 3, v[10:11]
	v_mov_b32_e32 v17, s9
	v_add_co_u32_e32 v16, vcc, s8, v14
	v_addc_co_u32_e32 v17, vcc, v17, v15, vcc
	global_load_dwordx2 v[16:17], v[16:17], off
	v_mov_b32_e32 v18, s11
	v_add_co_u32_e32 v14, vcc, s10, v14
	v_addc_co_u32_e32 v15, vcc, v18, v15, vcc
	global_load_dwordx2 v[20:21], v[14:15], off
	s_mov_b64 s[44:45], 0
	s_waitcnt vmcnt(1)
	v_subrev_co_u32_e32 v14, vcc, s56, v16
	v_mul_lo_u32 v18, v14, s23
	v_subb_co_u32_e32 v15, vcc, v17, v27, vcc
	v_and_b32_e32 v18, 0x1ff, v18
	s_waitcnt vmcnt(0)
	v_mul_f64 v[16:17], v[12:13], v[20:21]
	s_branch .LBB116_16
.LBB116_15:                             ;   in Loop: Header=BB116_16 Depth=3
	s_or_b64 exec, exec, s[46:47]
	s_xor_b64 s[46:47], s[48:49], -1
	s_and_b64 s[46:47], exec, s[46:47]
	s_or_b64 s[44:45], s[46:47], s[44:45]
	s_andn2_b64 exec, exec, s[44:45]
	s_cbranch_execz .LBB116_13
.LBB116_16:                             ;   Parent Loop BB116_11 Depth=1
                                        ;     Parent Loop BB116_14 Depth=2
                                        ; =>    This Inner Loop Header: Depth=3
	v_lshl_add_u32 v28, v18, 3, 0
	ds_read_b64 v[20:21], v28
                                        ; implicit-def: $sgpr48_sgpr49
	s_waitcnt lgkmcnt(0)
	v_cmp_ne_u64_e32 vcc, v[20:21], v[14:15]
	s_and_saveexec_b64 s[46:47], vcc
	s_xor_b64 s[46:47], exec, s[46:47]
	s_cbranch_execz .LBB116_24
; %bb.17:                               ;   in Loop: Header=BB116_16 Depth=3
	v_cmp_ne_u64_e32 vcc, s[40:41], v[20:21]
                                        ; implicit-def: $sgpr48_sgpr49
	s_and_saveexec_b64 s[50:51], vcc
	s_xor_b64 s[50:51], exec, s[50:51]
; %bb.18:                               ;   in Loop: Header=BB116_16 Depth=3
	v_add_u32_e32 v18, 1, v18
	v_and_b32_e32 v18, 0x1ff, v18
	s_mov_b64 s[48:49], -1
                                        ; implicit-def: $vgpr28
; %bb.19:                               ;   in Loop: Header=BB116_16 Depth=3
	s_andn2_saveexec_b64 s[50:51], s[50:51]
	s_cbranch_execz .LBB116_23
; %bb.20:                               ;   in Loop: Header=BB116_16 Depth=3
	v_pk_mov_b32 v[20:21], s[40:41], s[40:41] op_sel:[0,1]
	ds_cmpst_rtn_b64 v[20:21], v28, v[20:21], v[14:15]
	s_mov_b64 s[52:53], -1
	s_waitcnt lgkmcnt(0)
	v_cmp_eq_u64_e32 vcc, s[40:41], v[20:21]
	s_and_saveexec_b64 s[54:55], vcc
	s_cbranch_execz .LBB116_22
; %bb.21:                               ;   in Loop: Header=BB116_16 Depth=3
	ds_add_f64 v28, v[16:17] offset:4096
	s_xor_b64 s[52:53], exec, -1
.LBB116_22:                             ;   in Loop: Header=BB116_16 Depth=3
	s_or_b64 exec, exec, s[54:55]
	s_andn2_b64 s[48:49], s[48:49], exec
	s_and_b64 s[52:53], s[52:53], exec
	s_or_b64 s[48:49], s[48:49], s[52:53]
.LBB116_23:                             ;   in Loop: Header=BB116_16 Depth=3
	s_or_b64 exec, exec, s[50:51]
	s_and_b64 s[48:49], s[48:49], exec
                                        ; implicit-def: $vgpr28
.LBB116_24:                             ;   in Loop: Header=BB116_16 Depth=3
	s_andn2_saveexec_b64 s[46:47], s[46:47]
	s_cbranch_execz .LBB116_15
; %bb.25:                               ;   in Loop: Header=BB116_16 Depth=3
	ds_add_f64 v28, v[16:17] offset:4096
	s_andn2_b64 s[48:49], s[48:49], exec
	s_branch .LBB116_15
.LBB116_26:
	s_or_b64 exec, exec, s[20:21]
.LBB116_27:
	s_andn2_b64 vcc, exec, s[2:3]
	s_cbranch_vccnz .LBB116_44
; %bb.28:
	s_waitcnt lgkmcnt(0)
	s_lshl_b64 s[2:3], s[34:35], 3
	s_add_u32 s2, s12, s2
	s_addc_u32 s3, s13, s3
	s_load_dwordx4 s[4:7], s[2:3], 0x0
	s_waitcnt vmcnt(0)
	v_subrev_co_u32_e32 v4, vcc, s31, v0
	s_mov_b32 s8, 0
	s_waitcnt lgkmcnt(0)
	s_sub_u32 s2, s6, s31
	s_subb_u32 s3, s7, 0
	v_subb_co_u32_e64 v5, s[6:7], 0, 0, vcc
	v_mov_b32_e32 v6, s5
	v_add_co_u32_e32 v4, vcc, s4, v4
	v_addc_co_u32_e32 v5, vcc, v6, v5, vcc
	v_cmp_gt_i64_e32 vcc, s[2:3], v[4:5]
	s_and_saveexec_b64 s[4:5], vcc
	s_cbranch_execz .LBB116_43
; %bb.29:
	s_mov_b32 s26, s31
	s_mov_b64 s[6:7], 0
	v_mov_b32_e32 v11, s15
	v_mov_b32_e32 v14, s8
	v_mov_b32_e32 v15, s17
	s_movk_i32 s15, 0x89
	s_branch .LBB116_31
.LBB116_30:                             ;   in Loop: Header=BB116_31 Depth=1
	s_or_b64 exec, exec, s[8:9]
	v_add_co_u32_e32 v4, vcc, 0x100, v4
	v_addc_co_u32_e32 v5, vcc, 0, v5, vcc
	v_cmp_le_i64_e32 vcc, s[2:3], v[4:5]
	s_or_b64 s[6:7], vcc, s[6:7]
	s_andn2_b64 exec, exec, s[6:7]
	s_cbranch_execz .LBB116_43
.LBB116_31:                             ; =>This Loop Header: Depth=1
                                        ;     Child Loop BB116_33 Depth 2
	v_lshlrev_b64 v[6:7], 3, v[4:5]
	v_add_co_u32_e32 v8, vcc, s14, v6
	v_addc_co_u32_e32 v9, vcc, v11, v7, vcc
	global_load_dwordx2 v[8:9], v[8:9], off
	v_add_co_u32_e32 v6, vcc, s16, v6
	v_addc_co_u32_e32 v7, vcc, v15, v7, vcc
	global_load_dwordx2 v[12:13], v[6:7], off
	s_mov_b64 s[8:9], 0
	s_waitcnt vmcnt(1)
	v_subrev_co_u32_e32 v6, vcc, s26, v8
	v_mul_lo_u32 v10, v6, s15
	v_subb_co_u32_e32 v7, vcc, v9, v14, vcc
	s_waitcnt vmcnt(0)
	v_mul_f64 v[8:9], v[2:3], v[12:13]
	v_and_b32_e32 v10, 0x1ff, v10
	s_branch .LBB116_33
.LBB116_32:                             ;   in Loop: Header=BB116_33 Depth=2
	s_or_b64 exec, exec, s[10:11]
	s_xor_b64 s[10:11], s[12:13], -1
	s_and_b64 s[10:11], exec, s[10:11]
	s_or_b64 s[8:9], s[10:11], s[8:9]
	s_andn2_b64 exec, exec, s[8:9]
	s_cbranch_execz .LBB116_30
.LBB116_33:                             ;   Parent Loop BB116_31 Depth=1
                                        ; =>  This Inner Loop Header: Depth=2
	v_lshl_add_u32 v16, v10, 3, 0
	ds_read_b64 v[12:13], v16
                                        ; implicit-def: $sgpr12_sgpr13
	s_waitcnt lgkmcnt(0)
	v_cmp_ne_u64_e32 vcc, v[12:13], v[6:7]
	s_and_saveexec_b64 s[10:11], vcc
	s_xor_b64 s[10:11], exec, s[10:11]
	s_cbranch_execz .LBB116_41
; %bb.34:                               ;   in Loop: Header=BB116_33 Depth=2
	v_cmp_ne_u64_e32 vcc, s[40:41], v[12:13]
                                        ; implicit-def: $sgpr12_sgpr13
	s_and_saveexec_b64 s[20:21], vcc
	s_xor_b64 s[20:21], exec, s[20:21]
; %bb.35:                               ;   in Loop: Header=BB116_33 Depth=2
	v_add_u32_e32 v10, 1, v10
	v_and_b32_e32 v10, 0x1ff, v10
	s_mov_b64 s[12:13], -1
                                        ; implicit-def: $vgpr16
; %bb.36:                               ;   in Loop: Header=BB116_33 Depth=2
	s_andn2_saveexec_b64 s[20:21], s[20:21]
	s_cbranch_execz .LBB116_40
; %bb.37:                               ;   in Loop: Header=BB116_33 Depth=2
	v_pk_mov_b32 v[12:13], s[40:41], s[40:41] op_sel:[0,1]
	ds_cmpst_rtn_b64 v[12:13], v16, v[12:13], v[6:7]
	s_mov_b64 s[22:23], -1
	s_waitcnt lgkmcnt(0)
	v_cmp_eq_u64_e32 vcc, s[40:41], v[12:13]
	s_and_saveexec_b64 s[24:25], vcc
	s_cbranch_execz .LBB116_39
; %bb.38:                               ;   in Loop: Header=BB116_33 Depth=2
	ds_add_f64 v16, v[8:9] offset:4096
	s_xor_b64 s[22:23], exec, -1
.LBB116_39:                             ;   in Loop: Header=BB116_33 Depth=2
	s_or_b64 exec, exec, s[24:25]
	s_andn2_b64 s[12:13], s[12:13], exec
	s_and_b64 s[22:23], s[22:23], exec
	s_or_b64 s[12:13], s[12:13], s[22:23]
.LBB116_40:                             ;   in Loop: Header=BB116_33 Depth=2
	s_or_b64 exec, exec, s[20:21]
	s_and_b64 s[12:13], s[12:13], exec
                                        ; implicit-def: $vgpr16
.LBB116_41:                             ;   in Loop: Header=BB116_33 Depth=2
	s_andn2_saveexec_b64 s[10:11], s[10:11]
	s_cbranch_execz .LBB116_32
; %bb.42:                               ;   in Loop: Header=BB116_33 Depth=2
	ds_add_f64 v16, v[8:9] offset:4096
	s_andn2_b64 s[12:13], s[12:13], exec
	s_branch .LBB116_32
.LBB116_43:
	s_or_b64 exec, exec, s[4:5]
.LBB116_44:
	s_waitcnt lgkmcnt(0)
	s_barrier
	s_and_saveexec_b64 s[16:17], s[0:1]
	s_cbranch_execz .LBB116_65
; %bb.45:
	s_waitcnt vmcnt(0)
	v_mbcnt_lo_u32_b32 v2, -1, 0
	v_mbcnt_hi_u32_b32 v2, -1, v2
	v_sub_u32_e32 v2, 63, v2
	s_movk_i32 s0, 0xff
	s_movk_i32 s6, 0x5f
	;; [unrolled: 1-line block ×6, first 2 shown]
	v_mov_b32_e32 v7, 0
	v_lshrrev_b64 v[8:9], v2, -1
	v_lshl_add_u32 v14, v19, 3, 0
	v_cmp_eq_u32_e64 s[0:1], s0, v0
	v_cmp_lt_u32_e64 s[2:3], 31, v0
	v_cmp_lt_u32_e64 s[4:5], 63, v0
	;; [unrolled: 1-line block ×7, first 2 shown]
	v_or_b32_e32 v15, 0xffffff00, v0
	s_mov_b64 s[20:21], 0
	v_pk_mov_b32 v[10:11], 0, 0
	s_branch .LBB116_47
.LBB116_46:                             ;   in Loop: Header=BB116_47 Depth=1
	s_or_b64 exec, exec, s[22:23]
	s_waitcnt lgkmcnt(0)
	s_barrier
	ds_read_b64 v[2:3], v7 offset:8248
	v_add_u32_e32 v1, 0x800, v1
	s_waitcnt lgkmcnt(0)
	v_add_co_u32_e32 v10, vcc, v2, v10
	v_addc_co_u32_e32 v11, vcc, v3, v11, vcc
	v_add_co_u32_e32 v15, vcc, 0x100, v15
	s_xor_b64 s[22:23], vcc, -1
	s_and_b64 s[22:23], exec, s[22:23]
	s_or_b64 s[20:21], s[22:23], s[20:21]
	s_andn2_b64 exec, exec, s[20:21]
	s_cbranch_execz .LBB116_65
.LBB116_47:                             ; =>This Inner Loop Header: Depth=1
	ds_read2st64_b64 v[2:5], v1 offset1:8
	s_waitcnt lgkmcnt(0)
	s_barrier
	v_cmp_gt_i64_e32 vcc, s[40:41], v[2:3]
	v_and_b32_e32 v13, vcc_lo, v8
	s_bcnt1_i32_b64 s22, vcc
	v_and_b32_e32 v12, vcc_hi, v9
	v_bcnt_u32_b32 v13, v13, 0
	v_mov_b32_e32 v6, s22
	v_bcnt_u32_b32 v12, v12, v13
	ds_write_b64 v14, v[6:7] offset:8192
	s_waitcnt lgkmcnt(0)
	s_barrier
	s_and_saveexec_b64 s[22:23], s[2:3]
	s_cbranch_execnz .LBB116_56
; %bb.48:                               ;   in Loop: Header=BB116_47 Depth=1
	s_or_b64 exec, exec, s[22:23]
	s_and_saveexec_b64 s[22:23], s[4:5]
	s_cbranch_execnz .LBB116_57
.LBB116_49:                             ;   in Loop: Header=BB116_47 Depth=1
	s_or_b64 exec, exec, s[22:23]
	s_and_saveexec_b64 s[22:23], s[6:7]
	s_cbranch_execnz .LBB116_58
.LBB116_50:                             ;   in Loop: Header=BB116_47 Depth=1
	s_or_b64 exec, exec, s[22:23]
	s_and_saveexec_b64 s[22:23], s[8:9]
	s_cbranch_execnz .LBB116_59
.LBB116_51:                             ;   in Loop: Header=BB116_47 Depth=1
	s_or_b64 exec, exec, s[22:23]
	s_and_saveexec_b64 s[22:23], s[10:11]
	s_cbranch_execnz .LBB116_60
.LBB116_52:                             ;   in Loop: Header=BB116_47 Depth=1
	s_or_b64 exec, exec, s[22:23]
	s_and_saveexec_b64 s[22:23], s[12:13]
	s_cbranch_execnz .LBB116_61
.LBB116_53:                             ;   in Loop: Header=BB116_47 Depth=1
	s_or_b64 exec, exec, s[22:23]
	s_and_saveexec_b64 s[22:23], s[14:15]
	s_cbranch_execnz .LBB116_62
.LBB116_54:                             ;   in Loop: Header=BB116_47 Depth=1
	s_or_b64 exec, exec, s[22:23]
	v_ashrrev_i32_e32 v13, 31, v12
	s_and_saveexec_b64 s[22:23], vcc
	s_cbranch_execnz .LBB116_63
.LBB116_55:                             ;   in Loop: Header=BB116_47 Depth=1
	s_or_b64 exec, exec, s[22:23]
	s_and_saveexec_b64 s[22:23], s[0:1]
	s_cbranch_execz .LBB116_46
	s_branch .LBB116_64
.LBB116_56:                             ;   in Loop: Header=BB116_47 Depth=1
	ds_read_b32 v6, v7 offset:8192
	s_waitcnt lgkmcnt(0)
	v_add_u32_e32 v12, v6, v12
	s_or_b64 exec, exec, s[22:23]
	s_and_saveexec_b64 s[22:23], s[4:5]
	s_cbranch_execz .LBB116_49
.LBB116_57:                             ;   in Loop: Header=BB116_47 Depth=1
	ds_read_b32 v6, v7 offset:8200
	s_waitcnt lgkmcnt(0)
	v_add_u32_e32 v12, v12, v6
	s_or_b64 exec, exec, s[22:23]
	s_and_saveexec_b64 s[22:23], s[6:7]
	s_cbranch_execz .LBB116_50
.LBB116_58:                             ;   in Loop: Header=BB116_47 Depth=1
	ds_read_b32 v6, v7 offset:8208
	s_waitcnt lgkmcnt(0)
	v_add_u32_e32 v12, v12, v6
	s_or_b64 exec, exec, s[22:23]
	s_and_saveexec_b64 s[22:23], s[8:9]
	s_cbranch_execz .LBB116_51
.LBB116_59:                             ;   in Loop: Header=BB116_47 Depth=1
	ds_read_b32 v6, v7 offset:8216
	s_waitcnt lgkmcnt(0)
	v_add_u32_e32 v12, v12, v6
	s_or_b64 exec, exec, s[22:23]
	s_and_saveexec_b64 s[22:23], s[10:11]
	s_cbranch_execz .LBB116_52
.LBB116_60:                             ;   in Loop: Header=BB116_47 Depth=1
	ds_read_b32 v6, v7 offset:8224
	s_waitcnt lgkmcnt(0)
	v_add_u32_e32 v12, v12, v6
	s_or_b64 exec, exec, s[22:23]
	s_and_saveexec_b64 s[22:23], s[12:13]
	s_cbranch_execz .LBB116_53
.LBB116_61:                             ;   in Loop: Header=BB116_47 Depth=1
	ds_read_b32 v6, v7 offset:8232
	s_waitcnt lgkmcnt(0)
	v_add_u32_e32 v12, v12, v6
	s_or_b64 exec, exec, s[22:23]
	s_and_saveexec_b64 s[22:23], s[14:15]
	s_cbranch_execz .LBB116_54
.LBB116_62:                             ;   in Loop: Header=BB116_47 Depth=1
	ds_read_b32 v6, v7 offset:8240
	s_waitcnt lgkmcnt(0)
	v_add_u32_e32 v12, v12, v6
	s_or_b64 exec, exec, s[22:23]
	v_ashrrev_i32_e32 v13, 31, v12
	s_and_saveexec_b64 s[22:23], vcc
	s_cbranch_execz .LBB116_55
.LBB116_63:                             ;   in Loop: Header=BB116_47 Depth=1
	v_add3_u32 v6, v10, -1, v12
	v_lshl_add_u32 v6, v6, 3, 0
	ds_write2st64_b64 v6, v[2:3], v[4:5] offset1:8
	s_or_b64 exec, exec, s[22:23]
	s_and_saveexec_b64 s[22:23], s[0:1]
	s_cbranch_execz .LBB116_46
.LBB116_64:                             ;   in Loop: Header=BB116_47 Depth=1
	ds_write_b64 v7, v[12:13] offset:8248
	s_branch .LBB116_46
.LBB116_65:
	s_or_b64 exec, exec, s[16:17]
	s_lshl_b64 s[0:1], s[34:35], 3
	s_add_u32 s0, s18, s0
	s_addc_u32 s1, s19, s1
	s_load_dwordx4 s[0:3], s[0:1], 0x0
	v_mov_b32_e32 v1, 0
	s_waitcnt lgkmcnt(0)
	s_sub_u32 s4, s2, s0
	s_subb_u32 s5, s3, s1
	v_cmp_gt_i64_e32 vcc, s[4:5], v[0:1]
	s_and_saveexec_b64 s[6:7], vcc
	s_cbranch_execz .LBB116_75
; %bb.66:
	s_sub_u32 s6, s0, s30
	s_subb_u32 s7, s1, 0
	s_and_b32 s8, s4, 7
	s_sub_u32 s0, s0, s2
	s_mov_b32 s16, 0
	s_subb_u32 s1, s1, s3
	s_mov_b32 s9, s16
	s_and_b32 s2, s4, -8
	v_cmp_lt_u64_e64 s[0:1], s[0:1], -7
	s_cmp_lg_u64 s[8:9], 0
	s_waitcnt vmcnt(0)
	v_cndmask_b32_e64 v2, 0, 1, s[0:1]
	s_mov_b32 s3, s5
	s_mov_b64 s[10:11], 0
	s_cselect_b64 s[12:13], -1, 0
	v_cmp_ne_u32_e64 s[0:1], 1, v2
	s_branch .LBB116_68
.LBB116_67:                             ;   in Loop: Header=BB116_68 Depth=1
	v_mov_b32_e32 v8, s16
	s_waitcnt lgkmcnt(0)
	v_add_co_u32_e32 v2, vcc, s30, v2
	v_addc_co_u32_e32 v3, vcc, v3, v8, vcc
	v_lshlrev_b64 v[6:7], 3, v[6:7]
	v_mov_b32_e32 v9, s37
	v_add_co_u32_e32 v8, vcc, s36, v6
	v_addc_co_u32_e32 v9, vcc, v9, v7, vcc
	global_store_dwordx2 v[8:9], v[2:3], off
	v_mov_b32_e32 v3, s39
	v_add_co_u32_e32 v2, vcc, s38, v6
	v_addc_co_u32_e32 v3, vcc, v3, v7, vcc
	v_add_co_u32_e32 v0, vcc, 0x100, v0
	v_addc_co_u32_e32 v1, vcc, 0, v1, vcc
	v_cmp_le_i64_e32 vcc, s[4:5], v[0:1]
	s_or_b64 s[10:11], vcc, s[10:11]
	global_store_dwordx2 v[2:3], v[4:5], off
	s_andn2_b64 exec, exec, s[10:11]
	s_cbranch_execz .LBB116_75
.LBB116_68:                             ; =>This Loop Header: Depth=1
                                        ;     Child Loop BB116_70 Depth 2
                                        ;     Child Loop BB116_74 Depth 2
	v_lshl_add_u32 v2, v0, 3, 0
	ds_read2st64_b64 v[2:5], v2 offset1:8
	s_and_b64 vcc, exec, s[0:1]
	v_pk_mov_b32 v[6:7], s[6:7], s[6:7] op_sel:[0,1]
	s_mov_b64 s[14:15], 0
	s_cbranch_vccnz .LBB116_72
; %bb.69:                               ;   in Loop: Header=BB116_68 Depth=1
	s_mov_b32 s17, 0
	v_pk_mov_b32 v[6:7], s[6:7], s[6:7] op_sel:[0,1]
.LBB116_70:                             ;   Parent Loop BB116_68 Depth=1
                                        ; =>  This Inner Loop Header: Depth=2
	v_mov_b32_e32 v20, s17
	ds_read2_b64 v[8:11], v20 offset1:1
	ds_read2_b64 v[12:15], v20 offset0:2 offset1:3
	ds_read2_b64 v[16:19], v20 offset0:4 offset1:5
	;; [unrolled: 1-line block ×3, first 2 shown]
	s_add_u32 s14, s14, 8
	s_waitcnt lgkmcnt(3)
	v_cmp_gt_i64_e32 vcc, v[2:3], v[8:9]
	v_cndmask_b32_e64 v8, 0, 1, vcc
	v_cmp_gt_i64_e32 vcc, v[2:3], v[10:11]
	v_cndmask_b32_e64 v9, 0, 1, vcc
	s_waitcnt lgkmcnt(2)
	v_cmp_gt_i64_e32 vcc, v[2:3], v[12:13]
	v_cndmask_b32_e64 v10, 0, 1, vcc
	v_cmp_gt_i64_e32 vcc, v[2:3], v[14:15]
	v_cndmask_b32_e64 v11, 0, 1, vcc
	;; [unrolled: 5-line block ×4, first 2 shown]
	v_add_co_u32_e32 v6, vcc, v6, v8
	v_addc_co_u32_e32 v7, vcc, 0, v7, vcc
	v_add_co_u32_e32 v6, vcc, v6, v9
	v_addc_co_u32_e32 v7, vcc, 0, v7, vcc
	;; [unrolled: 2-line block ×7, first 2 shown]
	s_addc_u32 s15, s15, 0
	s_add_i32 s17, s17, 64
	v_add_co_u32_e32 v6, vcc, v6, v15
	s_cmp_eq_u64 s[2:3], s[14:15]
	v_addc_co_u32_e32 v7, vcc, 0, v7, vcc
	s_cbranch_scc0 .LBB116_70
; %bb.71:                               ;   in Loop: Header=BB116_68 Depth=1
	s_mov_b64 s[14:15], s[2:3]
.LBB116_72:                             ;   in Loop: Header=BB116_68 Depth=1
	s_andn2_b64 vcc, exec, s[12:13]
	s_cbranch_vccnz .LBB116_67
; %bb.73:                               ;   in Loop: Header=BB116_68 Depth=1
	s_lshl_b32 s14, s14, 3
	s_add_i32 s17, s14, 0
	s_mov_b64 s[14:15], s[8:9]
.LBB116_74:                             ;   Parent Loop BB116_68 Depth=1
                                        ; =>  This Inner Loop Header: Depth=2
	v_mov_b32_e32 v8, s17
	ds_read_b64 v[8:9], v8
	s_add_i32 s17, s17, 8
	s_add_u32 s14, s14, -1
	s_addc_u32 s15, s15, -1
	s_cmp_lg_u64 s[14:15], 0
	s_waitcnt lgkmcnt(0)
	v_cmp_gt_i64_e32 vcc, v[2:3], v[8:9]
	v_cndmask_b32_e64 v8, 0, 1, vcc
	v_add_co_u32_e32 v6, vcc, v6, v8
	v_addc_co_u32_e32 v7, vcc, 0, v7, vcc
	s_cbranch_scc1 .LBB116_74
	s_branch .LBB116_67
.LBB116_75:
	s_endpgm
	.section	.rodata,"a",@progbits
	.p2align	6, 0x0
	.amdhsa_kernel _ZN9rocsparseL26csrgemm_fill_block_per_rowILj256ELj32ELj512ELj137ELj32ElldEEvT5_PKS1_S3_NS_24const_host_device_scalarIT6_EEPKT4_S3_PKS5_S9_S3_SB_S6_S9_S3_SB_S9_PS1_PS5_21rocsparse_index_base_SE_SE_SE_bbb
		.amdhsa_group_segment_fixed_size 0
		.amdhsa_private_segment_fixed_size 0
		.amdhsa_kernarg_size 156
		.amdhsa_user_sgpr_count 6
		.amdhsa_user_sgpr_private_segment_buffer 1
		.amdhsa_user_sgpr_dispatch_ptr 0
		.amdhsa_user_sgpr_queue_ptr 0
		.amdhsa_user_sgpr_kernarg_segment_ptr 1
		.amdhsa_user_sgpr_dispatch_id 0
		.amdhsa_user_sgpr_flat_scratch_init 0
		.amdhsa_user_sgpr_kernarg_preload_length 0
		.amdhsa_user_sgpr_kernarg_preload_offset 0
		.amdhsa_user_sgpr_private_segment_size 0
		.amdhsa_uses_dynamic_stack 0
		.amdhsa_system_sgpr_private_segment_wavefront_offset 0
		.amdhsa_system_sgpr_workgroup_id_x 1
		.amdhsa_system_sgpr_workgroup_id_y 0
		.amdhsa_system_sgpr_workgroup_id_z 0
		.amdhsa_system_sgpr_workgroup_info 0
		.amdhsa_system_vgpr_workitem_id 0
		.amdhsa_next_free_vgpr 29
		.amdhsa_next_free_sgpr 57
		.amdhsa_accum_offset 32
		.amdhsa_reserve_vcc 1
		.amdhsa_reserve_flat_scratch 0
		.amdhsa_float_round_mode_32 0
		.amdhsa_float_round_mode_16_64 0
		.amdhsa_float_denorm_mode_32 3
		.amdhsa_float_denorm_mode_16_64 3
		.amdhsa_dx10_clamp 1
		.amdhsa_ieee_mode 1
		.amdhsa_fp16_overflow 0
		.amdhsa_tg_split 0
		.amdhsa_exception_fp_ieee_invalid_op 0
		.amdhsa_exception_fp_denorm_src 0
		.amdhsa_exception_fp_ieee_div_zero 0
		.amdhsa_exception_fp_ieee_overflow 0
		.amdhsa_exception_fp_ieee_underflow 0
		.amdhsa_exception_fp_ieee_inexact 0
		.amdhsa_exception_int_div_zero 0
	.end_amdhsa_kernel
	.section	.text._ZN9rocsparseL26csrgemm_fill_block_per_rowILj256ELj32ELj512ELj137ELj32ElldEEvT5_PKS1_S3_NS_24const_host_device_scalarIT6_EEPKT4_S3_PKS5_S9_S3_SB_S6_S9_S3_SB_S9_PS1_PS5_21rocsparse_index_base_SE_SE_SE_bbb,"axG",@progbits,_ZN9rocsparseL26csrgemm_fill_block_per_rowILj256ELj32ELj512ELj137ELj32ElldEEvT5_PKS1_S3_NS_24const_host_device_scalarIT6_EEPKT4_S3_PKS5_S9_S3_SB_S6_S9_S3_SB_S9_PS1_PS5_21rocsparse_index_base_SE_SE_SE_bbb,comdat
.Lfunc_end116:
	.size	_ZN9rocsparseL26csrgemm_fill_block_per_rowILj256ELj32ELj512ELj137ELj32ElldEEvT5_PKS1_S3_NS_24const_host_device_scalarIT6_EEPKT4_S3_PKS5_S9_S3_SB_S6_S9_S3_SB_S9_PS1_PS5_21rocsparse_index_base_SE_SE_SE_bbb, .Lfunc_end116-_ZN9rocsparseL26csrgemm_fill_block_per_rowILj256ELj32ELj512ELj137ELj32ElldEEvT5_PKS1_S3_NS_24const_host_device_scalarIT6_EEPKT4_S3_PKS5_S9_S3_SB_S6_S9_S3_SB_S9_PS1_PS5_21rocsparse_index_base_SE_SE_SE_bbb
                                        ; -- End function
	.section	.AMDGPU.csdata,"",@progbits
; Kernel info:
; codeLenInByte = 2700
; NumSgprs: 61
; NumVgprs: 29
; NumAgprs: 0
; TotalNumVgprs: 29
; ScratchSize: 0
; MemoryBound: 0
; FloatMode: 240
; IeeeMode: 1
; LDSByteSize: 0 bytes/workgroup (compile time only)
; SGPRBlocks: 7
; VGPRBlocks: 3
; NumSGPRsForWavesPerEU: 61
; NumVGPRsForWavesPerEU: 29
; AccumOffset: 32
; Occupancy: 8
; WaveLimiterHint : 1
; COMPUTE_PGM_RSRC2:SCRATCH_EN: 0
; COMPUTE_PGM_RSRC2:USER_SGPR: 6
; COMPUTE_PGM_RSRC2:TRAP_HANDLER: 0
; COMPUTE_PGM_RSRC2:TGID_X_EN: 1
; COMPUTE_PGM_RSRC2:TGID_Y_EN: 0
; COMPUTE_PGM_RSRC2:TGID_Z_EN: 0
; COMPUTE_PGM_RSRC2:TIDIG_COMP_CNT: 0
; COMPUTE_PGM_RSRC3_GFX90A:ACCUM_OFFSET: 7
; COMPUTE_PGM_RSRC3_GFX90A:TG_SPLIT: 0
	.section	.text._ZN9rocsparseL26csrgemm_fill_block_per_rowILj256ELj32ELj512ELj137ELj64ElldEEvT5_PKS1_S3_NS_24const_host_device_scalarIT6_EEPKT4_S3_PKS5_S9_S3_SB_S6_S9_S3_SB_S9_PS1_PS5_21rocsparse_index_base_SE_SE_SE_bbb,"axG",@progbits,_ZN9rocsparseL26csrgemm_fill_block_per_rowILj256ELj32ELj512ELj137ELj64ElldEEvT5_PKS1_S3_NS_24const_host_device_scalarIT6_EEPKT4_S3_PKS5_S9_S3_SB_S6_S9_S3_SB_S9_PS1_PS5_21rocsparse_index_base_SE_SE_SE_bbb,comdat
	.globl	_ZN9rocsparseL26csrgemm_fill_block_per_rowILj256ELj32ELj512ELj137ELj64ElldEEvT5_PKS1_S3_NS_24const_host_device_scalarIT6_EEPKT4_S3_PKS5_S9_S3_SB_S6_S9_S3_SB_S9_PS1_PS5_21rocsparse_index_base_SE_SE_SE_bbb ; -- Begin function _ZN9rocsparseL26csrgemm_fill_block_per_rowILj256ELj32ELj512ELj137ELj64ElldEEvT5_PKS1_S3_NS_24const_host_device_scalarIT6_EEPKT4_S3_PKS5_S9_S3_SB_S6_S9_S3_SB_S9_PS1_PS5_21rocsparse_index_base_SE_SE_SE_bbb
	.p2align	8
	.type	_ZN9rocsparseL26csrgemm_fill_block_per_rowILj256ELj32ELj512ELj137ELj64ElldEEvT5_PKS1_S3_NS_24const_host_device_scalarIT6_EEPKT4_S3_PKS5_S9_S3_SB_S6_S9_S3_SB_S9_PS1_PS5_21rocsparse_index_base_SE_SE_SE_bbb,@function
_ZN9rocsparseL26csrgemm_fill_block_per_rowILj256ELj32ELj512ELj137ELj64ElldEEvT5_PKS1_S3_NS_24const_host_device_scalarIT6_EEPKT4_S3_PKS5_S9_S3_SB_S6_S9_S3_SB_S9_PS1_PS5_21rocsparse_index_base_SE_SE_SE_bbb: ; @_ZN9rocsparseL26csrgemm_fill_block_per_rowILj256ELj32ELj512ELj137ELj64ElldEEvT5_PKS1_S3_NS_24const_host_device_scalarIT6_EEPKT4_S3_PKS5_S9_S3_SB_S6_S9_S3_SB_S9_PS1_PS5_21rocsparse_index_base_SE_SE_SE_bbb
; %bb.0:
	s_load_dword s7, s[4:5], 0x98
	s_load_dwordx2 s[2:3], s[4:5], 0x18
	s_load_dwordx2 s[0:1], s[4:5], 0x50
	s_waitcnt lgkmcnt(0)
	s_and_b32 s10, 1, s7
	s_bitcmp1_b32 s7, 16
	s_cselect_b64 s[8:9], -1, 0
	s_cmp_eq_u32 s10, 1
	s_cselect_b64 s[44:45], -1, 0
	s_and_b64 s[10:11], s[44:45], exec
	s_cselect_b32 s11, s3, 0
	s_cselect_b32 s10, s2, 0
	s_xor_b64 s[12:13], s[44:45], -1
	s_or_b64 s[12:13], s[12:13], s[8:9]
	s_and_b64 vcc, exec, s[12:13]
	v_pk_mov_b32 v[4:5], s[10:11], s[10:11] op_sel:[0,1]
	s_cbranch_vccnz .LBB117_2
; %bb.1:
	v_pk_mov_b32 v[2:3], s[2:3], s[2:3] op_sel:[0,1]
	flat_load_dwordx2 v[4:5], v[2:3]
.LBB117_2:
	s_bitcmp1_b32 s7, 8
	s_load_dwordx4 s[24:27], s[4:5], 0x88
	s_cselect_b64 s[2:3], -1, 0
	s_and_b64 s[10:11], s[2:3], exec
	s_cselect_b32 s11, s1, 0
	s_cselect_b32 s10, s0, 0
	s_xor_b64 s[12:13], s[2:3], -1
	s_or_b64 s[8:9], s[12:13], s[8:9]
	s_and_b64 vcc, exec, s[8:9]
	v_pk_mov_b32 v[2:3], s[10:11], s[10:11] op_sel:[0,1]
	s_cbranch_vccnz .LBB117_4
; %bb.3:
	v_pk_mov_b32 v[2:3], s[0:1], s[0:1] op_sel:[0,1]
	flat_load_dwordx2 v[2:3], v[2:3]
.LBB117_4:
	s_load_dwordx4 s[28:31], s[4:5], 0x78
	s_load_dwordx8 s[8:15], s[4:5], 0x58
	s_load_dwordx4 s[40:43], s[4:5], 0x40
	s_load_dwordx4 s[36:39], s[4:5], 0x0
	s_load_dwordx2 s[34:35], s[4:5], 0x10
	s_load_dwordx8 s[16:23], s[4:5], 0x20
	s_movk_i32 s0, 0x200
	v_cmp_gt_u32_e64 s[0:1], s0, v0
	v_lshl_add_u32 v1, v0, 3, 0
	s_and_saveexec_b64 s[4:5], s[0:1]
	s_cbranch_execz .LBB117_7
; %bb.5:
	v_mov_b32_e32 v6, 0
	v_or_b32_e32 v10, 0xffffff00, v0
	v_lshl_add_u32 v11, v0, 3, 0
	s_mov_b64 s[46:47], 0
	s_waitcnt lgkmcnt(0)
	v_pk_mov_b32 v[8:9], s[36:37], s[36:37] op_sel:[0,1]
	v_mov_b32_e32 v7, v6
.LBB117_6:                              ; =>This Inner Loop Header: Depth=1
	v_add_co_u32_e32 v10, vcc, 0x100, v10
	s_xor_b64 s[48:49], vcc, -1
	s_and_b64 s[48:49], exec, s[48:49]
	ds_write2st64_b64 v11, v[8:9], v[6:7] offset1:8
	s_or_b64 s[46:47], s[48:49], s[46:47]
	v_add_u32_e32 v11, 0x800, v11
	s_andn2_b64 exec, exec, s[46:47]
	s_cbranch_execnz .LBB117_6
.LBB117_7:
	s_or_b64 exec, exec, s[4:5]
	s_waitcnt lgkmcnt(0)
	s_barrier
	s_load_dwordx2 s[4:5], s[38:39], 0x0
	s_mov_b32 s7, 0
	s_waitcnt lgkmcnt(0)
	s_lshl_b64 s[4:5], s[4:5], 3
	s_add_u32 s33, s34, s4
	s_addc_u32 s34, s35, s5
	s_lshl_b64 s[4:5], s[6:7], 3
	s_add_u32 s4, s33, s4
	s_addc_u32 s5, s34, s5
	s_load_dwordx2 s[34:35], s[4:5], 0x0
	s_and_b64 vcc, exec, s[44:45]
	s_cbranch_vccz .LBB117_27
; %bb.8:
	s_waitcnt lgkmcnt(0)
	s_lshl_b64 s[4:5], s[34:35], 3
	s_add_u32 s4, s16, s4
	s_addc_u32 s5, s17, s5
	s_load_dwordx4 s[44:47], s[4:5], 0x0
	v_lshrrev_b32_e32 v6, 5, v0
	v_subrev_co_u32_e32 v6, vcc, s24, v6
	v_subb_co_u32_e64 v7, s[16:17], 0, 0, vcc
	s_waitcnt lgkmcnt(0)
	s_sub_u32 s4, s46, s24
	v_mov_b32_e32 v8, s45
	v_add_co_u32_e32 v6, vcc, s44, v6
	s_subb_u32 s5, s47, 0
	v_addc_co_u32_e32 v7, vcc, v8, v7, vcc
	v_cmp_gt_i64_e32 vcc, s[4:5], v[6:7]
	s_and_saveexec_b64 s[16:17], vcc
	s_cbranch_execz .LBB117_26
; %bb.9:
	v_and_b32_e32 v8, 31, v0
	v_subrev_co_u32_e32 v19, vcc, s25, v8
	s_mov_b32 s33, s24
	s_mov_b32 s6, 0
	;; [unrolled: 1-line block ×3, first 2 shown]
	v_subb_co_u32_e64 v22, s[24:25], 0, 0, vcc
	s_mov_b64 s[24:25], 0
	v_mov_b32_e32 v23, s19
	v_mov_b32_e32 v24, s7
	v_mov_b32_e32 v25, s23
	v_mov_b32_e32 v26, s6
	s_movk_i32 s19, 0x89
	s_branch .LBB117_11
.LBB117_10:                             ;   in Loop: Header=BB117_11 Depth=1
	s_or_b64 exec, exec, s[6:7]
	v_add_co_u32_e32 v6, vcc, 8, v6
	v_addc_co_u32_e32 v7, vcc, 0, v7, vcc
	v_cmp_le_i64_e32 vcc, s[4:5], v[6:7]
	s_or_b64 s[24:25], vcc, s[24:25]
	s_andn2_b64 exec, exec, s[24:25]
	s_cbranch_execz .LBB117_26
.LBB117_11:                             ; =>This Loop Header: Depth=1
                                        ;     Child Loop BB117_14 Depth 2
                                        ;       Child Loop BB117_16 Depth 3
	v_lshlrev_b64 v[12:13], 3, v[6:7]
	v_add_co_u32_e32 v8, vcc, s18, v12
	v_addc_co_u32_e32 v9, vcc, v23, v13, vcc
	global_load_dwordx2 v[8:9], v[8:9], off
	s_waitcnt vmcnt(0)
	v_subrev_co_u32_e32 v8, vcc, s33, v8
	v_subb_co_u32_e32 v9, vcc, v9, v24, vcc
	v_lshlrev_b64 v[8:9], 3, v[8:9]
	v_add_co_u32_e32 v8, vcc, s22, v8
	v_addc_co_u32_e32 v9, vcc, v25, v9, vcc
	global_load_dwordx4 v[14:17], v[8:9], off
	s_waitcnt vmcnt(0)
	v_subrev_co_u32_e32 v8, vcc, s56, v16
	v_subb_co_u32_e32 v9, vcc, v17, v26, vcc
	v_add_co_u32_e32 v10, vcc, v14, v19
	v_addc_co_u32_e32 v11, vcc, v15, v22, vcc
	v_cmp_lt_i64_e32 vcc, v[10:11], v[8:9]
	s_and_saveexec_b64 s[6:7], vcc
	s_cbranch_execz .LBB117_10
; %bb.12:                               ;   in Loop: Header=BB117_11 Depth=1
	v_mov_b32_e32 v14, s21
	v_add_co_u32_e32 v12, vcc, s20, v12
	v_addc_co_u32_e32 v13, vcc, v14, v13, vcc
	global_load_dwordx2 v[12:13], v[12:13], off
	s_mov_b64 s[38:39], 0
	s_waitcnt vmcnt(0)
	v_mul_f64 v[12:13], v[4:5], v[12:13]
	s_branch .LBB117_14
.LBB117_13:                             ;   in Loop: Header=BB117_14 Depth=2
	s_or_b64 exec, exec, s[44:45]
	v_add_co_u32_e32 v10, vcc, 32, v10
	v_addc_co_u32_e32 v11, vcc, 0, v11, vcc
	v_cmp_ge_i64_e32 vcc, v[10:11], v[8:9]
	s_or_b64 s[38:39], vcc, s[38:39]
	s_andn2_b64 exec, exec, s[38:39]
	s_cbranch_execz .LBB117_10
.LBB117_14:                             ;   Parent Loop BB117_11 Depth=1
                                        ; =>  This Loop Header: Depth=2
                                        ;       Child Loop BB117_16 Depth 3
	v_lshlrev_b64 v[14:15], 3, v[10:11]
	v_mov_b32_e32 v17, s41
	v_add_co_u32_e32 v16, vcc, s40, v14
	v_addc_co_u32_e32 v17, vcc, v17, v15, vcc
	global_load_dwordx2 v[16:17], v[16:17], off
	v_mov_b32_e32 v18, s43
	v_add_co_u32_e32 v14, vcc, s42, v14
	v_addc_co_u32_e32 v15, vcc, v18, v15, vcc
	global_load_dwordx2 v[20:21], v[14:15], off
	s_mov_b64 s[44:45], 0
	s_waitcnt vmcnt(1)
	v_subrev_co_u32_e32 v14, vcc, s56, v16
	v_mul_lo_u32 v18, v14, s19
	v_subb_co_u32_e32 v15, vcc, v17, v26, vcc
	v_and_b32_e32 v18, 0x1ff, v18
	s_waitcnt vmcnt(0)
	v_mul_f64 v[16:17], v[12:13], v[20:21]
	s_branch .LBB117_16
.LBB117_15:                             ;   in Loop: Header=BB117_16 Depth=3
	s_or_b64 exec, exec, s[46:47]
	s_xor_b64 s[46:47], s[48:49], -1
	s_and_b64 s[46:47], exec, s[46:47]
	s_or_b64 s[44:45], s[46:47], s[44:45]
	s_andn2_b64 exec, exec, s[44:45]
	s_cbranch_execz .LBB117_13
.LBB117_16:                             ;   Parent Loop BB117_11 Depth=1
                                        ;     Parent Loop BB117_14 Depth=2
                                        ; =>    This Inner Loop Header: Depth=3
	v_lshl_add_u32 v27, v18, 3, 0
	ds_read_b64 v[20:21], v27
                                        ; implicit-def: $sgpr48_sgpr49
	s_waitcnt lgkmcnt(0)
	v_cmp_ne_u64_e32 vcc, v[20:21], v[14:15]
	s_and_saveexec_b64 s[46:47], vcc
	s_xor_b64 s[46:47], exec, s[46:47]
	s_cbranch_execz .LBB117_24
; %bb.17:                               ;   in Loop: Header=BB117_16 Depth=3
	v_cmp_ne_u64_e32 vcc, s[36:37], v[20:21]
                                        ; implicit-def: $sgpr48_sgpr49
	s_and_saveexec_b64 s[50:51], vcc
	s_xor_b64 s[50:51], exec, s[50:51]
; %bb.18:                               ;   in Loop: Header=BB117_16 Depth=3
	v_add_u32_e32 v18, 1, v18
	v_and_b32_e32 v18, 0x1ff, v18
	s_mov_b64 s[48:49], -1
                                        ; implicit-def: $vgpr27
; %bb.19:                               ;   in Loop: Header=BB117_16 Depth=3
	s_andn2_saveexec_b64 s[50:51], s[50:51]
	s_cbranch_execz .LBB117_23
; %bb.20:                               ;   in Loop: Header=BB117_16 Depth=3
	v_pk_mov_b32 v[20:21], s[36:37], s[36:37] op_sel:[0,1]
	ds_cmpst_rtn_b64 v[20:21], v27, v[20:21], v[14:15]
	s_mov_b64 s[52:53], -1
	s_waitcnt lgkmcnt(0)
	v_cmp_eq_u64_e32 vcc, s[36:37], v[20:21]
	s_and_saveexec_b64 s[54:55], vcc
	s_cbranch_execz .LBB117_22
; %bb.21:                               ;   in Loop: Header=BB117_16 Depth=3
	ds_add_f64 v27, v[16:17] offset:4096
	s_xor_b64 s[52:53], exec, -1
.LBB117_22:                             ;   in Loop: Header=BB117_16 Depth=3
	s_or_b64 exec, exec, s[54:55]
	s_andn2_b64 s[48:49], s[48:49], exec
	s_and_b64 s[52:53], s[52:53], exec
	s_or_b64 s[48:49], s[48:49], s[52:53]
.LBB117_23:                             ;   in Loop: Header=BB117_16 Depth=3
	s_or_b64 exec, exec, s[50:51]
	s_and_b64 s[48:49], s[48:49], exec
                                        ; implicit-def: $vgpr27
.LBB117_24:                             ;   in Loop: Header=BB117_16 Depth=3
	s_andn2_saveexec_b64 s[46:47], s[46:47]
	s_cbranch_execz .LBB117_15
; %bb.25:                               ;   in Loop: Header=BB117_16 Depth=3
	ds_add_f64 v27, v[16:17] offset:4096
	s_andn2_b64 s[48:49], s[48:49], exec
	s_branch .LBB117_15
.LBB117_26:
	s_or_b64 exec, exec, s[16:17]
.LBB117_27:
	s_andn2_b64 vcc, exec, s[2:3]
	s_cbranch_vccnz .LBB117_44
; %bb.28:
	s_waitcnt lgkmcnt(0)
	s_lshl_b64 s[2:3], s[34:35], 3
	s_add_u32 s2, s8, s2
	s_addc_u32 s3, s9, s3
	s_load_dwordx4 s[4:7], s[2:3], 0x0
	s_waitcnt vmcnt(0)
	v_subrev_co_u32_e32 v4, vcc, s27, v0
	s_mov_b32 s8, 0
	s_waitcnt lgkmcnt(0)
	s_sub_u32 s2, s6, s27
	s_subb_u32 s3, s7, 0
	v_subb_co_u32_e64 v5, s[6:7], 0, 0, vcc
	v_mov_b32_e32 v6, s5
	v_add_co_u32_e32 v4, vcc, s4, v4
	v_addc_co_u32_e32 v5, vcc, v6, v5, vcc
	v_cmp_gt_i64_e32 vcc, s[2:3], v[4:5]
	s_and_saveexec_b64 s[4:5], vcc
	s_cbranch_execz .LBB117_43
; %bb.29:
	s_mov_b32 s33, s27
	s_mov_b64 s[6:7], 0
	v_mov_b32_e32 v11, s11
	v_mov_b32_e32 v14, s8
	;; [unrolled: 1-line block ×3, first 2 shown]
	s_movk_i32 s11, 0x89
	s_branch .LBB117_31
.LBB117_30:                             ;   in Loop: Header=BB117_31 Depth=1
	s_or_b64 exec, exec, s[8:9]
	v_add_co_u32_e32 v4, vcc, 0x100, v4
	v_addc_co_u32_e32 v5, vcc, 0, v5, vcc
	v_cmp_le_i64_e32 vcc, s[2:3], v[4:5]
	s_or_b64 s[6:7], vcc, s[6:7]
	s_andn2_b64 exec, exec, s[6:7]
	s_cbranch_execz .LBB117_43
.LBB117_31:                             ; =>This Loop Header: Depth=1
                                        ;     Child Loop BB117_33 Depth 2
	v_lshlrev_b64 v[6:7], 3, v[4:5]
	v_add_co_u32_e32 v8, vcc, s10, v6
	v_addc_co_u32_e32 v9, vcc, v11, v7, vcc
	global_load_dwordx2 v[8:9], v[8:9], off
	v_add_co_u32_e32 v6, vcc, s12, v6
	v_addc_co_u32_e32 v7, vcc, v15, v7, vcc
	global_load_dwordx2 v[12:13], v[6:7], off
	s_mov_b64 s[8:9], 0
	s_waitcnt vmcnt(1)
	v_subrev_co_u32_e32 v6, vcc, s33, v8
	v_mul_lo_u32 v10, v6, s11
	v_subb_co_u32_e32 v7, vcc, v9, v14, vcc
	s_waitcnt vmcnt(0)
	v_mul_f64 v[8:9], v[2:3], v[12:13]
	v_and_b32_e32 v10, 0x1ff, v10
	s_branch .LBB117_33
.LBB117_32:                             ;   in Loop: Header=BB117_33 Depth=2
	s_or_b64 exec, exec, s[16:17]
	s_xor_b64 s[16:17], s[18:19], -1
	s_and_b64 s[16:17], exec, s[16:17]
	s_or_b64 s[8:9], s[16:17], s[8:9]
	s_andn2_b64 exec, exec, s[8:9]
	s_cbranch_execz .LBB117_30
.LBB117_33:                             ;   Parent Loop BB117_31 Depth=1
                                        ; =>  This Inner Loop Header: Depth=2
	v_lshl_add_u32 v16, v10, 3, 0
	ds_read_b64 v[12:13], v16
                                        ; implicit-def: $sgpr18_sgpr19
	s_waitcnt lgkmcnt(0)
	v_cmp_ne_u64_e32 vcc, v[12:13], v[6:7]
	s_and_saveexec_b64 s[16:17], vcc
	s_xor_b64 s[16:17], exec, s[16:17]
	s_cbranch_execz .LBB117_41
; %bb.34:                               ;   in Loop: Header=BB117_33 Depth=2
	v_cmp_ne_u64_e32 vcc, s[36:37], v[12:13]
                                        ; implicit-def: $sgpr18_sgpr19
	s_and_saveexec_b64 s[20:21], vcc
	s_xor_b64 s[20:21], exec, s[20:21]
; %bb.35:                               ;   in Loop: Header=BB117_33 Depth=2
	v_add_u32_e32 v10, 1, v10
	v_and_b32_e32 v10, 0x1ff, v10
	s_mov_b64 s[18:19], -1
                                        ; implicit-def: $vgpr16
; %bb.36:                               ;   in Loop: Header=BB117_33 Depth=2
	s_andn2_saveexec_b64 s[20:21], s[20:21]
	s_cbranch_execz .LBB117_40
; %bb.37:                               ;   in Loop: Header=BB117_33 Depth=2
	v_pk_mov_b32 v[12:13], s[36:37], s[36:37] op_sel:[0,1]
	ds_cmpst_rtn_b64 v[12:13], v16, v[12:13], v[6:7]
	s_mov_b64 s[22:23], -1
	s_waitcnt lgkmcnt(0)
	v_cmp_eq_u64_e32 vcc, s[36:37], v[12:13]
	s_and_saveexec_b64 s[24:25], vcc
	s_cbranch_execz .LBB117_39
; %bb.38:                               ;   in Loop: Header=BB117_33 Depth=2
	ds_add_f64 v16, v[8:9] offset:4096
	s_xor_b64 s[22:23], exec, -1
.LBB117_39:                             ;   in Loop: Header=BB117_33 Depth=2
	s_or_b64 exec, exec, s[24:25]
	s_andn2_b64 s[18:19], s[18:19], exec
	s_and_b64 s[22:23], s[22:23], exec
	s_or_b64 s[18:19], s[18:19], s[22:23]
.LBB117_40:                             ;   in Loop: Header=BB117_33 Depth=2
	s_or_b64 exec, exec, s[20:21]
	s_and_b64 s[18:19], s[18:19], exec
                                        ; implicit-def: $vgpr16
.LBB117_41:                             ;   in Loop: Header=BB117_33 Depth=2
	s_andn2_saveexec_b64 s[16:17], s[16:17]
	s_cbranch_execz .LBB117_32
; %bb.42:                               ;   in Loop: Header=BB117_33 Depth=2
	ds_add_f64 v16, v[8:9] offset:4096
	s_andn2_b64 s[18:19], s[18:19], exec
	s_branch .LBB117_32
.LBB117_43:
	s_or_b64 exec, exec, s[4:5]
.LBB117_44:
	s_waitcnt lgkmcnt(0)
	s_barrier
	s_and_saveexec_b64 s[8:9], s[0:1]
	s_cbranch_execz .LBB117_57
; %bb.45:
	s_waitcnt vmcnt(0)
	v_mbcnt_lo_u32_b32 v2, -1, 0
	v_mbcnt_hi_u32_b32 v2, -1, v2
	v_sub_u32_e32 v2, 63, v2
	v_lshrrev_b64 v[8:9], v2, -1
	v_lshrrev_b32_e32 v2, 3, v0
	v_and_b32_e32 v2, 24, v2
	s_movk_i32 s0, 0xff
	s_movk_i32 s4, 0x7f
	;; [unrolled: 1-line block ×3, first 2 shown]
	v_mov_b32_e32 v7, 0
	v_add_u32_e32 v14, 0, v2
	v_cmp_eq_u32_e64 s[0:1], s0, v0
	v_cmp_lt_u32_e64 s[2:3], 63, v0
	v_cmp_lt_u32_e64 s[4:5], s4, v0
	;; [unrolled: 1-line block ×3, first 2 shown]
	v_or_b32_e32 v15, 0xffffff00, v0
	s_mov_b64 s[10:11], 0
	v_pk_mov_b32 v[10:11], 0, 0
	s_branch .LBB117_47
.LBB117_46:                             ;   in Loop: Header=BB117_47 Depth=1
	s_or_b64 exec, exec, s[12:13]
	s_waitcnt lgkmcnt(0)
	s_barrier
	ds_read_b64 v[2:3], v7 offset:8216
	v_add_u32_e32 v1, 0x800, v1
	s_waitcnt lgkmcnt(0)
	v_add_co_u32_e32 v10, vcc, v2, v10
	v_addc_co_u32_e32 v11, vcc, v3, v11, vcc
	v_add_co_u32_e32 v15, vcc, 0x100, v15
	s_xor_b64 s[12:13], vcc, -1
	s_and_b64 s[12:13], exec, s[12:13]
	s_or_b64 s[10:11], s[12:13], s[10:11]
	s_andn2_b64 exec, exec, s[10:11]
	s_cbranch_execz .LBB117_57
.LBB117_47:                             ; =>This Inner Loop Header: Depth=1
	ds_read2st64_b64 v[2:5], v1 offset1:8
	s_waitcnt lgkmcnt(0)
	s_barrier
	v_cmp_gt_i64_e32 vcc, s[36:37], v[2:3]
	v_and_b32_e32 v13, vcc_lo, v8
	s_bcnt1_i32_b64 s12, vcc
	v_and_b32_e32 v12, vcc_hi, v9
	v_bcnt_u32_b32 v13, v13, 0
	v_mov_b32_e32 v6, s12
	v_bcnt_u32_b32 v12, v12, v13
	ds_write_b64 v14, v[6:7] offset:8192
	s_waitcnt lgkmcnt(0)
	s_barrier
	s_and_saveexec_b64 s[12:13], s[2:3]
	s_cbranch_execnz .LBB117_52
; %bb.48:                               ;   in Loop: Header=BB117_47 Depth=1
	s_or_b64 exec, exec, s[12:13]
	s_and_saveexec_b64 s[12:13], s[4:5]
	s_cbranch_execnz .LBB117_53
.LBB117_49:                             ;   in Loop: Header=BB117_47 Depth=1
	s_or_b64 exec, exec, s[12:13]
	s_and_saveexec_b64 s[12:13], s[6:7]
	s_cbranch_execnz .LBB117_54
.LBB117_50:                             ;   in Loop: Header=BB117_47 Depth=1
	s_or_b64 exec, exec, s[12:13]
	v_ashrrev_i32_e32 v13, 31, v12
	s_and_saveexec_b64 s[12:13], vcc
	s_cbranch_execnz .LBB117_55
.LBB117_51:                             ;   in Loop: Header=BB117_47 Depth=1
	s_or_b64 exec, exec, s[12:13]
	s_and_saveexec_b64 s[12:13], s[0:1]
	s_cbranch_execz .LBB117_46
	s_branch .LBB117_56
.LBB117_52:                             ;   in Loop: Header=BB117_47 Depth=1
	ds_read_b32 v6, v7 offset:8192
	s_waitcnt lgkmcnt(0)
	v_add_u32_e32 v12, v6, v12
	s_or_b64 exec, exec, s[12:13]
	s_and_saveexec_b64 s[12:13], s[4:5]
	s_cbranch_execz .LBB117_49
.LBB117_53:                             ;   in Loop: Header=BB117_47 Depth=1
	ds_read_b32 v6, v7 offset:8200
	s_waitcnt lgkmcnt(0)
	v_add_u32_e32 v12, v12, v6
	s_or_b64 exec, exec, s[12:13]
	s_and_saveexec_b64 s[12:13], s[6:7]
	s_cbranch_execz .LBB117_50
.LBB117_54:                             ;   in Loop: Header=BB117_47 Depth=1
	ds_read_b32 v6, v7 offset:8208
	s_waitcnt lgkmcnt(0)
	v_add_u32_e32 v12, v12, v6
	s_or_b64 exec, exec, s[12:13]
	v_ashrrev_i32_e32 v13, 31, v12
	s_and_saveexec_b64 s[12:13], vcc
	s_cbranch_execz .LBB117_51
.LBB117_55:                             ;   in Loop: Header=BB117_47 Depth=1
	v_add3_u32 v6, v10, -1, v12
	v_lshl_add_u32 v6, v6, 3, 0
	ds_write2st64_b64 v6, v[2:3], v[4:5] offset1:8
	s_or_b64 exec, exec, s[12:13]
	s_and_saveexec_b64 s[12:13], s[0:1]
	s_cbranch_execz .LBB117_46
.LBB117_56:                             ;   in Loop: Header=BB117_47 Depth=1
	ds_write_b64 v7, v[12:13] offset:8216
	s_branch .LBB117_46
.LBB117_57:
	s_or_b64 exec, exec, s[8:9]
	s_lshl_b64 s[0:1], s[34:35], 3
	s_add_u32 s0, s14, s0
	s_addc_u32 s1, s15, s1
	s_load_dwordx4 s[0:3], s[0:1], 0x0
	v_mov_b32_e32 v1, 0
	s_waitcnt lgkmcnt(0)
	s_sub_u32 s4, s2, s0
	s_subb_u32 s5, s3, s1
	v_cmp_gt_i64_e32 vcc, s[4:5], v[0:1]
	s_and_saveexec_b64 s[6:7], vcc
	s_cbranch_execz .LBB117_67
; %bb.58:
	s_sub_u32 s6, s0, s26
	s_subb_u32 s7, s1, 0
	s_and_b32 s8, s4, 7
	s_sub_u32 s0, s0, s2
	s_mov_b32 s16, 0
	s_subb_u32 s1, s1, s3
	s_mov_b32 s9, s16
	s_and_b32 s2, s4, -8
	v_cmp_lt_u64_e64 s[0:1], s[0:1], -7
	s_cmp_lg_u64 s[8:9], 0
	s_waitcnt vmcnt(0)
	v_cndmask_b32_e64 v2, 0, 1, s[0:1]
	s_mov_b32 s3, s5
	s_mov_b64 s[10:11], 0
	s_cselect_b64 s[12:13], -1, 0
	v_cmp_ne_u32_e64 s[0:1], 1, v2
	s_branch .LBB117_60
.LBB117_59:                             ;   in Loop: Header=BB117_60 Depth=1
	v_mov_b32_e32 v8, s16
	s_waitcnt lgkmcnt(0)
	v_add_co_u32_e32 v2, vcc, s26, v2
	v_addc_co_u32_e32 v3, vcc, v3, v8, vcc
	v_lshlrev_b64 v[6:7], 3, v[6:7]
	v_mov_b32_e32 v9, s29
	v_add_co_u32_e32 v8, vcc, s28, v6
	v_addc_co_u32_e32 v9, vcc, v9, v7, vcc
	global_store_dwordx2 v[8:9], v[2:3], off
	v_mov_b32_e32 v3, s31
	v_add_co_u32_e32 v2, vcc, s30, v6
	v_addc_co_u32_e32 v3, vcc, v3, v7, vcc
	v_add_co_u32_e32 v0, vcc, 0x100, v0
	v_addc_co_u32_e32 v1, vcc, 0, v1, vcc
	v_cmp_le_i64_e32 vcc, s[4:5], v[0:1]
	s_or_b64 s[10:11], vcc, s[10:11]
	global_store_dwordx2 v[2:3], v[4:5], off
	s_andn2_b64 exec, exec, s[10:11]
	s_cbranch_execz .LBB117_67
.LBB117_60:                             ; =>This Loop Header: Depth=1
                                        ;     Child Loop BB117_62 Depth 2
                                        ;     Child Loop BB117_66 Depth 2
	v_lshl_add_u32 v2, v0, 3, 0
	ds_read2st64_b64 v[2:5], v2 offset1:8
	s_and_b64 vcc, exec, s[0:1]
	v_pk_mov_b32 v[6:7], s[6:7], s[6:7] op_sel:[0,1]
	s_mov_b64 s[14:15], 0
	s_cbranch_vccnz .LBB117_64
; %bb.61:                               ;   in Loop: Header=BB117_60 Depth=1
	s_mov_b32 s17, 0
	v_pk_mov_b32 v[6:7], s[6:7], s[6:7] op_sel:[0,1]
.LBB117_62:                             ;   Parent Loop BB117_60 Depth=1
                                        ; =>  This Inner Loop Header: Depth=2
	v_mov_b32_e32 v20, s17
	ds_read2_b64 v[8:11], v20 offset1:1
	ds_read2_b64 v[12:15], v20 offset0:2 offset1:3
	ds_read2_b64 v[16:19], v20 offset0:4 offset1:5
	;; [unrolled: 1-line block ×3, first 2 shown]
	s_add_u32 s14, s14, 8
	s_waitcnt lgkmcnt(3)
	v_cmp_gt_i64_e32 vcc, v[2:3], v[8:9]
	v_cndmask_b32_e64 v8, 0, 1, vcc
	v_cmp_gt_i64_e32 vcc, v[2:3], v[10:11]
	v_cndmask_b32_e64 v9, 0, 1, vcc
	s_waitcnt lgkmcnt(2)
	v_cmp_gt_i64_e32 vcc, v[2:3], v[12:13]
	v_cndmask_b32_e64 v10, 0, 1, vcc
	v_cmp_gt_i64_e32 vcc, v[2:3], v[14:15]
	v_cndmask_b32_e64 v11, 0, 1, vcc
	s_waitcnt lgkmcnt(1)
	v_cmp_gt_i64_e32 vcc, v[2:3], v[16:17]
	v_cndmask_b32_e64 v12, 0, 1, vcc
	v_cmp_gt_i64_e32 vcc, v[2:3], v[18:19]
	v_cndmask_b32_e64 v13, 0, 1, vcc
	s_waitcnt lgkmcnt(0)
	v_cmp_gt_i64_e32 vcc, v[2:3], v[20:21]
	v_cndmask_b32_e64 v14, 0, 1, vcc
	v_cmp_gt_i64_e32 vcc, v[2:3], v[22:23]
	v_cndmask_b32_e64 v15, 0, 1, vcc
	v_add_co_u32_e32 v6, vcc, v6, v8
	v_addc_co_u32_e32 v7, vcc, 0, v7, vcc
	v_add_co_u32_e32 v6, vcc, v6, v9
	v_addc_co_u32_e32 v7, vcc, 0, v7, vcc
	;; [unrolled: 2-line block ×7, first 2 shown]
	s_addc_u32 s15, s15, 0
	s_add_i32 s17, s17, 64
	v_add_co_u32_e32 v6, vcc, v6, v15
	s_cmp_eq_u64 s[2:3], s[14:15]
	v_addc_co_u32_e32 v7, vcc, 0, v7, vcc
	s_cbranch_scc0 .LBB117_62
; %bb.63:                               ;   in Loop: Header=BB117_60 Depth=1
	s_mov_b64 s[14:15], s[2:3]
.LBB117_64:                             ;   in Loop: Header=BB117_60 Depth=1
	s_andn2_b64 vcc, exec, s[12:13]
	s_cbranch_vccnz .LBB117_59
; %bb.65:                               ;   in Loop: Header=BB117_60 Depth=1
	s_lshl_b32 s14, s14, 3
	s_add_i32 s17, s14, 0
	s_mov_b64 s[14:15], s[8:9]
.LBB117_66:                             ;   Parent Loop BB117_60 Depth=1
                                        ; =>  This Inner Loop Header: Depth=2
	v_mov_b32_e32 v8, s17
	ds_read_b64 v[8:9], v8
	s_add_i32 s17, s17, 8
	s_add_u32 s14, s14, -1
	s_addc_u32 s15, s15, -1
	s_cmp_lg_u64 s[14:15], 0
	s_waitcnt lgkmcnt(0)
	v_cmp_gt_i64_e32 vcc, v[2:3], v[8:9]
	v_cndmask_b32_e64 v8, 0, 1, vcc
	v_add_co_u32_e32 v6, vcc, v6, v8
	v_addc_co_u32_e32 v7, vcc, 0, v7, vcc
	s_cbranch_scc1 .LBB117_66
	s_branch .LBB117_59
.LBB117_67:
	s_endpgm
	.section	.rodata,"a",@progbits
	.p2align	6, 0x0
	.amdhsa_kernel _ZN9rocsparseL26csrgemm_fill_block_per_rowILj256ELj32ELj512ELj137ELj64ElldEEvT5_PKS1_S3_NS_24const_host_device_scalarIT6_EEPKT4_S3_PKS5_S9_S3_SB_S6_S9_S3_SB_S9_PS1_PS5_21rocsparse_index_base_SE_SE_SE_bbb
		.amdhsa_group_segment_fixed_size 0
		.amdhsa_private_segment_fixed_size 0
		.amdhsa_kernarg_size 156
		.amdhsa_user_sgpr_count 6
		.amdhsa_user_sgpr_private_segment_buffer 1
		.amdhsa_user_sgpr_dispatch_ptr 0
		.amdhsa_user_sgpr_queue_ptr 0
		.amdhsa_user_sgpr_kernarg_segment_ptr 1
		.amdhsa_user_sgpr_dispatch_id 0
		.amdhsa_user_sgpr_flat_scratch_init 0
		.amdhsa_user_sgpr_kernarg_preload_length 0
		.amdhsa_user_sgpr_kernarg_preload_offset 0
		.amdhsa_user_sgpr_private_segment_size 0
		.amdhsa_uses_dynamic_stack 0
		.amdhsa_system_sgpr_private_segment_wavefront_offset 0
		.amdhsa_system_sgpr_workgroup_id_x 1
		.amdhsa_system_sgpr_workgroup_id_y 0
		.amdhsa_system_sgpr_workgroup_id_z 0
		.amdhsa_system_sgpr_workgroup_info 0
		.amdhsa_system_vgpr_workitem_id 0
		.amdhsa_next_free_vgpr 28
		.amdhsa_next_free_sgpr 57
		.amdhsa_accum_offset 28
		.amdhsa_reserve_vcc 1
		.amdhsa_reserve_flat_scratch 0
		.amdhsa_float_round_mode_32 0
		.amdhsa_float_round_mode_16_64 0
		.amdhsa_float_denorm_mode_32 3
		.amdhsa_float_denorm_mode_16_64 3
		.amdhsa_dx10_clamp 1
		.amdhsa_ieee_mode 1
		.amdhsa_fp16_overflow 0
		.amdhsa_tg_split 0
		.amdhsa_exception_fp_ieee_invalid_op 0
		.amdhsa_exception_fp_denorm_src 0
		.amdhsa_exception_fp_ieee_div_zero 0
		.amdhsa_exception_fp_ieee_overflow 0
		.amdhsa_exception_fp_ieee_underflow 0
		.amdhsa_exception_fp_ieee_inexact 0
		.amdhsa_exception_int_div_zero 0
	.end_amdhsa_kernel
	.section	.text._ZN9rocsparseL26csrgemm_fill_block_per_rowILj256ELj32ELj512ELj137ELj64ElldEEvT5_PKS1_S3_NS_24const_host_device_scalarIT6_EEPKT4_S3_PKS5_S9_S3_SB_S6_S9_S3_SB_S9_PS1_PS5_21rocsparse_index_base_SE_SE_SE_bbb,"axG",@progbits,_ZN9rocsparseL26csrgemm_fill_block_per_rowILj256ELj32ELj512ELj137ELj64ElldEEvT5_PKS1_S3_NS_24const_host_device_scalarIT6_EEPKT4_S3_PKS5_S9_S3_SB_S6_S9_S3_SB_S9_PS1_PS5_21rocsparse_index_base_SE_SE_SE_bbb,comdat
.Lfunc_end117:
	.size	_ZN9rocsparseL26csrgemm_fill_block_per_rowILj256ELj32ELj512ELj137ELj64ElldEEvT5_PKS1_S3_NS_24const_host_device_scalarIT6_EEPKT4_S3_PKS5_S9_S3_SB_S6_S9_S3_SB_S9_PS1_PS5_21rocsparse_index_base_SE_SE_SE_bbb, .Lfunc_end117-_ZN9rocsparseL26csrgemm_fill_block_per_rowILj256ELj32ELj512ELj137ELj64ElldEEvT5_PKS1_S3_NS_24const_host_device_scalarIT6_EEPKT4_S3_PKS5_S9_S3_SB_S6_S9_S3_SB_S9_PS1_PS5_21rocsparse_index_base_SE_SE_SE_bbb
                                        ; -- End function
	.section	.AMDGPU.csdata,"",@progbits
; Kernel info:
; codeLenInByte = 2500
; NumSgprs: 61
; NumVgprs: 28
; NumAgprs: 0
; TotalNumVgprs: 28
; ScratchSize: 0
; MemoryBound: 0
; FloatMode: 240
; IeeeMode: 1
; LDSByteSize: 0 bytes/workgroup (compile time only)
; SGPRBlocks: 7
; VGPRBlocks: 3
; NumSGPRsForWavesPerEU: 61
; NumVGPRsForWavesPerEU: 28
; AccumOffset: 28
; Occupancy: 8
; WaveLimiterHint : 1
; COMPUTE_PGM_RSRC2:SCRATCH_EN: 0
; COMPUTE_PGM_RSRC2:USER_SGPR: 6
; COMPUTE_PGM_RSRC2:TRAP_HANDLER: 0
; COMPUTE_PGM_RSRC2:TGID_X_EN: 1
; COMPUTE_PGM_RSRC2:TGID_Y_EN: 0
; COMPUTE_PGM_RSRC2:TGID_Z_EN: 0
; COMPUTE_PGM_RSRC2:TIDIG_COMP_CNT: 0
; COMPUTE_PGM_RSRC3_GFX90A:ACCUM_OFFSET: 6
; COMPUTE_PGM_RSRC3_GFX90A:TG_SPLIT: 0
	.section	.text._ZN9rocsparseL26csrgemm_fill_block_per_rowILj512ELj32ELj1024ELj137ELj32ElldEEvT5_PKS1_S3_NS_24const_host_device_scalarIT6_EEPKT4_S3_PKS5_S9_S3_SB_S6_S9_S3_SB_S9_PS1_PS5_21rocsparse_index_base_SE_SE_SE_bbb,"axG",@progbits,_ZN9rocsparseL26csrgemm_fill_block_per_rowILj512ELj32ELj1024ELj137ELj32ElldEEvT5_PKS1_S3_NS_24const_host_device_scalarIT6_EEPKT4_S3_PKS5_S9_S3_SB_S6_S9_S3_SB_S9_PS1_PS5_21rocsparse_index_base_SE_SE_SE_bbb,comdat
	.globl	_ZN9rocsparseL26csrgemm_fill_block_per_rowILj512ELj32ELj1024ELj137ELj32ElldEEvT5_PKS1_S3_NS_24const_host_device_scalarIT6_EEPKT4_S3_PKS5_S9_S3_SB_S6_S9_S3_SB_S9_PS1_PS5_21rocsparse_index_base_SE_SE_SE_bbb ; -- Begin function _ZN9rocsparseL26csrgemm_fill_block_per_rowILj512ELj32ELj1024ELj137ELj32ElldEEvT5_PKS1_S3_NS_24const_host_device_scalarIT6_EEPKT4_S3_PKS5_S9_S3_SB_S6_S9_S3_SB_S9_PS1_PS5_21rocsparse_index_base_SE_SE_SE_bbb
	.p2align	8
	.type	_ZN9rocsparseL26csrgemm_fill_block_per_rowILj512ELj32ELj1024ELj137ELj32ElldEEvT5_PKS1_S3_NS_24const_host_device_scalarIT6_EEPKT4_S3_PKS5_S9_S3_SB_S6_S9_S3_SB_S9_PS1_PS5_21rocsparse_index_base_SE_SE_SE_bbb,@function
_ZN9rocsparseL26csrgemm_fill_block_per_rowILj512ELj32ELj1024ELj137ELj32ElldEEvT5_PKS1_S3_NS_24const_host_device_scalarIT6_EEPKT4_S3_PKS5_S9_S3_SB_S6_S9_S3_SB_S9_PS1_PS5_21rocsparse_index_base_SE_SE_SE_bbb: ; @_ZN9rocsparseL26csrgemm_fill_block_per_rowILj512ELj32ELj1024ELj137ELj32ElldEEvT5_PKS1_S3_NS_24const_host_device_scalarIT6_EEPKT4_S3_PKS5_S9_S3_SB_S6_S9_S3_SB_S9_PS1_PS5_21rocsparse_index_base_SE_SE_SE_bbb
; %bb.0:
	s_load_dword s7, s[4:5], 0x98
	s_load_dwordx4 s[44:47], s[4:5], 0x88
	s_load_dwordx2 s[0:1], s[4:5], 0x18
	s_load_dwordx2 s[24:25], s[4:5], 0x50
	s_waitcnt lgkmcnt(0)
	s_and_b32 s2, 1, s7
	s_bitcmp1_b32 s7, 16
	s_cselect_b64 s[26:27], -1, 0
	s_cmp_eq_u32 s2, 1
	s_cselect_b64 s[22:23], -1, 0
	s_and_b64 s[2:3], s[22:23], exec
	s_cselect_b32 s3, s1, 0
	s_cselect_b32 s2, s0, 0
	s_xor_b64 s[8:9], s[22:23], -1
	s_or_b64 s[8:9], s[8:9], s[26:27]
	s_and_b64 vcc, exec, s[8:9]
	v_pk_mov_b32 v[4:5], s[2:3], s[2:3] op_sel:[0,1]
	s_cbranch_vccnz .LBB118_2
; %bb.1:
	v_pk_mov_b32 v[2:3], s[0:1], s[0:1] op_sel:[0,1]
	flat_load_dwordx2 v[4:5], v[2:3]
.LBB118_2:
	s_load_dwordx4 s[48:51], s[4:5], 0x78
	s_load_dwordx8 s[36:43], s[4:5], 0x58
	s_load_dwordx4 s[0:3], s[4:5], 0x40
	s_load_dwordx4 s[16:19], s[4:5], 0x8
	s_load_dwordx8 s[8:15], s[4:5], 0x20
	s_bitcmp1_b32 s7, 8
	s_cselect_b64 s[20:21], -1, 0
	s_and_b64 s[28:29], s[20:21], exec
	s_cselect_b32 s29, s25, 0
	s_cselect_b32 s28, s24, 0
	s_xor_b64 s[30:31], s[20:21], -1
	s_or_b64 s[26:27], s[30:31], s[26:27]
	s_and_b64 vcc, exec, s[26:27]
	v_pk_mov_b32 v[2:3], s[28:29], s[28:29] op_sel:[0,1]
	s_cbranch_vccnz .LBB118_4
; %bb.3:
	v_pk_mov_b32 v[2:3], s[24:25], s[24:25] op_sel:[0,1]
	flat_load_dwordx2 v[2:3], v[2:3]
.LBB118_4:
	s_load_dwordx2 s[34:35], s[4:5], 0x0
	v_or_b32_e32 v1, 0xfffffe00, v0
	v_mov_b32_e32 v6, 0
	v_lshl_add_u32 v19, v0, 3, 0
	s_mov_b64 s[4:5], 0
	s_waitcnt lgkmcnt(0)
	v_pk_mov_b32 v[8:9], s[34:35], s[34:35] op_sel:[0,1]
	v_mov_b32_e32 v7, v6
	v_mov_b32_e32 v10, v19
	;; [unrolled: 1-line block ×3, first 2 shown]
.LBB118_5:                              ; =>This Inner Loop Header: Depth=1
	v_add_co_u32_e32 v11, vcc, 0x200, v11
	s_xor_b64 s[24:25], vcc, -1
	s_and_b64 s[24:25], exec, s[24:25]
	ds_write2st64_b64 v10, v[8:9], v[6:7] offset1:16
	s_or_b64 s[4:5], s[24:25], s[4:5]
	v_add_u32_e32 v10, 0x1000, v10
	s_andn2_b64 exec, exec, s[4:5]
	s_cbranch_execnz .LBB118_5
; %bb.6:
	s_or_b64 exec, exec, s[4:5]
	s_waitcnt lgkmcnt(0)
	s_barrier
	s_load_dwordx2 s[4:5], s[16:17], 0x0
	s_mov_b32 s7, 0
	v_lshrrev_b32_e32 v22, 5, v0
	s_waitcnt lgkmcnt(0)
	s_lshl_b64 s[4:5], s[4:5], 3
	s_add_u32 s16, s18, s4
	s_addc_u32 s17, s19, s5
	s_lshl_b64 s[4:5], s[6:7], 3
	s_add_u32 s4, s16, s4
	s_addc_u32 s5, s17, s5
	s_load_dwordx2 s[52:53], s[4:5], 0x0
	s_and_b64 vcc, exec, s[22:23]
	s_cbranch_vccz .LBB118_26
; %bb.7:
	s_waitcnt lgkmcnt(0)
	s_lshl_b64 s[4:5], s[52:53], 3
	s_add_u32 s4, s8, s4
	s_addc_u32 s5, s9, s5
	s_load_dwordx4 s[16:19], s[4:5], 0x0
	v_subrev_co_u32_e32 v6, vcc, s44, v22
	v_subb_co_u32_e64 v7, s[8:9], 0, 0, vcc
	s_waitcnt lgkmcnt(0)
	s_sub_u32 s4, s18, s44
	v_mov_b32_e32 v8, s17
	v_add_co_u32_e32 v6, vcc, s16, v6
	s_subb_u32 s5, s19, 0
	v_addc_co_u32_e32 v7, vcc, v8, v7, vcc
	v_cmp_gt_i64_e32 vcc, s[4:5], v[6:7]
	s_and_saveexec_b64 s[8:9], vcc
	s_cbranch_execz .LBB118_25
; %bb.8:
	v_and_b32_e32 v8, 31, v0
	v_subrev_co_u32_e32 v23, vcc, s45, v8
	s_mov_b32 s6, 0
	v_subb_co_u32_e64 v24, s[16:17], 0, 0, vcc
	s_mov_b32 s33, s44
	s_mov_b32 s54, s45
	s_mov_b64 s[16:17], 0
	v_mov_b32_e32 v25, s11
	v_mov_b32_e32 v26, s7
	;; [unrolled: 1-line block ×4, first 2 shown]
	s_movk_i32 s11, 0x89
	s_branch .LBB118_10
.LBB118_9:                              ;   in Loop: Header=BB118_10 Depth=1
	s_or_b64 exec, exec, s[6:7]
	v_add_co_u32_e32 v6, vcc, 16, v6
	v_addc_co_u32_e32 v7, vcc, 0, v7, vcc
	v_cmp_le_i64_e32 vcc, s[4:5], v[6:7]
	s_or_b64 s[16:17], vcc, s[16:17]
	s_andn2_b64 exec, exec, s[16:17]
	s_cbranch_execz .LBB118_25
.LBB118_10:                             ; =>This Loop Header: Depth=1
                                        ;     Child Loop BB118_13 Depth 2
                                        ;       Child Loop BB118_15 Depth 3
	v_lshlrev_b64 v[12:13], 3, v[6:7]
	v_add_co_u32_e32 v8, vcc, s10, v12
	v_addc_co_u32_e32 v9, vcc, v25, v13, vcc
	global_load_dwordx2 v[8:9], v[8:9], off
	s_waitcnt vmcnt(0)
	v_subrev_co_u32_e32 v8, vcc, s33, v8
	v_subb_co_u32_e32 v9, vcc, v9, v26, vcc
	v_lshlrev_b64 v[8:9], 3, v[8:9]
	v_add_co_u32_e32 v8, vcc, s14, v8
	v_addc_co_u32_e32 v9, vcc, v27, v9, vcc
	global_load_dwordx4 v[14:17], v[8:9], off
	s_waitcnt vmcnt(0)
	v_subrev_co_u32_e32 v8, vcc, s54, v16
	v_subb_co_u32_e32 v9, vcc, v17, v28, vcc
	v_add_co_u32_e32 v10, vcc, v14, v23
	v_addc_co_u32_e32 v11, vcc, v15, v24, vcc
	v_cmp_lt_i64_e32 vcc, v[10:11], v[8:9]
	s_and_saveexec_b64 s[6:7], vcc
	s_cbranch_execz .LBB118_9
; %bb.11:                               ;   in Loop: Header=BB118_10 Depth=1
	v_mov_b32_e32 v14, s13
	v_add_co_u32_e32 v12, vcc, s12, v12
	v_addc_co_u32_e32 v13, vcc, v14, v13, vcc
	global_load_dwordx2 v[12:13], v[12:13], off
	s_mov_b64 s[18:19], 0
	s_waitcnt vmcnt(0)
	v_mul_f64 v[12:13], v[4:5], v[12:13]
	s_branch .LBB118_13
.LBB118_12:                             ;   in Loop: Header=BB118_13 Depth=2
	s_or_b64 exec, exec, s[22:23]
	v_add_co_u32_e32 v10, vcc, 32, v10
	v_addc_co_u32_e32 v11, vcc, 0, v11, vcc
	v_cmp_ge_i64_e32 vcc, v[10:11], v[8:9]
	s_or_b64 s[18:19], vcc, s[18:19]
	s_andn2_b64 exec, exec, s[18:19]
	s_cbranch_execz .LBB118_9
.LBB118_13:                             ;   Parent Loop BB118_10 Depth=1
                                        ; =>  This Loop Header: Depth=2
                                        ;       Child Loop BB118_15 Depth 3
	v_lshlrev_b64 v[14:15], 3, v[10:11]
	v_mov_b32_e32 v17, s1
	v_add_co_u32_e32 v16, vcc, s0, v14
	v_addc_co_u32_e32 v17, vcc, v17, v15, vcc
	global_load_dwordx2 v[16:17], v[16:17], off
	v_mov_b32_e32 v18, s3
	v_add_co_u32_e32 v14, vcc, s2, v14
	v_addc_co_u32_e32 v15, vcc, v18, v15, vcc
	global_load_dwordx2 v[20:21], v[14:15], off
	s_mov_b64 s[22:23], 0
	s_waitcnt vmcnt(1)
	v_subrev_co_u32_e32 v14, vcc, s54, v16
	v_mul_lo_u32 v18, v14, s11
	v_subb_co_u32_e32 v15, vcc, v17, v28, vcc
	v_and_b32_e32 v18, 0x3ff, v18
	s_waitcnt vmcnt(0)
	v_mul_f64 v[16:17], v[12:13], v[20:21]
	s_branch .LBB118_15
.LBB118_14:                             ;   in Loop: Header=BB118_15 Depth=3
	s_or_b64 exec, exec, s[24:25]
	s_xor_b64 s[24:25], s[26:27], -1
	s_and_b64 s[24:25], exec, s[24:25]
	s_or_b64 s[22:23], s[24:25], s[22:23]
	s_andn2_b64 exec, exec, s[22:23]
	s_cbranch_execz .LBB118_12
.LBB118_15:                             ;   Parent Loop BB118_10 Depth=1
                                        ;     Parent Loop BB118_13 Depth=2
                                        ; =>    This Inner Loop Header: Depth=3
	v_lshl_add_u32 v29, v18, 3, 0
	ds_read_b64 v[20:21], v29
                                        ; implicit-def: $sgpr26_sgpr27
	s_waitcnt lgkmcnt(0)
	v_cmp_ne_u64_e32 vcc, v[20:21], v[14:15]
	s_and_saveexec_b64 s[24:25], vcc
	s_xor_b64 s[24:25], exec, s[24:25]
	s_cbranch_execz .LBB118_23
; %bb.16:                               ;   in Loop: Header=BB118_15 Depth=3
	v_cmp_ne_u64_e32 vcc, s[34:35], v[20:21]
                                        ; implicit-def: $sgpr26_sgpr27
	s_and_saveexec_b64 s[28:29], vcc
	s_xor_b64 s[28:29], exec, s[28:29]
; %bb.17:                               ;   in Loop: Header=BB118_15 Depth=3
	v_add_u32_e32 v18, 1, v18
	v_and_b32_e32 v18, 0x3ff, v18
	s_mov_b64 s[26:27], -1
                                        ; implicit-def: $vgpr29
; %bb.18:                               ;   in Loop: Header=BB118_15 Depth=3
	s_andn2_saveexec_b64 s[28:29], s[28:29]
	s_cbranch_execz .LBB118_22
; %bb.19:                               ;   in Loop: Header=BB118_15 Depth=3
	v_pk_mov_b32 v[20:21], s[34:35], s[34:35] op_sel:[0,1]
	ds_cmpst_rtn_b64 v[20:21], v29, v[20:21], v[14:15]
	s_mov_b64 s[30:31], -1
	s_waitcnt lgkmcnt(0)
	v_cmp_eq_u64_e32 vcc, s[34:35], v[20:21]
	s_and_saveexec_b64 s[44:45], vcc
	s_cbranch_execz .LBB118_21
; %bb.20:                               ;   in Loop: Header=BB118_15 Depth=3
	ds_add_f64 v29, v[16:17] offset:8192
	s_xor_b64 s[30:31], exec, -1
.LBB118_21:                             ;   in Loop: Header=BB118_15 Depth=3
	s_or_b64 exec, exec, s[44:45]
	s_andn2_b64 s[26:27], s[26:27], exec
	s_and_b64 s[30:31], s[30:31], exec
	s_or_b64 s[26:27], s[26:27], s[30:31]
.LBB118_22:                             ;   in Loop: Header=BB118_15 Depth=3
	s_or_b64 exec, exec, s[28:29]
	s_and_b64 s[26:27], s[26:27], exec
                                        ; implicit-def: $vgpr29
.LBB118_23:                             ;   in Loop: Header=BB118_15 Depth=3
	s_andn2_saveexec_b64 s[24:25], s[24:25]
	s_cbranch_execz .LBB118_14
; %bb.24:                               ;   in Loop: Header=BB118_15 Depth=3
	ds_add_f64 v29, v[16:17] offset:8192
	s_andn2_b64 s[26:27], s[26:27], exec
	s_branch .LBB118_14
.LBB118_25:
	s_or_b64 exec, exec, s[8:9]
.LBB118_26:
	s_andn2_b64 vcc, exec, s[20:21]
	s_cbranch_vccnz .LBB118_43
; %bb.27:
	s_waitcnt lgkmcnt(0)
	s_lshl_b64 s[0:1], s[52:53], 3
	s_add_u32 s0, s36, s0
	s_addc_u32 s1, s37, s1
	s_load_dwordx4 s[8:11], s[0:1], 0x0
	s_waitcnt vmcnt(0)
	v_subrev_co_u32_e32 v4, vcc, s47, v0
	v_subb_co_u32_e64 v5, s[2:3], 0, 0, vcc
	s_waitcnt lgkmcnt(0)
	s_sub_u32 s0, s10, s47
	v_mov_b32_e32 v6, s9
	v_add_co_u32_e32 v4, vcc, s8, v4
	s_subb_u32 s1, s11, 0
	v_addc_co_u32_e32 v5, vcc, v6, v5, vcc
	s_mov_b32 s6, 0
	v_cmp_gt_i64_e32 vcc, s[0:1], v[4:5]
	s_and_saveexec_b64 s[2:3], vcc
	s_cbranch_execz .LBB118_42
; %bb.28:
	s_mov_b32 s18, s47
	s_mov_b64 s[4:5], 0
	v_mov_b32_e32 v11, s39
	v_mov_b32_e32 v14, s6
	;; [unrolled: 1-line block ×3, first 2 shown]
	s_movk_i32 s19, 0x89
	s_branch .LBB118_30
.LBB118_29:                             ;   in Loop: Header=BB118_30 Depth=1
	s_or_b64 exec, exec, s[6:7]
	v_add_co_u32_e32 v4, vcc, 0x200, v4
	v_addc_co_u32_e32 v5, vcc, 0, v5, vcc
	v_cmp_le_i64_e32 vcc, s[0:1], v[4:5]
	s_or_b64 s[4:5], vcc, s[4:5]
	s_andn2_b64 exec, exec, s[4:5]
	s_cbranch_execz .LBB118_42
.LBB118_30:                             ; =>This Loop Header: Depth=1
                                        ;     Child Loop BB118_32 Depth 2
	v_lshlrev_b64 v[6:7], 3, v[4:5]
	v_add_co_u32_e32 v8, vcc, s38, v6
	v_addc_co_u32_e32 v9, vcc, v11, v7, vcc
	global_load_dwordx2 v[8:9], v[8:9], off
	v_add_co_u32_e32 v6, vcc, s40, v6
	v_addc_co_u32_e32 v7, vcc, v15, v7, vcc
	global_load_dwordx2 v[12:13], v[6:7], off
	s_mov_b64 s[6:7], 0
	s_waitcnt vmcnt(1)
	v_subrev_co_u32_e32 v6, vcc, s18, v8
	v_mul_lo_u32 v10, v6, s19
	v_subb_co_u32_e32 v7, vcc, v9, v14, vcc
	s_waitcnt vmcnt(0)
	v_mul_f64 v[8:9], v[2:3], v[12:13]
	v_and_b32_e32 v10, 0x3ff, v10
	s_branch .LBB118_32
.LBB118_31:                             ;   in Loop: Header=BB118_32 Depth=2
	s_or_b64 exec, exec, s[8:9]
	s_xor_b64 s[8:9], s[10:11], -1
	s_and_b64 s[8:9], exec, s[8:9]
	s_or_b64 s[6:7], s[8:9], s[6:7]
	s_andn2_b64 exec, exec, s[6:7]
	s_cbranch_execz .LBB118_29
.LBB118_32:                             ;   Parent Loop BB118_30 Depth=1
                                        ; =>  This Inner Loop Header: Depth=2
	v_lshl_add_u32 v16, v10, 3, 0
	ds_read_b64 v[12:13], v16
                                        ; implicit-def: $sgpr10_sgpr11
	s_waitcnt lgkmcnt(0)
	v_cmp_ne_u64_e32 vcc, v[12:13], v[6:7]
	s_and_saveexec_b64 s[8:9], vcc
	s_xor_b64 s[8:9], exec, s[8:9]
	s_cbranch_execz .LBB118_40
; %bb.33:                               ;   in Loop: Header=BB118_32 Depth=2
	v_cmp_ne_u64_e32 vcc, s[34:35], v[12:13]
                                        ; implicit-def: $sgpr10_sgpr11
	s_and_saveexec_b64 s[12:13], vcc
	s_xor_b64 s[12:13], exec, s[12:13]
; %bb.34:                               ;   in Loop: Header=BB118_32 Depth=2
	v_add_u32_e32 v10, 1, v10
	v_and_b32_e32 v10, 0x3ff, v10
	s_mov_b64 s[10:11], -1
                                        ; implicit-def: $vgpr16
; %bb.35:                               ;   in Loop: Header=BB118_32 Depth=2
	s_andn2_saveexec_b64 s[12:13], s[12:13]
	s_cbranch_execz .LBB118_39
; %bb.36:                               ;   in Loop: Header=BB118_32 Depth=2
	v_pk_mov_b32 v[12:13], s[34:35], s[34:35] op_sel:[0,1]
	ds_cmpst_rtn_b64 v[12:13], v16, v[12:13], v[6:7]
	s_mov_b64 s[14:15], -1
	s_waitcnt lgkmcnt(0)
	v_cmp_eq_u64_e32 vcc, s[34:35], v[12:13]
	s_and_saveexec_b64 s[16:17], vcc
	s_cbranch_execz .LBB118_38
; %bb.37:                               ;   in Loop: Header=BB118_32 Depth=2
	ds_add_f64 v16, v[8:9] offset:8192
	s_xor_b64 s[14:15], exec, -1
.LBB118_38:                             ;   in Loop: Header=BB118_32 Depth=2
	s_or_b64 exec, exec, s[16:17]
	s_andn2_b64 s[10:11], s[10:11], exec
	s_and_b64 s[14:15], s[14:15], exec
	s_or_b64 s[10:11], s[10:11], s[14:15]
.LBB118_39:                             ;   in Loop: Header=BB118_32 Depth=2
	s_or_b64 exec, exec, s[12:13]
	s_and_b64 s[10:11], s[10:11], exec
                                        ; implicit-def: $vgpr16
.LBB118_40:                             ;   in Loop: Header=BB118_32 Depth=2
	s_andn2_saveexec_b64 s[8:9], s[8:9]
	s_cbranch_execz .LBB118_31
; %bb.41:                               ;   in Loop: Header=BB118_32 Depth=2
	ds_add_f64 v16, v[8:9] offset:8192
	s_andn2_b64 s[10:11], s[10:11], exec
	s_branch .LBB118_31
.LBB118_42:
	s_or_b64 exec, exec, s[2:3]
.LBB118_43:
	s_waitcnt vmcnt(0)
	v_mbcnt_lo_u32_b32 v2, -1, 0
	v_mbcnt_hi_u32_b32 v2, -1, v2
	v_sub_u32_e32 v2, 63, v2
	s_movk_i32 s0, 0x1ff
	s_movk_i32 s6, 0x5f
	;; [unrolled: 1-line block ×14, first 2 shown]
	v_mov_b32_e32 v7, 0
	v_lshrrev_b64 v[8:9], v2, -1
	v_lshl_add_u32 v14, v22, 3, 0
	v_cmp_eq_u32_e64 s[0:1], s0, v0
	v_cmp_lt_u32_e64 s[2:3], 31, v0
	v_cmp_lt_u32_e64 s[4:5], 63, v0
	;; [unrolled: 1-line block ×15, first 2 shown]
	s_mov_b64 s[36:37], 0
	v_pk_mov_b32 v[10:11], 0, 0
	s_waitcnt lgkmcnt(0)
	s_barrier
	s_branch .LBB118_45
.LBB118_44:                             ;   in Loop: Header=BB118_45 Depth=1
	s_or_b64 exec, exec, s[38:39]
	s_waitcnt lgkmcnt(0)
	s_barrier
	ds_read_b64 v[2:3], v7 offset:16504
	v_add_u32_e32 v19, 0x1000, v19
	s_waitcnt lgkmcnt(0)
	v_add_co_u32_e32 v10, vcc, v2, v10
	v_addc_co_u32_e32 v11, vcc, v3, v11, vcc
	v_add_co_u32_e32 v1, vcc, 0x200, v1
	s_xor_b64 s[38:39], vcc, -1
	s_and_b64 s[38:39], exec, s[38:39]
	s_or_b64 s[36:37], s[38:39], s[36:37]
	s_andn2_b64 exec, exec, s[36:37]
	s_cbranch_execz .LBB118_79
.LBB118_45:                             ; =>This Inner Loop Header: Depth=1
	ds_read2st64_b64 v[2:5], v19 offset1:16
	s_waitcnt lgkmcnt(0)
	s_barrier
	v_cmp_gt_i64_e32 vcc, s[34:35], v[2:3]
	v_and_b32_e32 v13, vcc_lo, v8
	s_bcnt1_i32_b64 s33, vcc
	v_and_b32_e32 v12, vcc_hi, v9
	v_bcnt_u32_b32 v13, v13, 0
	v_mov_b32_e32 v6, s33
	v_bcnt_u32_b32 v12, v12, v13
	ds_write_b64 v14, v[6:7] offset:16384
	s_waitcnt lgkmcnt(0)
	s_barrier
	s_and_saveexec_b64 s[38:39], s[2:3]
	s_cbranch_execnz .LBB118_62
; %bb.46:                               ;   in Loop: Header=BB118_45 Depth=1
	s_or_b64 exec, exec, s[38:39]
	s_and_saveexec_b64 s[38:39], s[4:5]
	s_cbranch_execnz .LBB118_63
.LBB118_47:                             ;   in Loop: Header=BB118_45 Depth=1
	s_or_b64 exec, exec, s[38:39]
	s_and_saveexec_b64 s[38:39], s[6:7]
	s_cbranch_execnz .LBB118_64
.LBB118_48:                             ;   in Loop: Header=BB118_45 Depth=1
	s_or_b64 exec, exec, s[38:39]
	s_and_saveexec_b64 s[38:39], s[8:9]
	s_cbranch_execnz .LBB118_65
.LBB118_49:                             ;   in Loop: Header=BB118_45 Depth=1
	s_or_b64 exec, exec, s[38:39]
	s_and_saveexec_b64 s[38:39], s[10:11]
	s_cbranch_execnz .LBB118_66
.LBB118_50:                             ;   in Loop: Header=BB118_45 Depth=1
	s_or_b64 exec, exec, s[38:39]
	s_and_saveexec_b64 s[38:39], s[12:13]
	s_cbranch_execnz .LBB118_67
.LBB118_51:                             ;   in Loop: Header=BB118_45 Depth=1
	s_or_b64 exec, exec, s[38:39]
	s_and_saveexec_b64 s[38:39], s[14:15]
	s_cbranch_execnz .LBB118_68
.LBB118_52:                             ;   in Loop: Header=BB118_45 Depth=1
	s_or_b64 exec, exec, s[38:39]
	s_and_saveexec_b64 s[38:39], s[16:17]
	s_cbranch_execnz .LBB118_69
.LBB118_53:                             ;   in Loop: Header=BB118_45 Depth=1
	s_or_b64 exec, exec, s[38:39]
	s_and_saveexec_b64 s[38:39], s[18:19]
	s_cbranch_execnz .LBB118_70
.LBB118_54:                             ;   in Loop: Header=BB118_45 Depth=1
	s_or_b64 exec, exec, s[38:39]
	s_and_saveexec_b64 s[38:39], s[20:21]
	s_cbranch_execnz .LBB118_71
.LBB118_55:                             ;   in Loop: Header=BB118_45 Depth=1
	s_or_b64 exec, exec, s[38:39]
	s_and_saveexec_b64 s[38:39], s[22:23]
	s_cbranch_execnz .LBB118_72
.LBB118_56:                             ;   in Loop: Header=BB118_45 Depth=1
	s_or_b64 exec, exec, s[38:39]
	s_and_saveexec_b64 s[38:39], s[24:25]
	s_cbranch_execnz .LBB118_73
.LBB118_57:                             ;   in Loop: Header=BB118_45 Depth=1
	s_or_b64 exec, exec, s[38:39]
	s_and_saveexec_b64 s[38:39], s[26:27]
	s_cbranch_execnz .LBB118_74
.LBB118_58:                             ;   in Loop: Header=BB118_45 Depth=1
	s_or_b64 exec, exec, s[38:39]
	s_and_saveexec_b64 s[38:39], s[28:29]
	s_cbranch_execnz .LBB118_75
.LBB118_59:                             ;   in Loop: Header=BB118_45 Depth=1
	s_or_b64 exec, exec, s[38:39]
	s_and_saveexec_b64 s[38:39], s[30:31]
	s_cbranch_execnz .LBB118_76
.LBB118_60:                             ;   in Loop: Header=BB118_45 Depth=1
	s_or_b64 exec, exec, s[38:39]
	v_ashrrev_i32_e32 v13, 31, v12
	s_and_saveexec_b64 s[38:39], vcc
	s_cbranch_execnz .LBB118_77
.LBB118_61:                             ;   in Loop: Header=BB118_45 Depth=1
	s_or_b64 exec, exec, s[38:39]
	s_and_saveexec_b64 s[38:39], s[0:1]
	s_cbranch_execz .LBB118_44
	s_branch .LBB118_78
.LBB118_62:                             ;   in Loop: Header=BB118_45 Depth=1
	ds_read_b32 v6, v7 offset:16384
	s_waitcnt lgkmcnt(0)
	v_add_u32_e32 v12, v6, v12
	s_or_b64 exec, exec, s[38:39]
	s_and_saveexec_b64 s[38:39], s[4:5]
	s_cbranch_execz .LBB118_47
.LBB118_63:                             ;   in Loop: Header=BB118_45 Depth=1
	ds_read_b32 v6, v7 offset:16392
	s_waitcnt lgkmcnt(0)
	v_add_u32_e32 v12, v12, v6
	s_or_b64 exec, exec, s[38:39]
	s_and_saveexec_b64 s[38:39], s[6:7]
	s_cbranch_execz .LBB118_48
.LBB118_64:                             ;   in Loop: Header=BB118_45 Depth=1
	ds_read_b32 v6, v7 offset:16400
	s_waitcnt lgkmcnt(0)
	v_add_u32_e32 v12, v12, v6
	s_or_b64 exec, exec, s[38:39]
	s_and_saveexec_b64 s[38:39], s[8:9]
	s_cbranch_execz .LBB118_49
.LBB118_65:                             ;   in Loop: Header=BB118_45 Depth=1
	ds_read_b32 v6, v7 offset:16408
	s_waitcnt lgkmcnt(0)
	v_add_u32_e32 v12, v12, v6
	s_or_b64 exec, exec, s[38:39]
	s_and_saveexec_b64 s[38:39], s[10:11]
	s_cbranch_execz .LBB118_50
.LBB118_66:                             ;   in Loop: Header=BB118_45 Depth=1
	ds_read_b32 v6, v7 offset:16416
	s_waitcnt lgkmcnt(0)
	v_add_u32_e32 v12, v12, v6
	s_or_b64 exec, exec, s[38:39]
	s_and_saveexec_b64 s[38:39], s[12:13]
	s_cbranch_execz .LBB118_51
.LBB118_67:                             ;   in Loop: Header=BB118_45 Depth=1
	ds_read_b32 v6, v7 offset:16424
	s_waitcnt lgkmcnt(0)
	v_add_u32_e32 v12, v12, v6
	s_or_b64 exec, exec, s[38:39]
	s_and_saveexec_b64 s[38:39], s[14:15]
	s_cbranch_execz .LBB118_52
.LBB118_68:                             ;   in Loop: Header=BB118_45 Depth=1
	ds_read_b32 v6, v7 offset:16432
	s_waitcnt lgkmcnt(0)
	v_add_u32_e32 v12, v12, v6
	s_or_b64 exec, exec, s[38:39]
	s_and_saveexec_b64 s[38:39], s[16:17]
	s_cbranch_execz .LBB118_53
.LBB118_69:                             ;   in Loop: Header=BB118_45 Depth=1
	ds_read_b32 v6, v7 offset:16440
	s_waitcnt lgkmcnt(0)
	v_add_u32_e32 v12, v12, v6
	s_or_b64 exec, exec, s[38:39]
	s_and_saveexec_b64 s[38:39], s[18:19]
	s_cbranch_execz .LBB118_54
.LBB118_70:                             ;   in Loop: Header=BB118_45 Depth=1
	ds_read_b32 v6, v7 offset:16448
	s_waitcnt lgkmcnt(0)
	v_add_u32_e32 v12, v12, v6
	s_or_b64 exec, exec, s[38:39]
	s_and_saveexec_b64 s[38:39], s[20:21]
	s_cbranch_execz .LBB118_55
.LBB118_71:                             ;   in Loop: Header=BB118_45 Depth=1
	ds_read_b32 v6, v7 offset:16456
	s_waitcnt lgkmcnt(0)
	v_add_u32_e32 v12, v12, v6
	s_or_b64 exec, exec, s[38:39]
	s_and_saveexec_b64 s[38:39], s[22:23]
	s_cbranch_execz .LBB118_56
.LBB118_72:                             ;   in Loop: Header=BB118_45 Depth=1
	ds_read_b32 v6, v7 offset:16464
	s_waitcnt lgkmcnt(0)
	v_add_u32_e32 v12, v12, v6
	s_or_b64 exec, exec, s[38:39]
	s_and_saveexec_b64 s[38:39], s[24:25]
	s_cbranch_execz .LBB118_57
.LBB118_73:                             ;   in Loop: Header=BB118_45 Depth=1
	ds_read_b32 v6, v7 offset:16472
	s_waitcnt lgkmcnt(0)
	v_add_u32_e32 v12, v12, v6
	s_or_b64 exec, exec, s[38:39]
	s_and_saveexec_b64 s[38:39], s[26:27]
	s_cbranch_execz .LBB118_58
.LBB118_74:                             ;   in Loop: Header=BB118_45 Depth=1
	ds_read_b32 v6, v7 offset:16480
	s_waitcnt lgkmcnt(0)
	v_add_u32_e32 v12, v12, v6
	s_or_b64 exec, exec, s[38:39]
	s_and_saveexec_b64 s[38:39], s[28:29]
	s_cbranch_execz .LBB118_59
.LBB118_75:                             ;   in Loop: Header=BB118_45 Depth=1
	ds_read_b32 v6, v7 offset:16488
	s_waitcnt lgkmcnt(0)
	v_add_u32_e32 v12, v12, v6
	s_or_b64 exec, exec, s[38:39]
	s_and_saveexec_b64 s[38:39], s[30:31]
	s_cbranch_execz .LBB118_60
.LBB118_76:                             ;   in Loop: Header=BB118_45 Depth=1
	ds_read_b32 v6, v7 offset:16496
	s_waitcnt lgkmcnt(0)
	v_add_u32_e32 v12, v12, v6
	s_or_b64 exec, exec, s[38:39]
	v_ashrrev_i32_e32 v13, 31, v12
	s_and_saveexec_b64 s[38:39], vcc
	s_cbranch_execz .LBB118_61
.LBB118_77:                             ;   in Loop: Header=BB118_45 Depth=1
	v_add3_u32 v6, v10, -1, v12
	v_lshl_add_u32 v6, v6, 3, 0
	ds_write2st64_b64 v6, v[2:3], v[4:5] offset1:16
	s_or_b64 exec, exec, s[38:39]
	s_and_saveexec_b64 s[38:39], s[0:1]
	s_cbranch_execz .LBB118_44
.LBB118_78:                             ;   in Loop: Header=BB118_45 Depth=1
	ds_write_b64 v7, v[12:13] offset:16504
	s_branch .LBB118_44
.LBB118_79:
	s_or_b64 exec, exec, s[36:37]
	s_lshl_b64 s[0:1], s[52:53], 3
	s_add_u32 s0, s42, s0
	s_addc_u32 s1, s43, s1
	s_load_dwordx4 s[0:3], s[0:1], 0x0
	v_mov_b32_e32 v1, 0
	s_waitcnt lgkmcnt(0)
	s_sub_u32 s4, s2, s0
	s_subb_u32 s5, s3, s1
	v_cmp_gt_i64_e32 vcc, s[4:5], v[0:1]
	s_and_saveexec_b64 s[6:7], vcc
	s_cbranch_execz .LBB118_89
; %bb.80:
	s_sub_u32 s6, s0, s46
	s_subb_u32 s7, s1, 0
	s_and_b32 s8, s4, 7
	s_sub_u32 s0, s0, s2
	s_mov_b32 s16, 0
	s_subb_u32 s1, s1, s3
	s_mov_b32 s9, s16
	s_and_b32 s2, s4, -8
	v_cmp_lt_u64_e64 s[0:1], s[0:1], -7
	s_cmp_lg_u64 s[8:9], 0
	v_cndmask_b32_e64 v2, 0, 1, s[0:1]
	s_mov_b32 s3, s5
	s_mov_b64 s[10:11], 0
	s_cselect_b64 s[12:13], -1, 0
	v_cmp_ne_u32_e64 s[0:1], 1, v2
	s_branch .LBB118_82
.LBB118_81:                             ;   in Loop: Header=BB118_82 Depth=1
	v_mov_b32_e32 v8, s16
	s_waitcnt lgkmcnt(0)
	v_add_co_u32_e32 v2, vcc, s46, v2
	v_addc_co_u32_e32 v3, vcc, v3, v8, vcc
	v_lshlrev_b64 v[6:7], 3, v[6:7]
	v_mov_b32_e32 v9, s49
	v_add_co_u32_e32 v8, vcc, s48, v6
	v_addc_co_u32_e32 v9, vcc, v9, v7, vcc
	global_store_dwordx2 v[8:9], v[2:3], off
	v_mov_b32_e32 v3, s51
	v_add_co_u32_e32 v2, vcc, s50, v6
	v_addc_co_u32_e32 v3, vcc, v3, v7, vcc
	v_add_co_u32_e32 v0, vcc, 0x200, v0
	v_addc_co_u32_e32 v1, vcc, 0, v1, vcc
	v_cmp_le_i64_e32 vcc, s[4:5], v[0:1]
	s_or_b64 s[10:11], vcc, s[10:11]
	global_store_dwordx2 v[2:3], v[4:5], off
	s_andn2_b64 exec, exec, s[10:11]
	s_cbranch_execz .LBB118_89
.LBB118_82:                             ; =>This Loop Header: Depth=1
                                        ;     Child Loop BB118_84 Depth 2
                                        ;     Child Loop BB118_88 Depth 2
	v_lshl_add_u32 v2, v0, 3, 0
	ds_read2st64_b64 v[2:5], v2 offset1:16
	s_and_b64 vcc, exec, s[0:1]
	v_pk_mov_b32 v[6:7], s[6:7], s[6:7] op_sel:[0,1]
	s_mov_b64 s[14:15], 0
	s_cbranch_vccnz .LBB118_86
; %bb.83:                               ;   in Loop: Header=BB118_82 Depth=1
	s_mov_b32 s17, 0
	v_pk_mov_b32 v[6:7], s[6:7], s[6:7] op_sel:[0,1]
.LBB118_84:                             ;   Parent Loop BB118_82 Depth=1
                                        ; =>  This Inner Loop Header: Depth=2
	v_mov_b32_e32 v20, s17
	ds_read2_b64 v[8:11], v20 offset1:1
	ds_read2_b64 v[12:15], v20 offset0:2 offset1:3
	ds_read2_b64 v[16:19], v20 offset0:4 offset1:5
	;; [unrolled: 1-line block ×3, first 2 shown]
	s_add_u32 s14, s14, 8
	s_waitcnt lgkmcnt(3)
	v_cmp_gt_i64_e32 vcc, v[2:3], v[8:9]
	v_cndmask_b32_e64 v8, 0, 1, vcc
	v_cmp_gt_i64_e32 vcc, v[2:3], v[10:11]
	v_cndmask_b32_e64 v9, 0, 1, vcc
	s_waitcnt lgkmcnt(2)
	v_cmp_gt_i64_e32 vcc, v[2:3], v[12:13]
	v_cndmask_b32_e64 v10, 0, 1, vcc
	v_cmp_gt_i64_e32 vcc, v[2:3], v[14:15]
	v_cndmask_b32_e64 v11, 0, 1, vcc
	;; [unrolled: 5-line block ×4, first 2 shown]
	v_add_co_u32_e32 v6, vcc, v6, v8
	v_addc_co_u32_e32 v7, vcc, 0, v7, vcc
	v_add_co_u32_e32 v6, vcc, v6, v9
	v_addc_co_u32_e32 v7, vcc, 0, v7, vcc
	v_add_co_u32_e32 v6, vcc, v6, v10
	v_addc_co_u32_e32 v7, vcc, 0, v7, vcc
	v_add_co_u32_e32 v6, vcc, v6, v11
	v_addc_co_u32_e32 v7, vcc, 0, v7, vcc
	v_add_co_u32_e32 v6, vcc, v6, v12
	v_addc_co_u32_e32 v7, vcc, 0, v7, vcc
	v_add_co_u32_e32 v6, vcc, v6, v13
	v_addc_co_u32_e32 v7, vcc, 0, v7, vcc
	v_add_co_u32_e32 v6, vcc, v6, v14
	v_addc_co_u32_e32 v7, vcc, 0, v7, vcc
	s_addc_u32 s15, s15, 0
	s_add_i32 s17, s17, 64
	v_add_co_u32_e32 v6, vcc, v6, v15
	s_cmp_eq_u64 s[2:3], s[14:15]
	v_addc_co_u32_e32 v7, vcc, 0, v7, vcc
	s_cbranch_scc0 .LBB118_84
; %bb.85:                               ;   in Loop: Header=BB118_82 Depth=1
	s_mov_b64 s[14:15], s[2:3]
.LBB118_86:                             ;   in Loop: Header=BB118_82 Depth=1
	s_andn2_b64 vcc, exec, s[12:13]
	s_cbranch_vccnz .LBB118_81
; %bb.87:                               ;   in Loop: Header=BB118_82 Depth=1
	s_lshl_b32 s14, s14, 3
	s_add_i32 s17, s14, 0
	s_mov_b64 s[14:15], s[8:9]
.LBB118_88:                             ;   Parent Loop BB118_82 Depth=1
                                        ; =>  This Inner Loop Header: Depth=2
	v_mov_b32_e32 v8, s17
	ds_read_b64 v[8:9], v8
	s_add_i32 s17, s17, 8
	s_add_u32 s14, s14, -1
	s_addc_u32 s15, s15, -1
	s_cmp_lg_u64 s[14:15], 0
	s_waitcnt lgkmcnt(0)
	v_cmp_gt_i64_e32 vcc, v[2:3], v[8:9]
	v_cndmask_b32_e64 v8, 0, 1, vcc
	v_add_co_u32_e32 v6, vcc, v6, v8
	v_addc_co_u32_e32 v7, vcc, 0, v7, vcc
	s_cbranch_scc1 .LBB118_88
	s_branch .LBB118_81
.LBB118_89:
	s_endpgm
	.section	.rodata,"a",@progbits
	.p2align	6, 0x0
	.amdhsa_kernel _ZN9rocsparseL26csrgemm_fill_block_per_rowILj512ELj32ELj1024ELj137ELj32ElldEEvT5_PKS1_S3_NS_24const_host_device_scalarIT6_EEPKT4_S3_PKS5_S9_S3_SB_S6_S9_S3_SB_S9_PS1_PS5_21rocsparse_index_base_SE_SE_SE_bbb
		.amdhsa_group_segment_fixed_size 0
		.amdhsa_private_segment_fixed_size 0
		.amdhsa_kernarg_size 156
		.amdhsa_user_sgpr_count 6
		.amdhsa_user_sgpr_private_segment_buffer 1
		.amdhsa_user_sgpr_dispatch_ptr 0
		.amdhsa_user_sgpr_queue_ptr 0
		.amdhsa_user_sgpr_kernarg_segment_ptr 1
		.amdhsa_user_sgpr_dispatch_id 0
		.amdhsa_user_sgpr_flat_scratch_init 0
		.amdhsa_user_sgpr_kernarg_preload_length 0
		.amdhsa_user_sgpr_kernarg_preload_offset 0
		.amdhsa_user_sgpr_private_segment_size 0
		.amdhsa_uses_dynamic_stack 0
		.amdhsa_system_sgpr_private_segment_wavefront_offset 0
		.amdhsa_system_sgpr_workgroup_id_x 1
		.amdhsa_system_sgpr_workgroup_id_y 0
		.amdhsa_system_sgpr_workgroup_id_z 0
		.amdhsa_system_sgpr_workgroup_info 0
		.amdhsa_system_vgpr_workitem_id 0
		.amdhsa_next_free_vgpr 30
		.amdhsa_next_free_sgpr 55
		.amdhsa_accum_offset 32
		.amdhsa_reserve_vcc 1
		.amdhsa_reserve_flat_scratch 0
		.amdhsa_float_round_mode_32 0
		.amdhsa_float_round_mode_16_64 0
		.amdhsa_float_denorm_mode_32 3
		.amdhsa_float_denorm_mode_16_64 3
		.amdhsa_dx10_clamp 1
		.amdhsa_ieee_mode 1
		.amdhsa_fp16_overflow 0
		.amdhsa_tg_split 0
		.amdhsa_exception_fp_ieee_invalid_op 0
		.amdhsa_exception_fp_denorm_src 0
		.amdhsa_exception_fp_ieee_div_zero 0
		.amdhsa_exception_fp_ieee_overflow 0
		.amdhsa_exception_fp_ieee_underflow 0
		.amdhsa_exception_fp_ieee_inexact 0
		.amdhsa_exception_int_div_zero 0
	.end_amdhsa_kernel
	.section	.text._ZN9rocsparseL26csrgemm_fill_block_per_rowILj512ELj32ELj1024ELj137ELj32ElldEEvT5_PKS1_S3_NS_24const_host_device_scalarIT6_EEPKT4_S3_PKS5_S9_S3_SB_S6_S9_S3_SB_S9_PS1_PS5_21rocsparse_index_base_SE_SE_SE_bbb,"axG",@progbits,_ZN9rocsparseL26csrgemm_fill_block_per_rowILj512ELj32ELj1024ELj137ELj32ElldEEvT5_PKS1_S3_NS_24const_host_device_scalarIT6_EEPKT4_S3_PKS5_S9_S3_SB_S6_S9_S3_SB_S9_PS1_PS5_21rocsparse_index_base_SE_SE_SE_bbb,comdat
.Lfunc_end118:
	.size	_ZN9rocsparseL26csrgemm_fill_block_per_rowILj512ELj32ELj1024ELj137ELj32ElldEEvT5_PKS1_S3_NS_24const_host_device_scalarIT6_EEPKT4_S3_PKS5_S9_S3_SB_S6_S9_S3_SB_S9_PS1_PS5_21rocsparse_index_base_SE_SE_SE_bbb, .Lfunc_end118-_ZN9rocsparseL26csrgemm_fill_block_per_rowILj512ELj32ELj1024ELj137ELj32ElldEEvT5_PKS1_S3_NS_24const_host_device_scalarIT6_EEPKT4_S3_PKS5_S9_S3_SB_S6_S9_S3_SB_S9_PS1_PS5_21rocsparse_index_base_SE_SE_SE_bbb
                                        ; -- End function
	.section	.AMDGPU.csdata,"",@progbits
; Kernel info:
; codeLenInByte = 3076
; NumSgprs: 59
; NumVgprs: 30
; NumAgprs: 0
; TotalNumVgprs: 30
; ScratchSize: 0
; MemoryBound: 0
; FloatMode: 240
; IeeeMode: 1
; LDSByteSize: 0 bytes/workgroup (compile time only)
; SGPRBlocks: 7
; VGPRBlocks: 3
; NumSGPRsForWavesPerEU: 59
; NumVGPRsForWavesPerEU: 30
; AccumOffset: 32
; Occupancy: 8
; WaveLimiterHint : 1
; COMPUTE_PGM_RSRC2:SCRATCH_EN: 0
; COMPUTE_PGM_RSRC2:USER_SGPR: 6
; COMPUTE_PGM_RSRC2:TRAP_HANDLER: 0
; COMPUTE_PGM_RSRC2:TGID_X_EN: 1
; COMPUTE_PGM_RSRC2:TGID_Y_EN: 0
; COMPUTE_PGM_RSRC2:TGID_Z_EN: 0
; COMPUTE_PGM_RSRC2:TIDIG_COMP_CNT: 0
; COMPUTE_PGM_RSRC3_GFX90A:ACCUM_OFFSET: 7
; COMPUTE_PGM_RSRC3_GFX90A:TG_SPLIT: 0
	.section	.text._ZN9rocsparseL26csrgemm_fill_block_per_rowILj512ELj32ELj1024ELj137ELj64ElldEEvT5_PKS1_S3_NS_24const_host_device_scalarIT6_EEPKT4_S3_PKS5_S9_S3_SB_S6_S9_S3_SB_S9_PS1_PS5_21rocsparse_index_base_SE_SE_SE_bbb,"axG",@progbits,_ZN9rocsparseL26csrgemm_fill_block_per_rowILj512ELj32ELj1024ELj137ELj64ElldEEvT5_PKS1_S3_NS_24const_host_device_scalarIT6_EEPKT4_S3_PKS5_S9_S3_SB_S6_S9_S3_SB_S9_PS1_PS5_21rocsparse_index_base_SE_SE_SE_bbb,comdat
	.globl	_ZN9rocsparseL26csrgemm_fill_block_per_rowILj512ELj32ELj1024ELj137ELj64ElldEEvT5_PKS1_S3_NS_24const_host_device_scalarIT6_EEPKT4_S3_PKS5_S9_S3_SB_S6_S9_S3_SB_S9_PS1_PS5_21rocsparse_index_base_SE_SE_SE_bbb ; -- Begin function _ZN9rocsparseL26csrgemm_fill_block_per_rowILj512ELj32ELj1024ELj137ELj64ElldEEvT5_PKS1_S3_NS_24const_host_device_scalarIT6_EEPKT4_S3_PKS5_S9_S3_SB_S6_S9_S3_SB_S9_PS1_PS5_21rocsparse_index_base_SE_SE_SE_bbb
	.p2align	8
	.type	_ZN9rocsparseL26csrgemm_fill_block_per_rowILj512ELj32ELj1024ELj137ELj64ElldEEvT5_PKS1_S3_NS_24const_host_device_scalarIT6_EEPKT4_S3_PKS5_S9_S3_SB_S6_S9_S3_SB_S9_PS1_PS5_21rocsparse_index_base_SE_SE_SE_bbb,@function
_ZN9rocsparseL26csrgemm_fill_block_per_rowILj512ELj32ELj1024ELj137ELj64ElldEEvT5_PKS1_S3_NS_24const_host_device_scalarIT6_EEPKT4_S3_PKS5_S9_S3_SB_S6_S9_S3_SB_S9_PS1_PS5_21rocsparse_index_base_SE_SE_SE_bbb: ; @_ZN9rocsparseL26csrgemm_fill_block_per_rowILj512ELj32ELj1024ELj137ELj64ElldEEvT5_PKS1_S3_NS_24const_host_device_scalarIT6_EEPKT4_S3_PKS5_S9_S3_SB_S6_S9_S3_SB_S9_PS1_PS5_21rocsparse_index_base_SE_SE_SE_bbb
; %bb.0:
	s_load_dword s7, s[4:5], 0x98
	s_load_dwordx4 s[28:31], s[4:5], 0x88
	s_load_dwordx2 s[0:1], s[4:5], 0x18
	s_load_dwordx2 s[34:35], s[4:5], 0x50
	s_waitcnt lgkmcnt(0)
	s_and_b32 s2, 1, s7
	s_bitcmp1_b32 s7, 16
	s_cselect_b64 s[40:41], -1, 0
	s_cmp_eq_u32 s2, 1
	s_cselect_b64 s[44:45], -1, 0
	s_and_b64 s[2:3], s[44:45], exec
	s_cselect_b32 s3, s1, 0
	s_cselect_b32 s2, s0, 0
	s_xor_b64 s[8:9], s[44:45], -1
	s_or_b64 s[8:9], s[8:9], s[40:41]
	s_and_b64 vcc, exec, s[8:9]
	v_pk_mov_b32 v[4:5], s[2:3], s[2:3] op_sel:[0,1]
	s_cbranch_vccnz .LBB119_2
; %bb.1:
	v_pk_mov_b32 v[2:3], s[0:1], s[0:1] op_sel:[0,1]
	flat_load_dwordx2 v[4:5], v[2:3]
.LBB119_2:
	s_load_dwordx4 s[36:39], s[4:5], 0x78
	s_load_dwordx8 s[12:19], s[4:5], 0x58
	s_load_dwordx4 s[0:3], s[4:5], 0x40
	s_load_dwordx4 s[8:11], s[4:5], 0x8
	s_load_dwordx8 s[20:27], s[4:5], 0x20
	s_bitcmp1_b32 s7, 8
	s_cselect_b64 s[42:43], -1, 0
	s_and_b64 s[46:47], s[42:43], exec
	s_cselect_b32 s47, s35, 0
	s_cselect_b32 s46, s34, 0
	s_xor_b64 s[48:49], s[42:43], -1
	s_or_b64 s[40:41], s[48:49], s[40:41]
	s_and_b64 vcc, exec, s[40:41]
	v_pk_mov_b32 v[2:3], s[46:47], s[46:47] op_sel:[0,1]
	s_cbranch_vccnz .LBB119_4
; %bb.3:
	v_pk_mov_b32 v[2:3], s[34:35], s[34:35] op_sel:[0,1]
	flat_load_dwordx2 v[2:3], v[2:3]
.LBB119_4:
	s_load_dwordx2 s[34:35], s[4:5], 0x0
	v_or_b32_e32 v1, 0xfffffe00, v0
	v_mov_b32_e32 v6, 0
	v_lshl_add_u32 v19, v0, 3, 0
	s_mov_b64 s[4:5], 0
	s_waitcnt lgkmcnt(0)
	v_pk_mov_b32 v[8:9], s[34:35], s[34:35] op_sel:[0,1]
	v_mov_b32_e32 v7, v6
	v_mov_b32_e32 v10, v19
	;; [unrolled: 1-line block ×3, first 2 shown]
.LBB119_5:                              ; =>This Inner Loop Header: Depth=1
	v_add_co_u32_e32 v11, vcc, 0x200, v11
	s_xor_b64 s[40:41], vcc, -1
	s_and_b64 s[40:41], exec, s[40:41]
	ds_write2st64_b64 v10, v[8:9], v[6:7] offset1:16
	s_or_b64 s[4:5], s[40:41], s[4:5]
	v_add_u32_e32 v10, 0x1000, v10
	s_andn2_b64 exec, exec, s[4:5]
	s_cbranch_execnz .LBB119_5
; %bb.6:
	s_or_b64 exec, exec, s[4:5]
	s_waitcnt lgkmcnt(0)
	s_barrier
	s_load_dwordx2 s[4:5], s[8:9], 0x0
	s_mov_b32 s7, 0
	s_waitcnt lgkmcnt(0)
	s_lshl_b64 s[4:5], s[4:5], 3
	s_add_u32 s8, s10, s4
	s_addc_u32 s9, s11, s5
	s_lshl_b64 s[4:5], s[6:7], 3
	s_add_u32 s4, s8, s4
	s_addc_u32 s5, s9, s5
	s_load_dwordx2 s[40:41], s[4:5], 0x0
	s_and_b64 vcc, exec, s[44:45]
	s_cbranch_vccz .LBB119_26
; %bb.7:
	s_waitcnt lgkmcnt(0)
	s_lshl_b64 s[4:5], s[40:41], 3
	s_add_u32 s4, s20, s4
	s_addc_u32 s5, s21, s5
	s_load_dwordx4 s[8:11], s[4:5], 0x0
	v_lshrrev_b32_e32 v6, 5, v0
	v_subrev_co_u32_e32 v6, vcc, s28, v6
	s_waitcnt lgkmcnt(0)
	s_sub_u32 s4, s10, s28
	s_subb_u32 s5, s11, 0
	v_subb_co_u32_e64 v7, s[10:11], 0, 0, vcc
	v_mov_b32_e32 v8, s9
	v_add_co_u32_e32 v6, vcc, s8, v6
	v_addc_co_u32_e32 v7, vcc, v8, v7, vcc
	v_cmp_gt_i64_e32 vcc, s[4:5], v[6:7]
	s_and_saveexec_b64 s[8:9], vcc
	s_cbranch_execz .LBB119_25
; %bb.8:
	v_and_b32_e32 v8, 31, v0
	v_subrev_co_u32_e32 v22, vcc, s29, v8
	s_mov_b32 s6, 0
	v_subb_co_u32_e64 v23, s[10:11], 0, 0, vcc
	s_mov_b32 s33, s28
	s_mov_b32 s54, s29
	s_mov_b64 s[10:11], 0
	v_mov_b32_e32 v24, s23
	v_mov_b32_e32 v25, s7
	;; [unrolled: 1-line block ×4, first 2 shown]
	s_movk_i32 s23, 0x89
	s_branch .LBB119_10
.LBB119_9:                              ;   in Loop: Header=BB119_10 Depth=1
	s_or_b64 exec, exec, s[6:7]
	v_add_co_u32_e32 v6, vcc, 16, v6
	v_addc_co_u32_e32 v7, vcc, 0, v7, vcc
	v_cmp_le_i64_e32 vcc, s[4:5], v[6:7]
	s_or_b64 s[10:11], vcc, s[10:11]
	s_andn2_b64 exec, exec, s[10:11]
	s_cbranch_execz .LBB119_25
.LBB119_10:                             ; =>This Loop Header: Depth=1
                                        ;     Child Loop BB119_13 Depth 2
                                        ;       Child Loop BB119_15 Depth 3
	v_lshlrev_b64 v[12:13], 3, v[6:7]
	v_add_co_u32_e32 v8, vcc, s22, v12
	v_addc_co_u32_e32 v9, vcc, v24, v13, vcc
	global_load_dwordx2 v[8:9], v[8:9], off
	s_waitcnt vmcnt(0)
	v_subrev_co_u32_e32 v8, vcc, s33, v8
	v_subb_co_u32_e32 v9, vcc, v9, v25, vcc
	v_lshlrev_b64 v[8:9], 3, v[8:9]
	v_add_co_u32_e32 v8, vcc, s26, v8
	v_addc_co_u32_e32 v9, vcc, v26, v9, vcc
	global_load_dwordx4 v[14:17], v[8:9], off
	s_waitcnt vmcnt(0)
	v_subrev_co_u32_e32 v8, vcc, s54, v16
	v_subb_co_u32_e32 v9, vcc, v17, v27, vcc
	v_add_co_u32_e32 v10, vcc, v14, v22
	v_addc_co_u32_e32 v11, vcc, v15, v23, vcc
	v_cmp_lt_i64_e32 vcc, v[10:11], v[8:9]
	s_and_saveexec_b64 s[6:7], vcc
	s_cbranch_execz .LBB119_9
; %bb.11:                               ;   in Loop: Header=BB119_10 Depth=1
	v_mov_b32_e32 v14, s25
	v_add_co_u32_e32 v12, vcc, s24, v12
	v_addc_co_u32_e32 v13, vcc, v14, v13, vcc
	global_load_dwordx2 v[12:13], v[12:13], off
	s_mov_b64 s[20:21], 0
	s_waitcnt vmcnt(0)
	v_mul_f64 v[12:13], v[4:5], v[12:13]
	s_branch .LBB119_13
.LBB119_12:                             ;   in Loop: Header=BB119_13 Depth=2
	s_or_b64 exec, exec, s[28:29]
	v_add_co_u32_e32 v10, vcc, 32, v10
	v_addc_co_u32_e32 v11, vcc, 0, v11, vcc
	v_cmp_ge_i64_e32 vcc, v[10:11], v[8:9]
	s_or_b64 s[20:21], vcc, s[20:21]
	s_andn2_b64 exec, exec, s[20:21]
	s_cbranch_execz .LBB119_9
.LBB119_13:                             ;   Parent Loop BB119_10 Depth=1
                                        ; =>  This Loop Header: Depth=2
                                        ;       Child Loop BB119_15 Depth 3
	v_lshlrev_b64 v[14:15], 3, v[10:11]
	v_mov_b32_e32 v17, s1
	v_add_co_u32_e32 v16, vcc, s0, v14
	v_addc_co_u32_e32 v17, vcc, v17, v15, vcc
	global_load_dwordx2 v[16:17], v[16:17], off
	v_mov_b32_e32 v18, s3
	v_add_co_u32_e32 v14, vcc, s2, v14
	v_addc_co_u32_e32 v15, vcc, v18, v15, vcc
	global_load_dwordx2 v[20:21], v[14:15], off
	s_mov_b64 s[28:29], 0
	s_waitcnt vmcnt(1)
	v_subrev_co_u32_e32 v14, vcc, s54, v16
	v_mul_lo_u32 v18, v14, s23
	v_subb_co_u32_e32 v15, vcc, v17, v27, vcc
	v_and_b32_e32 v18, 0x3ff, v18
	s_waitcnt vmcnt(0)
	v_mul_f64 v[16:17], v[12:13], v[20:21]
	s_branch .LBB119_15
.LBB119_14:                             ;   in Loop: Header=BB119_15 Depth=3
	s_or_b64 exec, exec, s[44:45]
	s_xor_b64 s[44:45], s[46:47], -1
	s_and_b64 s[44:45], exec, s[44:45]
	s_or_b64 s[28:29], s[44:45], s[28:29]
	s_andn2_b64 exec, exec, s[28:29]
	s_cbranch_execz .LBB119_12
.LBB119_15:                             ;   Parent Loop BB119_10 Depth=1
                                        ;     Parent Loop BB119_13 Depth=2
                                        ; =>    This Inner Loop Header: Depth=3
	v_lshl_add_u32 v28, v18, 3, 0
	ds_read_b64 v[20:21], v28
                                        ; implicit-def: $sgpr46_sgpr47
	s_waitcnt lgkmcnt(0)
	v_cmp_ne_u64_e32 vcc, v[20:21], v[14:15]
	s_and_saveexec_b64 s[44:45], vcc
	s_xor_b64 s[44:45], exec, s[44:45]
	s_cbranch_execz .LBB119_23
; %bb.16:                               ;   in Loop: Header=BB119_15 Depth=3
	v_cmp_ne_u64_e32 vcc, s[34:35], v[20:21]
                                        ; implicit-def: $sgpr46_sgpr47
	s_and_saveexec_b64 s[48:49], vcc
	s_xor_b64 s[48:49], exec, s[48:49]
; %bb.17:                               ;   in Loop: Header=BB119_15 Depth=3
	v_add_u32_e32 v18, 1, v18
	v_and_b32_e32 v18, 0x3ff, v18
	s_mov_b64 s[46:47], -1
                                        ; implicit-def: $vgpr28
; %bb.18:                               ;   in Loop: Header=BB119_15 Depth=3
	s_andn2_saveexec_b64 s[48:49], s[48:49]
	s_cbranch_execz .LBB119_22
; %bb.19:                               ;   in Loop: Header=BB119_15 Depth=3
	v_pk_mov_b32 v[20:21], s[34:35], s[34:35] op_sel:[0,1]
	ds_cmpst_rtn_b64 v[20:21], v28, v[20:21], v[14:15]
	s_mov_b64 s[50:51], -1
	s_waitcnt lgkmcnt(0)
	v_cmp_eq_u64_e32 vcc, s[34:35], v[20:21]
	s_and_saveexec_b64 s[52:53], vcc
	s_cbranch_execz .LBB119_21
; %bb.20:                               ;   in Loop: Header=BB119_15 Depth=3
	ds_add_f64 v28, v[16:17] offset:8192
	s_xor_b64 s[50:51], exec, -1
.LBB119_21:                             ;   in Loop: Header=BB119_15 Depth=3
	s_or_b64 exec, exec, s[52:53]
	s_andn2_b64 s[46:47], s[46:47], exec
	s_and_b64 s[50:51], s[50:51], exec
	s_or_b64 s[46:47], s[46:47], s[50:51]
.LBB119_22:                             ;   in Loop: Header=BB119_15 Depth=3
	s_or_b64 exec, exec, s[48:49]
	s_and_b64 s[46:47], s[46:47], exec
                                        ; implicit-def: $vgpr28
.LBB119_23:                             ;   in Loop: Header=BB119_15 Depth=3
	s_andn2_saveexec_b64 s[44:45], s[44:45]
	s_cbranch_execz .LBB119_14
; %bb.24:                               ;   in Loop: Header=BB119_15 Depth=3
	ds_add_f64 v28, v[16:17] offset:8192
	s_andn2_b64 s[46:47], s[46:47], exec
	s_branch .LBB119_14
.LBB119_25:
	s_or_b64 exec, exec, s[8:9]
.LBB119_26:
	s_andn2_b64 vcc, exec, s[42:43]
	s_cbranch_vccnz .LBB119_43
; %bb.27:
	s_waitcnt lgkmcnt(0)
	s_lshl_b64 s[0:1], s[40:41], 3
	s_add_u32 s0, s12, s0
	s_addc_u32 s1, s13, s1
	s_load_dwordx4 s[8:11], s[0:1], 0x0
	s_waitcnt vmcnt(0)
	v_subrev_co_u32_e32 v4, vcc, s31, v0
	v_subb_co_u32_e64 v5, s[2:3], 0, 0, vcc
	s_waitcnt lgkmcnt(0)
	s_sub_u32 s0, s10, s31
	v_mov_b32_e32 v6, s9
	v_add_co_u32_e32 v4, vcc, s8, v4
	s_subb_u32 s1, s11, 0
	v_addc_co_u32_e32 v5, vcc, v6, v5, vcc
	s_mov_b32 s6, 0
	v_cmp_gt_i64_e32 vcc, s[0:1], v[4:5]
	s_and_saveexec_b64 s[2:3], vcc
	s_cbranch_execz .LBB119_42
; %bb.28:
	s_mov_b32 s24, s31
	s_mov_b64 s[4:5], 0
	v_mov_b32_e32 v11, s15
	v_mov_b32_e32 v14, s6
	;; [unrolled: 1-line block ×3, first 2 shown]
	s_movk_i32 s15, 0x89
	s_branch .LBB119_30
.LBB119_29:                             ;   in Loop: Header=BB119_30 Depth=1
	s_or_b64 exec, exec, s[6:7]
	v_add_co_u32_e32 v4, vcc, 0x200, v4
	v_addc_co_u32_e32 v5, vcc, 0, v5, vcc
	v_cmp_le_i64_e32 vcc, s[0:1], v[4:5]
	s_or_b64 s[4:5], vcc, s[4:5]
	s_andn2_b64 exec, exec, s[4:5]
	s_cbranch_execz .LBB119_42
.LBB119_30:                             ; =>This Loop Header: Depth=1
                                        ;     Child Loop BB119_32 Depth 2
	v_lshlrev_b64 v[6:7], 3, v[4:5]
	v_add_co_u32_e32 v8, vcc, s14, v6
	v_addc_co_u32_e32 v9, vcc, v11, v7, vcc
	global_load_dwordx2 v[8:9], v[8:9], off
	v_add_co_u32_e32 v6, vcc, s16, v6
	v_addc_co_u32_e32 v7, vcc, v15, v7, vcc
	global_load_dwordx2 v[12:13], v[6:7], off
	s_mov_b64 s[6:7], 0
	s_waitcnt vmcnt(1)
	v_subrev_co_u32_e32 v6, vcc, s24, v8
	v_mul_lo_u32 v10, v6, s15
	v_subb_co_u32_e32 v7, vcc, v9, v14, vcc
	s_waitcnt vmcnt(0)
	v_mul_f64 v[8:9], v[2:3], v[12:13]
	v_and_b32_e32 v10, 0x3ff, v10
	s_branch .LBB119_32
.LBB119_31:                             ;   in Loop: Header=BB119_32 Depth=2
	s_or_b64 exec, exec, s[8:9]
	s_xor_b64 s[8:9], s[10:11], -1
	s_and_b64 s[8:9], exec, s[8:9]
	s_or_b64 s[6:7], s[8:9], s[6:7]
	s_andn2_b64 exec, exec, s[6:7]
	s_cbranch_execz .LBB119_29
.LBB119_32:                             ;   Parent Loop BB119_30 Depth=1
                                        ; =>  This Inner Loop Header: Depth=2
	v_lshl_add_u32 v16, v10, 3, 0
	ds_read_b64 v[12:13], v16
                                        ; implicit-def: $sgpr10_sgpr11
	s_waitcnt lgkmcnt(0)
	v_cmp_ne_u64_e32 vcc, v[12:13], v[6:7]
	s_and_saveexec_b64 s[8:9], vcc
	s_xor_b64 s[8:9], exec, s[8:9]
	s_cbranch_execz .LBB119_40
; %bb.33:                               ;   in Loop: Header=BB119_32 Depth=2
	v_cmp_ne_u64_e32 vcc, s[34:35], v[12:13]
                                        ; implicit-def: $sgpr10_sgpr11
	s_and_saveexec_b64 s[12:13], vcc
	s_xor_b64 s[12:13], exec, s[12:13]
; %bb.34:                               ;   in Loop: Header=BB119_32 Depth=2
	v_add_u32_e32 v10, 1, v10
	v_and_b32_e32 v10, 0x3ff, v10
	s_mov_b64 s[10:11], -1
                                        ; implicit-def: $vgpr16
; %bb.35:                               ;   in Loop: Header=BB119_32 Depth=2
	s_andn2_saveexec_b64 s[12:13], s[12:13]
	s_cbranch_execz .LBB119_39
; %bb.36:                               ;   in Loop: Header=BB119_32 Depth=2
	v_pk_mov_b32 v[12:13], s[34:35], s[34:35] op_sel:[0,1]
	ds_cmpst_rtn_b64 v[12:13], v16, v[12:13], v[6:7]
	s_mov_b64 s[20:21], -1
	s_waitcnt lgkmcnt(0)
	v_cmp_eq_u64_e32 vcc, s[34:35], v[12:13]
	s_and_saveexec_b64 s[22:23], vcc
	s_cbranch_execz .LBB119_38
; %bb.37:                               ;   in Loop: Header=BB119_32 Depth=2
	ds_add_f64 v16, v[8:9] offset:8192
	s_xor_b64 s[20:21], exec, -1
.LBB119_38:                             ;   in Loop: Header=BB119_32 Depth=2
	s_or_b64 exec, exec, s[22:23]
	s_andn2_b64 s[10:11], s[10:11], exec
	s_and_b64 s[20:21], s[20:21], exec
	s_or_b64 s[10:11], s[10:11], s[20:21]
.LBB119_39:                             ;   in Loop: Header=BB119_32 Depth=2
	s_or_b64 exec, exec, s[12:13]
	s_and_b64 s[10:11], s[10:11], exec
                                        ; implicit-def: $vgpr16
.LBB119_40:                             ;   in Loop: Header=BB119_32 Depth=2
	s_andn2_saveexec_b64 s[8:9], s[8:9]
	s_cbranch_execz .LBB119_31
; %bb.41:                               ;   in Loop: Header=BB119_32 Depth=2
	ds_add_f64 v16, v[8:9] offset:8192
	s_andn2_b64 s[10:11], s[10:11], exec
	s_branch .LBB119_31
.LBB119_42:
	s_or_b64 exec, exec, s[2:3]
.LBB119_43:
	s_waitcnt vmcnt(0)
	v_mbcnt_lo_u32_b32 v2, -1, 0
	v_mbcnt_hi_u32_b32 v2, -1, v2
	v_sub_u32_e32 v2, 63, v2
	v_lshrrev_b64 v[8:9], v2, -1
	v_lshrrev_b32_e32 v2, 3, v0
	v_and_b32_e32 v2, 56, v2
	s_movk_i32 s0, 0x1ff
	s_movk_i32 s4, 0x7f
	;; [unrolled: 1-line block ×7, first 2 shown]
	v_mov_b32_e32 v7, 0
	v_add_u32_e32 v14, 0, v2
	v_cmp_eq_u32_e64 s[0:1], s0, v0
	v_cmp_lt_u32_e64 s[2:3], 63, v0
	v_cmp_lt_u32_e64 s[4:5], s4, v0
	;; [unrolled: 1-line block ×7, first 2 shown]
	s_mov_b64 s[16:17], 0
	v_pk_mov_b32 v[10:11], 0, 0
	s_waitcnt lgkmcnt(0)
	s_barrier
	s_branch .LBB119_45
.LBB119_44:                             ;   in Loop: Header=BB119_45 Depth=1
	s_or_b64 exec, exec, s[20:21]
	s_waitcnt lgkmcnt(0)
	s_barrier
	ds_read_b64 v[2:3], v7 offset:16440
	v_add_u32_e32 v19, 0x1000, v19
	s_waitcnt lgkmcnt(0)
	v_add_co_u32_e32 v10, vcc, v2, v10
	v_addc_co_u32_e32 v11, vcc, v3, v11, vcc
	v_add_co_u32_e32 v1, vcc, 0x200, v1
	s_xor_b64 s[20:21], vcc, -1
	s_and_b64 s[20:21], exec, s[20:21]
	s_or_b64 s[16:17], s[20:21], s[16:17]
	s_andn2_b64 exec, exec, s[16:17]
	s_cbranch_execz .LBB119_63
.LBB119_45:                             ; =>This Inner Loop Header: Depth=1
	ds_read2st64_b64 v[2:5], v19 offset1:16
	s_waitcnt lgkmcnt(0)
	s_barrier
	v_cmp_gt_i64_e32 vcc, s[34:35], v[2:3]
	v_and_b32_e32 v13, vcc_lo, v8
	s_bcnt1_i32_b64 s20, vcc
	v_and_b32_e32 v12, vcc_hi, v9
	v_bcnt_u32_b32 v13, v13, 0
	v_mov_b32_e32 v6, s20
	v_bcnt_u32_b32 v12, v12, v13
	ds_write_b64 v14, v[6:7] offset:16384
	s_waitcnt lgkmcnt(0)
	s_barrier
	s_and_saveexec_b64 s[20:21], s[2:3]
	s_cbranch_execnz .LBB119_54
; %bb.46:                               ;   in Loop: Header=BB119_45 Depth=1
	s_or_b64 exec, exec, s[20:21]
	s_and_saveexec_b64 s[20:21], s[4:5]
	s_cbranch_execnz .LBB119_55
.LBB119_47:                             ;   in Loop: Header=BB119_45 Depth=1
	s_or_b64 exec, exec, s[20:21]
	s_and_saveexec_b64 s[20:21], s[6:7]
	s_cbranch_execnz .LBB119_56
.LBB119_48:                             ;   in Loop: Header=BB119_45 Depth=1
	s_or_b64 exec, exec, s[20:21]
	s_and_saveexec_b64 s[20:21], s[8:9]
	s_cbranch_execnz .LBB119_57
.LBB119_49:                             ;   in Loop: Header=BB119_45 Depth=1
	s_or_b64 exec, exec, s[20:21]
	s_and_saveexec_b64 s[20:21], s[10:11]
	s_cbranch_execnz .LBB119_58
.LBB119_50:                             ;   in Loop: Header=BB119_45 Depth=1
	s_or_b64 exec, exec, s[20:21]
	s_and_saveexec_b64 s[20:21], s[12:13]
	s_cbranch_execnz .LBB119_59
.LBB119_51:                             ;   in Loop: Header=BB119_45 Depth=1
	s_or_b64 exec, exec, s[20:21]
	s_and_saveexec_b64 s[20:21], s[14:15]
	s_cbranch_execnz .LBB119_60
.LBB119_52:                             ;   in Loop: Header=BB119_45 Depth=1
	s_or_b64 exec, exec, s[20:21]
	v_ashrrev_i32_e32 v13, 31, v12
	s_and_saveexec_b64 s[20:21], vcc
	s_cbranch_execnz .LBB119_61
.LBB119_53:                             ;   in Loop: Header=BB119_45 Depth=1
	s_or_b64 exec, exec, s[20:21]
	s_and_saveexec_b64 s[20:21], s[0:1]
	s_cbranch_execz .LBB119_44
	s_branch .LBB119_62
.LBB119_54:                             ;   in Loop: Header=BB119_45 Depth=1
	ds_read_b32 v6, v7 offset:16384
	s_waitcnt lgkmcnt(0)
	v_add_u32_e32 v12, v6, v12
	s_or_b64 exec, exec, s[20:21]
	s_and_saveexec_b64 s[20:21], s[4:5]
	s_cbranch_execz .LBB119_47
.LBB119_55:                             ;   in Loop: Header=BB119_45 Depth=1
	ds_read_b32 v6, v7 offset:16392
	s_waitcnt lgkmcnt(0)
	v_add_u32_e32 v12, v12, v6
	s_or_b64 exec, exec, s[20:21]
	s_and_saveexec_b64 s[20:21], s[6:7]
	s_cbranch_execz .LBB119_48
.LBB119_56:                             ;   in Loop: Header=BB119_45 Depth=1
	ds_read_b32 v6, v7 offset:16400
	s_waitcnt lgkmcnt(0)
	v_add_u32_e32 v12, v12, v6
	s_or_b64 exec, exec, s[20:21]
	s_and_saveexec_b64 s[20:21], s[8:9]
	s_cbranch_execz .LBB119_49
.LBB119_57:                             ;   in Loop: Header=BB119_45 Depth=1
	ds_read_b32 v6, v7 offset:16408
	s_waitcnt lgkmcnt(0)
	v_add_u32_e32 v12, v12, v6
	s_or_b64 exec, exec, s[20:21]
	s_and_saveexec_b64 s[20:21], s[10:11]
	s_cbranch_execz .LBB119_50
.LBB119_58:                             ;   in Loop: Header=BB119_45 Depth=1
	ds_read_b32 v6, v7 offset:16416
	s_waitcnt lgkmcnt(0)
	v_add_u32_e32 v12, v12, v6
	s_or_b64 exec, exec, s[20:21]
	s_and_saveexec_b64 s[20:21], s[12:13]
	s_cbranch_execz .LBB119_51
.LBB119_59:                             ;   in Loop: Header=BB119_45 Depth=1
	ds_read_b32 v6, v7 offset:16424
	s_waitcnt lgkmcnt(0)
	v_add_u32_e32 v12, v12, v6
	s_or_b64 exec, exec, s[20:21]
	s_and_saveexec_b64 s[20:21], s[14:15]
	s_cbranch_execz .LBB119_52
.LBB119_60:                             ;   in Loop: Header=BB119_45 Depth=1
	ds_read_b32 v6, v7 offset:16432
	s_waitcnt lgkmcnt(0)
	v_add_u32_e32 v12, v12, v6
	s_or_b64 exec, exec, s[20:21]
	v_ashrrev_i32_e32 v13, 31, v12
	s_and_saveexec_b64 s[20:21], vcc
	s_cbranch_execz .LBB119_53
.LBB119_61:                             ;   in Loop: Header=BB119_45 Depth=1
	v_add3_u32 v6, v10, -1, v12
	v_lshl_add_u32 v6, v6, 3, 0
	ds_write2st64_b64 v6, v[2:3], v[4:5] offset1:16
	s_or_b64 exec, exec, s[20:21]
	s_and_saveexec_b64 s[20:21], s[0:1]
	s_cbranch_execz .LBB119_44
.LBB119_62:                             ;   in Loop: Header=BB119_45 Depth=1
	ds_write_b64 v7, v[12:13] offset:16440
	s_branch .LBB119_44
.LBB119_63:
	s_or_b64 exec, exec, s[16:17]
	s_lshl_b64 s[0:1], s[40:41], 3
	s_add_u32 s0, s18, s0
	s_addc_u32 s1, s19, s1
	s_load_dwordx4 s[0:3], s[0:1], 0x0
	v_mov_b32_e32 v1, 0
	s_waitcnt lgkmcnt(0)
	s_sub_u32 s4, s2, s0
	s_subb_u32 s5, s3, s1
	v_cmp_gt_i64_e32 vcc, s[4:5], v[0:1]
	s_and_saveexec_b64 s[6:7], vcc
	s_cbranch_execz .LBB119_73
; %bb.64:
	s_sub_u32 s6, s0, s30
	s_subb_u32 s7, s1, 0
	s_and_b32 s8, s4, 7
	s_sub_u32 s0, s0, s2
	s_mov_b32 s16, 0
	s_subb_u32 s1, s1, s3
	s_mov_b32 s9, s16
	s_and_b32 s2, s4, -8
	v_cmp_lt_u64_e64 s[0:1], s[0:1], -7
	s_cmp_lg_u64 s[8:9], 0
	v_cndmask_b32_e64 v2, 0, 1, s[0:1]
	s_mov_b32 s3, s5
	s_mov_b64 s[10:11], 0
	s_cselect_b64 s[12:13], -1, 0
	v_cmp_ne_u32_e64 s[0:1], 1, v2
	s_branch .LBB119_66
.LBB119_65:                             ;   in Loop: Header=BB119_66 Depth=1
	v_mov_b32_e32 v8, s16
	s_waitcnt lgkmcnt(0)
	v_add_co_u32_e32 v2, vcc, s30, v2
	v_addc_co_u32_e32 v3, vcc, v3, v8, vcc
	v_lshlrev_b64 v[6:7], 3, v[6:7]
	v_mov_b32_e32 v9, s37
	v_add_co_u32_e32 v8, vcc, s36, v6
	v_addc_co_u32_e32 v9, vcc, v9, v7, vcc
	global_store_dwordx2 v[8:9], v[2:3], off
	v_mov_b32_e32 v3, s39
	v_add_co_u32_e32 v2, vcc, s38, v6
	v_addc_co_u32_e32 v3, vcc, v3, v7, vcc
	v_add_co_u32_e32 v0, vcc, 0x200, v0
	v_addc_co_u32_e32 v1, vcc, 0, v1, vcc
	v_cmp_le_i64_e32 vcc, s[4:5], v[0:1]
	s_or_b64 s[10:11], vcc, s[10:11]
	global_store_dwordx2 v[2:3], v[4:5], off
	s_andn2_b64 exec, exec, s[10:11]
	s_cbranch_execz .LBB119_73
.LBB119_66:                             ; =>This Loop Header: Depth=1
                                        ;     Child Loop BB119_68 Depth 2
                                        ;     Child Loop BB119_72 Depth 2
	v_lshl_add_u32 v2, v0, 3, 0
	ds_read2st64_b64 v[2:5], v2 offset1:16
	s_and_b64 vcc, exec, s[0:1]
	v_pk_mov_b32 v[6:7], s[6:7], s[6:7] op_sel:[0,1]
	s_mov_b64 s[14:15], 0
	s_cbranch_vccnz .LBB119_70
; %bb.67:                               ;   in Loop: Header=BB119_66 Depth=1
	s_mov_b32 s17, 0
	v_pk_mov_b32 v[6:7], s[6:7], s[6:7] op_sel:[0,1]
.LBB119_68:                             ;   Parent Loop BB119_66 Depth=1
                                        ; =>  This Inner Loop Header: Depth=2
	v_mov_b32_e32 v20, s17
	ds_read2_b64 v[8:11], v20 offset1:1
	ds_read2_b64 v[12:15], v20 offset0:2 offset1:3
	ds_read2_b64 v[16:19], v20 offset0:4 offset1:5
	;; [unrolled: 1-line block ×3, first 2 shown]
	s_add_u32 s14, s14, 8
	s_waitcnt lgkmcnt(3)
	v_cmp_gt_i64_e32 vcc, v[2:3], v[8:9]
	v_cndmask_b32_e64 v8, 0, 1, vcc
	v_cmp_gt_i64_e32 vcc, v[2:3], v[10:11]
	v_cndmask_b32_e64 v9, 0, 1, vcc
	s_waitcnt lgkmcnt(2)
	v_cmp_gt_i64_e32 vcc, v[2:3], v[12:13]
	v_cndmask_b32_e64 v10, 0, 1, vcc
	v_cmp_gt_i64_e32 vcc, v[2:3], v[14:15]
	v_cndmask_b32_e64 v11, 0, 1, vcc
	;; [unrolled: 5-line block ×4, first 2 shown]
	v_add_co_u32_e32 v6, vcc, v6, v8
	v_addc_co_u32_e32 v7, vcc, 0, v7, vcc
	v_add_co_u32_e32 v6, vcc, v6, v9
	v_addc_co_u32_e32 v7, vcc, 0, v7, vcc
	;; [unrolled: 2-line block ×7, first 2 shown]
	s_addc_u32 s15, s15, 0
	s_add_i32 s17, s17, 64
	v_add_co_u32_e32 v6, vcc, v6, v15
	s_cmp_eq_u64 s[2:3], s[14:15]
	v_addc_co_u32_e32 v7, vcc, 0, v7, vcc
	s_cbranch_scc0 .LBB119_68
; %bb.69:                               ;   in Loop: Header=BB119_66 Depth=1
	s_mov_b64 s[14:15], s[2:3]
.LBB119_70:                             ;   in Loop: Header=BB119_66 Depth=1
	s_andn2_b64 vcc, exec, s[12:13]
	s_cbranch_vccnz .LBB119_65
; %bb.71:                               ;   in Loop: Header=BB119_66 Depth=1
	s_lshl_b32 s14, s14, 3
	s_add_i32 s17, s14, 0
	s_mov_b64 s[14:15], s[8:9]
.LBB119_72:                             ;   Parent Loop BB119_66 Depth=1
                                        ; =>  This Inner Loop Header: Depth=2
	v_mov_b32_e32 v8, s17
	ds_read_b64 v[8:9], v8
	s_add_i32 s17, s17, 8
	s_add_u32 s14, s14, -1
	s_addc_u32 s15, s15, -1
	s_cmp_lg_u64 s[14:15], 0
	s_waitcnt lgkmcnt(0)
	v_cmp_gt_i64_e32 vcc, v[2:3], v[8:9]
	v_cndmask_b32_e64 v8, 0, 1, vcc
	v_add_co_u32_e32 v6, vcc, v6, v8
	v_addc_co_u32_e32 v7, vcc, 0, v7, vcc
	s_cbranch_scc1 .LBB119_72
	s_branch .LBB119_65
.LBB119_73:
	s_endpgm
	.section	.rodata,"a",@progbits
	.p2align	6, 0x0
	.amdhsa_kernel _ZN9rocsparseL26csrgemm_fill_block_per_rowILj512ELj32ELj1024ELj137ELj64ElldEEvT5_PKS1_S3_NS_24const_host_device_scalarIT6_EEPKT4_S3_PKS5_S9_S3_SB_S6_S9_S3_SB_S9_PS1_PS5_21rocsparse_index_base_SE_SE_SE_bbb
		.amdhsa_group_segment_fixed_size 0
		.amdhsa_private_segment_fixed_size 0
		.amdhsa_kernarg_size 156
		.amdhsa_user_sgpr_count 6
		.amdhsa_user_sgpr_private_segment_buffer 1
		.amdhsa_user_sgpr_dispatch_ptr 0
		.amdhsa_user_sgpr_queue_ptr 0
		.amdhsa_user_sgpr_kernarg_segment_ptr 1
		.amdhsa_user_sgpr_dispatch_id 0
		.amdhsa_user_sgpr_flat_scratch_init 0
		.amdhsa_user_sgpr_kernarg_preload_length 0
		.amdhsa_user_sgpr_kernarg_preload_offset 0
		.amdhsa_user_sgpr_private_segment_size 0
		.amdhsa_uses_dynamic_stack 0
		.amdhsa_system_sgpr_private_segment_wavefront_offset 0
		.amdhsa_system_sgpr_workgroup_id_x 1
		.amdhsa_system_sgpr_workgroup_id_y 0
		.amdhsa_system_sgpr_workgroup_id_z 0
		.amdhsa_system_sgpr_workgroup_info 0
		.amdhsa_system_vgpr_workitem_id 0
		.amdhsa_next_free_vgpr 29
		.amdhsa_next_free_sgpr 55
		.amdhsa_accum_offset 32
		.amdhsa_reserve_vcc 1
		.amdhsa_reserve_flat_scratch 0
		.amdhsa_float_round_mode_32 0
		.amdhsa_float_round_mode_16_64 0
		.amdhsa_float_denorm_mode_32 3
		.amdhsa_float_denorm_mode_16_64 3
		.amdhsa_dx10_clamp 1
		.amdhsa_ieee_mode 1
		.amdhsa_fp16_overflow 0
		.amdhsa_tg_split 0
		.amdhsa_exception_fp_ieee_invalid_op 0
		.amdhsa_exception_fp_denorm_src 0
		.amdhsa_exception_fp_ieee_div_zero 0
		.amdhsa_exception_fp_ieee_overflow 0
		.amdhsa_exception_fp_ieee_underflow 0
		.amdhsa_exception_fp_ieee_inexact 0
		.amdhsa_exception_int_div_zero 0
	.end_amdhsa_kernel
	.section	.text._ZN9rocsparseL26csrgemm_fill_block_per_rowILj512ELj32ELj1024ELj137ELj64ElldEEvT5_PKS1_S3_NS_24const_host_device_scalarIT6_EEPKT4_S3_PKS5_S9_S3_SB_S6_S9_S3_SB_S9_PS1_PS5_21rocsparse_index_base_SE_SE_SE_bbb,"axG",@progbits,_ZN9rocsparseL26csrgemm_fill_block_per_rowILj512ELj32ELj1024ELj137ELj64ElldEEvT5_PKS1_S3_NS_24const_host_device_scalarIT6_EEPKT4_S3_PKS5_S9_S3_SB_S6_S9_S3_SB_S9_PS1_PS5_21rocsparse_index_base_SE_SE_SE_bbb,comdat
.Lfunc_end119:
	.size	_ZN9rocsparseL26csrgemm_fill_block_per_rowILj512ELj32ELj1024ELj137ELj64ElldEEvT5_PKS1_S3_NS_24const_host_device_scalarIT6_EEPKT4_S3_PKS5_S9_S3_SB_S6_S9_S3_SB_S9_PS1_PS5_21rocsparse_index_base_SE_SE_SE_bbb, .Lfunc_end119-_ZN9rocsparseL26csrgemm_fill_block_per_rowILj512ELj32ELj1024ELj137ELj64ElldEEvT5_PKS1_S3_NS_24const_host_device_scalarIT6_EEPKT4_S3_PKS5_S9_S3_SB_S6_S9_S3_SB_S9_PS1_PS5_21rocsparse_index_base_SE_SE_SE_bbb
                                        ; -- End function
	.section	.AMDGPU.csdata,"",@progbits
; Kernel info:
; codeLenInByte = 2668
; NumSgprs: 59
; NumVgprs: 29
; NumAgprs: 0
; TotalNumVgprs: 29
; ScratchSize: 0
; MemoryBound: 0
; FloatMode: 240
; IeeeMode: 1
; LDSByteSize: 0 bytes/workgroup (compile time only)
; SGPRBlocks: 7
; VGPRBlocks: 3
; NumSGPRsForWavesPerEU: 59
; NumVGPRsForWavesPerEU: 29
; AccumOffset: 32
; Occupancy: 8
; WaveLimiterHint : 1
; COMPUTE_PGM_RSRC2:SCRATCH_EN: 0
; COMPUTE_PGM_RSRC2:USER_SGPR: 6
; COMPUTE_PGM_RSRC2:TRAP_HANDLER: 0
; COMPUTE_PGM_RSRC2:TGID_X_EN: 1
; COMPUTE_PGM_RSRC2:TGID_Y_EN: 0
; COMPUTE_PGM_RSRC2:TGID_Z_EN: 0
; COMPUTE_PGM_RSRC2:TIDIG_COMP_CNT: 0
; COMPUTE_PGM_RSRC3_GFX90A:ACCUM_OFFSET: 7
; COMPUTE_PGM_RSRC3_GFX90A:TG_SPLIT: 0
	.section	.text._ZN9rocsparseL26csrgemm_fill_block_per_rowILj1024ELj32ELj2048ELj137ELj32ElldEEvT5_PKS1_S3_NS_24const_host_device_scalarIT6_EEPKT4_S3_PKS5_S9_S3_SB_S6_S9_S3_SB_S9_PS1_PS5_21rocsparse_index_base_SE_SE_SE_bbb,"axG",@progbits,_ZN9rocsparseL26csrgemm_fill_block_per_rowILj1024ELj32ELj2048ELj137ELj32ElldEEvT5_PKS1_S3_NS_24const_host_device_scalarIT6_EEPKT4_S3_PKS5_S9_S3_SB_S6_S9_S3_SB_S9_PS1_PS5_21rocsparse_index_base_SE_SE_SE_bbb,comdat
	.globl	_ZN9rocsparseL26csrgemm_fill_block_per_rowILj1024ELj32ELj2048ELj137ELj32ElldEEvT5_PKS1_S3_NS_24const_host_device_scalarIT6_EEPKT4_S3_PKS5_S9_S3_SB_S6_S9_S3_SB_S9_PS1_PS5_21rocsparse_index_base_SE_SE_SE_bbb ; -- Begin function _ZN9rocsparseL26csrgemm_fill_block_per_rowILj1024ELj32ELj2048ELj137ELj32ElldEEvT5_PKS1_S3_NS_24const_host_device_scalarIT6_EEPKT4_S3_PKS5_S9_S3_SB_S6_S9_S3_SB_S9_PS1_PS5_21rocsparse_index_base_SE_SE_SE_bbb
	.p2align	8
	.type	_ZN9rocsparseL26csrgemm_fill_block_per_rowILj1024ELj32ELj2048ELj137ELj32ElldEEvT5_PKS1_S3_NS_24const_host_device_scalarIT6_EEPKT4_S3_PKS5_S9_S3_SB_S6_S9_S3_SB_S9_PS1_PS5_21rocsparse_index_base_SE_SE_SE_bbb,@function
_ZN9rocsparseL26csrgemm_fill_block_per_rowILj1024ELj32ELj2048ELj137ELj32ElldEEvT5_PKS1_S3_NS_24const_host_device_scalarIT6_EEPKT4_S3_PKS5_S9_S3_SB_S6_S9_S3_SB_S9_PS1_PS5_21rocsparse_index_base_SE_SE_SE_bbb: ; @_ZN9rocsparseL26csrgemm_fill_block_per_rowILj1024ELj32ELj2048ELj137ELj32ElldEEvT5_PKS1_S3_NS_24const_host_device_scalarIT6_EEPKT4_S3_PKS5_S9_S3_SB_S6_S9_S3_SB_S9_PS1_PS5_21rocsparse_index_base_SE_SE_SE_bbb
; %bb.0:
	s_load_dword s7, s[4:5], 0x98
	s_load_dwordx4 s[68:71], s[4:5], 0x88
	s_load_dwordx2 s[0:1], s[4:5], 0x18
	s_load_dwordx2 s[24:25], s[4:5], 0x50
	s_waitcnt lgkmcnt(0)
	s_and_b32 s2, 1, s7
	s_bitcmp1_b32 s7, 16
	s_cselect_b64 s[26:27], -1, 0
	s_cmp_eq_u32 s2, 1
	s_cselect_b64 s[22:23], -1, 0
	s_and_b64 s[2:3], s[22:23], exec
	s_cselect_b32 s3, s1, 0
	s_cselect_b32 s2, s0, 0
	s_xor_b64 s[8:9], s[22:23], -1
	s_or_b64 s[8:9], s[8:9], s[26:27]
	s_and_b64 vcc, exec, s[8:9]
	v_pk_mov_b32 v[4:5], s[2:3], s[2:3] op_sel:[0,1]
	s_cbranch_vccnz .LBB120_2
; %bb.1:
	v_pk_mov_b32 v[2:3], s[0:1], s[0:1] op_sel:[0,1]
	flat_load_dwordx2 v[4:5], v[2:3]
.LBB120_2:
	s_load_dwordx4 s[72:75], s[4:5], 0x78
	s_load_dwordx8 s[60:67], s[4:5], 0x58
	s_load_dwordx4 s[0:3], s[4:5], 0x40
	s_load_dwordx4 s[16:19], s[4:5], 0x8
	s_load_dwordx8 s[8:15], s[4:5], 0x20
	s_bitcmp1_b32 s7, 8
	s_cselect_b64 s[20:21], -1, 0
	s_and_b64 s[28:29], s[20:21], exec
	s_cselect_b32 s29, s25, 0
	s_cselect_b32 s28, s24, 0
	s_xor_b64 s[30:31], s[20:21], -1
	s_or_b64 s[26:27], s[30:31], s[26:27]
	s_and_b64 vcc, exec, s[26:27]
	v_pk_mov_b32 v[2:3], s[28:29], s[28:29] op_sel:[0,1]
	s_cbranch_vccnz .LBB120_4
; %bb.3:
	v_pk_mov_b32 v[2:3], s[24:25], s[24:25] op_sel:[0,1]
	flat_load_dwordx2 v[2:3], v[2:3]
.LBB120_4:
	s_load_dwordx2 s[76:77], s[4:5], 0x0
	v_or_b32_e32 v1, 0xfffffc00, v0
	v_mov_b32_e32 v6, 0
	v_lshl_add_u32 v19, v0, 3, 0
	s_mov_b64 s[4:5], 0
	s_waitcnt lgkmcnt(0)
	v_pk_mov_b32 v[8:9], s[76:77], s[76:77] op_sel:[0,1]
	v_mov_b32_e32 v7, v6
	v_mov_b32_e32 v10, v19
	;; [unrolled: 1-line block ×3, first 2 shown]
.LBB120_5:                              ; =>This Inner Loop Header: Depth=1
	v_add_co_u32_e32 v11, vcc, 0x400, v11
	s_xor_b64 s[24:25], vcc, -1
	s_and_b64 s[24:25], exec, s[24:25]
	ds_write2st64_b64 v10, v[8:9], v[6:7] offset1:32
	s_or_b64 s[4:5], s[24:25], s[4:5]
	v_add_u32_e32 v10, 0x2000, v10
	s_andn2_b64 exec, exec, s[4:5]
	s_cbranch_execnz .LBB120_5
; %bb.6:
	s_or_b64 exec, exec, s[4:5]
	s_waitcnt lgkmcnt(0)
	s_barrier
	s_load_dwordx2 s[4:5], s[16:17], 0x0
	s_mov_b32 s7, 0
	v_lshrrev_b32_e32 v22, 5, v0
	s_waitcnt lgkmcnt(0)
	s_lshl_b64 s[4:5], s[4:5], 3
	s_add_u32 s16, s18, s4
	s_addc_u32 s17, s19, s5
	s_lshl_b64 s[4:5], s[6:7], 3
	s_add_u32 s4, s16, s4
	s_addc_u32 s5, s17, s5
	s_load_dwordx2 s[78:79], s[4:5], 0x0
	s_and_b64 vcc, exec, s[22:23]
	s_cbranch_vccz .LBB120_26
; %bb.7:
	s_waitcnt lgkmcnt(0)
	s_lshl_b64 s[4:5], s[78:79], 3
	s_add_u32 s4, s8, s4
	s_addc_u32 s5, s9, s5
	s_load_dwordx4 s[16:19], s[4:5], 0x0
	v_subrev_co_u32_e32 v6, vcc, s68, v22
	v_subb_co_u32_e64 v7, s[8:9], 0, 0, vcc
	s_waitcnt lgkmcnt(0)
	s_sub_u32 s4, s18, s68
	v_mov_b32_e32 v8, s17
	v_add_co_u32_e32 v6, vcc, s16, v6
	s_subb_u32 s5, s19, 0
	v_addc_co_u32_e32 v7, vcc, v8, v7, vcc
	v_cmp_gt_i64_e32 vcc, s[4:5], v[6:7]
	s_and_saveexec_b64 s[8:9], vcc
	s_cbranch_execz .LBB120_25
; %bb.8:
	v_and_b32_e32 v8, 31, v0
	v_subrev_co_u32_e32 v23, vcc, s69, v8
	s_mov_b32 s6, 0
	v_subb_co_u32_e64 v24, s[16:17], 0, 0, vcc
	s_mov_b32 s33, s68
	s_mov_b32 s36, s69
	s_mov_b64 s[16:17], 0
	v_mov_b32_e32 v25, s11
	v_mov_b32_e32 v26, s7
	;; [unrolled: 1-line block ×4, first 2 shown]
	s_movk_i32 s11, 0x89
	s_branch .LBB120_10
.LBB120_9:                              ;   in Loop: Header=BB120_10 Depth=1
	s_or_b64 exec, exec, s[6:7]
	v_add_co_u32_e32 v6, vcc, 32, v6
	v_addc_co_u32_e32 v7, vcc, 0, v7, vcc
	v_cmp_le_i64_e32 vcc, s[4:5], v[6:7]
	s_or_b64 s[16:17], vcc, s[16:17]
	s_andn2_b64 exec, exec, s[16:17]
	s_cbranch_execz .LBB120_25
.LBB120_10:                             ; =>This Loop Header: Depth=1
                                        ;     Child Loop BB120_13 Depth 2
                                        ;       Child Loop BB120_15 Depth 3
	v_lshlrev_b64 v[12:13], 3, v[6:7]
	v_add_co_u32_e32 v8, vcc, s10, v12
	v_addc_co_u32_e32 v9, vcc, v25, v13, vcc
	global_load_dwordx2 v[8:9], v[8:9], off
	s_waitcnt vmcnt(0)
	v_subrev_co_u32_e32 v8, vcc, s33, v8
	v_subb_co_u32_e32 v9, vcc, v9, v26, vcc
	v_lshlrev_b64 v[8:9], 3, v[8:9]
	v_add_co_u32_e32 v8, vcc, s14, v8
	v_addc_co_u32_e32 v9, vcc, v27, v9, vcc
	global_load_dwordx4 v[14:17], v[8:9], off
	s_waitcnt vmcnt(0)
	v_subrev_co_u32_e32 v8, vcc, s36, v16
	v_subb_co_u32_e32 v9, vcc, v17, v28, vcc
	v_add_co_u32_e32 v10, vcc, v14, v23
	v_addc_co_u32_e32 v11, vcc, v15, v24, vcc
	v_cmp_lt_i64_e32 vcc, v[10:11], v[8:9]
	s_and_saveexec_b64 s[6:7], vcc
	s_cbranch_execz .LBB120_9
; %bb.11:                               ;   in Loop: Header=BB120_10 Depth=1
	v_mov_b32_e32 v14, s13
	v_add_co_u32_e32 v12, vcc, s12, v12
	v_addc_co_u32_e32 v13, vcc, v14, v13, vcc
	global_load_dwordx2 v[12:13], v[12:13], off
	s_mov_b64 s[18:19], 0
	s_waitcnt vmcnt(0)
	v_mul_f64 v[12:13], v[4:5], v[12:13]
	s_branch .LBB120_13
.LBB120_12:                             ;   in Loop: Header=BB120_13 Depth=2
	s_or_b64 exec, exec, s[22:23]
	v_add_co_u32_e32 v10, vcc, 32, v10
	v_addc_co_u32_e32 v11, vcc, 0, v11, vcc
	v_cmp_ge_i64_e32 vcc, v[10:11], v[8:9]
	s_or_b64 s[18:19], vcc, s[18:19]
	s_andn2_b64 exec, exec, s[18:19]
	s_cbranch_execz .LBB120_9
.LBB120_13:                             ;   Parent Loop BB120_10 Depth=1
                                        ; =>  This Loop Header: Depth=2
                                        ;       Child Loop BB120_15 Depth 3
	v_lshlrev_b64 v[14:15], 3, v[10:11]
	v_mov_b32_e32 v17, s1
	v_add_co_u32_e32 v16, vcc, s0, v14
	v_addc_co_u32_e32 v17, vcc, v17, v15, vcc
	global_load_dwordx2 v[16:17], v[16:17], off
	v_mov_b32_e32 v18, s3
	v_add_co_u32_e32 v14, vcc, s2, v14
	v_addc_co_u32_e32 v15, vcc, v18, v15, vcc
	global_load_dwordx2 v[20:21], v[14:15], off
	s_mov_b64 s[22:23], 0
	s_waitcnt vmcnt(1)
	v_subrev_co_u32_e32 v14, vcc, s36, v16
	v_mul_lo_u32 v18, v14, s11
	v_subb_co_u32_e32 v15, vcc, v17, v28, vcc
	v_and_b32_e32 v18, 0x7ff, v18
	s_waitcnt vmcnt(0)
	v_mul_f64 v[16:17], v[12:13], v[20:21]
	s_branch .LBB120_15
.LBB120_14:                             ;   in Loop: Header=BB120_15 Depth=3
	s_or_b64 exec, exec, s[24:25]
	s_xor_b64 s[24:25], s[26:27], -1
	s_and_b64 s[24:25], exec, s[24:25]
	s_or_b64 s[22:23], s[24:25], s[22:23]
	s_andn2_b64 exec, exec, s[22:23]
	s_cbranch_execz .LBB120_12
.LBB120_15:                             ;   Parent Loop BB120_10 Depth=1
                                        ;     Parent Loop BB120_13 Depth=2
                                        ; =>    This Inner Loop Header: Depth=3
	v_lshl_add_u32 v29, v18, 3, 0
	ds_read_b64 v[20:21], v29
                                        ; implicit-def: $sgpr26_sgpr27
	s_waitcnt lgkmcnt(0)
	v_cmp_ne_u64_e32 vcc, v[20:21], v[14:15]
	s_and_saveexec_b64 s[24:25], vcc
	s_xor_b64 s[24:25], exec, s[24:25]
	s_cbranch_execz .LBB120_23
; %bb.16:                               ;   in Loop: Header=BB120_15 Depth=3
	v_cmp_ne_u64_e32 vcc, s[76:77], v[20:21]
                                        ; implicit-def: $sgpr26_sgpr27
	s_and_saveexec_b64 s[28:29], vcc
	s_xor_b64 s[28:29], exec, s[28:29]
; %bb.17:                               ;   in Loop: Header=BB120_15 Depth=3
	v_add_u32_e32 v18, 1, v18
	v_and_b32_e32 v18, 0x7ff, v18
	s_mov_b64 s[26:27], -1
                                        ; implicit-def: $vgpr29
; %bb.18:                               ;   in Loop: Header=BB120_15 Depth=3
	s_andn2_saveexec_b64 s[28:29], s[28:29]
	s_cbranch_execz .LBB120_22
; %bb.19:                               ;   in Loop: Header=BB120_15 Depth=3
	v_pk_mov_b32 v[20:21], s[76:77], s[76:77] op_sel:[0,1]
	ds_cmpst_rtn_b64 v[20:21], v29, v[20:21], v[14:15]
	s_mov_b64 s[30:31], -1
	s_waitcnt lgkmcnt(0)
	v_cmp_eq_u64_e32 vcc, s[76:77], v[20:21]
	s_and_saveexec_b64 s[34:35], vcc
	s_cbranch_execz .LBB120_21
; %bb.20:                               ;   in Loop: Header=BB120_15 Depth=3
	ds_add_f64 v29, v[16:17] offset:16384
	s_xor_b64 s[30:31], exec, -1
.LBB120_21:                             ;   in Loop: Header=BB120_15 Depth=3
	s_or_b64 exec, exec, s[34:35]
	s_andn2_b64 s[26:27], s[26:27], exec
	s_and_b64 s[30:31], s[30:31], exec
	s_or_b64 s[26:27], s[26:27], s[30:31]
.LBB120_22:                             ;   in Loop: Header=BB120_15 Depth=3
	s_or_b64 exec, exec, s[28:29]
	s_and_b64 s[26:27], s[26:27], exec
                                        ; implicit-def: $vgpr29
.LBB120_23:                             ;   in Loop: Header=BB120_15 Depth=3
	s_andn2_saveexec_b64 s[24:25], s[24:25]
	s_cbranch_execz .LBB120_14
; %bb.24:                               ;   in Loop: Header=BB120_15 Depth=3
	ds_add_f64 v29, v[16:17] offset:16384
	s_andn2_b64 s[26:27], s[26:27], exec
	s_branch .LBB120_14
.LBB120_25:
	s_or_b64 exec, exec, s[8:9]
.LBB120_26:
	s_andn2_b64 vcc, exec, s[20:21]
	s_cbranch_vccnz .LBB120_43
; %bb.27:
	s_waitcnt lgkmcnt(0)
	s_lshl_b64 s[0:1], s[78:79], 3
	s_add_u32 s0, s60, s0
	s_addc_u32 s1, s61, s1
	s_load_dwordx4 s[8:11], s[0:1], 0x0
	s_waitcnt vmcnt(0)
	v_subrev_co_u32_e32 v4, vcc, s71, v0
	v_subb_co_u32_e64 v5, s[2:3], 0, 0, vcc
	s_waitcnt lgkmcnt(0)
	s_sub_u32 s0, s10, s71
	v_mov_b32_e32 v6, s9
	v_add_co_u32_e32 v4, vcc, s8, v4
	s_subb_u32 s1, s11, 0
	v_addc_co_u32_e32 v5, vcc, v6, v5, vcc
	s_mov_b32 s6, 0
	v_cmp_gt_i64_e32 vcc, s[0:1], v[4:5]
	s_and_saveexec_b64 s[2:3], vcc
	s_cbranch_execz .LBB120_42
; %bb.28:
	s_mov_b32 s18, s71
	s_mov_b64 s[4:5], 0
	v_mov_b32_e32 v11, s63
	v_mov_b32_e32 v14, s6
	;; [unrolled: 1-line block ×3, first 2 shown]
	s_movk_i32 s19, 0x89
	s_branch .LBB120_30
.LBB120_29:                             ;   in Loop: Header=BB120_30 Depth=1
	s_or_b64 exec, exec, s[6:7]
	v_add_co_u32_e32 v4, vcc, 0x400, v4
	v_addc_co_u32_e32 v5, vcc, 0, v5, vcc
	v_cmp_le_i64_e32 vcc, s[0:1], v[4:5]
	s_or_b64 s[4:5], vcc, s[4:5]
	s_andn2_b64 exec, exec, s[4:5]
	s_cbranch_execz .LBB120_42
.LBB120_30:                             ; =>This Loop Header: Depth=1
                                        ;     Child Loop BB120_32 Depth 2
	v_lshlrev_b64 v[6:7], 3, v[4:5]
	v_add_co_u32_e32 v8, vcc, s62, v6
	v_addc_co_u32_e32 v9, vcc, v11, v7, vcc
	global_load_dwordx2 v[8:9], v[8:9], off
	v_add_co_u32_e32 v6, vcc, s64, v6
	v_addc_co_u32_e32 v7, vcc, v15, v7, vcc
	global_load_dwordx2 v[12:13], v[6:7], off
	s_mov_b64 s[6:7], 0
	s_waitcnt vmcnt(1)
	v_subrev_co_u32_e32 v6, vcc, s18, v8
	v_mul_lo_u32 v10, v6, s19
	v_subb_co_u32_e32 v7, vcc, v9, v14, vcc
	s_waitcnt vmcnt(0)
	v_mul_f64 v[8:9], v[2:3], v[12:13]
	v_and_b32_e32 v10, 0x7ff, v10
	s_branch .LBB120_32
.LBB120_31:                             ;   in Loop: Header=BB120_32 Depth=2
	s_or_b64 exec, exec, s[8:9]
	s_xor_b64 s[8:9], s[10:11], -1
	s_and_b64 s[8:9], exec, s[8:9]
	s_or_b64 s[6:7], s[8:9], s[6:7]
	s_andn2_b64 exec, exec, s[6:7]
	s_cbranch_execz .LBB120_29
.LBB120_32:                             ;   Parent Loop BB120_30 Depth=1
                                        ; =>  This Inner Loop Header: Depth=2
	v_lshl_add_u32 v16, v10, 3, 0
	ds_read_b64 v[12:13], v16
                                        ; implicit-def: $sgpr10_sgpr11
	s_waitcnt lgkmcnt(0)
	v_cmp_ne_u64_e32 vcc, v[12:13], v[6:7]
	s_and_saveexec_b64 s[8:9], vcc
	s_xor_b64 s[8:9], exec, s[8:9]
	s_cbranch_execz .LBB120_40
; %bb.33:                               ;   in Loop: Header=BB120_32 Depth=2
	v_cmp_ne_u64_e32 vcc, s[76:77], v[12:13]
                                        ; implicit-def: $sgpr10_sgpr11
	s_and_saveexec_b64 s[12:13], vcc
	s_xor_b64 s[12:13], exec, s[12:13]
; %bb.34:                               ;   in Loop: Header=BB120_32 Depth=2
	v_add_u32_e32 v10, 1, v10
	v_and_b32_e32 v10, 0x7ff, v10
	s_mov_b64 s[10:11], -1
                                        ; implicit-def: $vgpr16
; %bb.35:                               ;   in Loop: Header=BB120_32 Depth=2
	s_andn2_saveexec_b64 s[12:13], s[12:13]
	s_cbranch_execz .LBB120_39
; %bb.36:                               ;   in Loop: Header=BB120_32 Depth=2
	v_pk_mov_b32 v[12:13], s[76:77], s[76:77] op_sel:[0,1]
	ds_cmpst_rtn_b64 v[12:13], v16, v[12:13], v[6:7]
	s_mov_b64 s[14:15], -1
	s_waitcnt lgkmcnt(0)
	v_cmp_eq_u64_e32 vcc, s[76:77], v[12:13]
	s_and_saveexec_b64 s[16:17], vcc
	s_cbranch_execz .LBB120_38
; %bb.37:                               ;   in Loop: Header=BB120_32 Depth=2
	ds_add_f64 v16, v[8:9] offset:16384
	s_xor_b64 s[14:15], exec, -1
.LBB120_38:                             ;   in Loop: Header=BB120_32 Depth=2
	s_or_b64 exec, exec, s[16:17]
	s_andn2_b64 s[10:11], s[10:11], exec
	s_and_b64 s[14:15], s[14:15], exec
	s_or_b64 s[10:11], s[10:11], s[14:15]
.LBB120_39:                             ;   in Loop: Header=BB120_32 Depth=2
	s_or_b64 exec, exec, s[12:13]
	s_and_b64 s[10:11], s[10:11], exec
                                        ; implicit-def: $vgpr16
.LBB120_40:                             ;   in Loop: Header=BB120_32 Depth=2
	s_andn2_saveexec_b64 s[8:9], s[8:9]
	s_cbranch_execz .LBB120_31
; %bb.41:                               ;   in Loop: Header=BB120_32 Depth=2
	ds_add_f64 v16, v[8:9] offset:16384
	s_andn2_b64 s[10:11], s[10:11], exec
	s_branch .LBB120_31
.LBB120_42:
	s_or_b64 exec, exec, s[2:3]
.LBB120_43:
	s_movk_i32 s33, 0x1ff
	v_cmp_lt_u32_e64 s[34:35], s33, v0
	s_movk_i32 s33, 0x21f
	v_cmp_lt_u32_e64 s[36:37], s33, v0
	;; [unrolled: 2-line block ×12, first 2 shown]
	s_movk_i32 s33, 0x37f
	s_waitcnt vmcnt(0)
	v_mbcnt_lo_u32_b32 v2, -1, 0
	v_cmp_lt_u32_e64 s[58:59], s33, v0
	s_movk_i32 s33, 0x39f
	v_mbcnt_hi_u32_b32 v2, -1, v2
	v_cmp_lt_u32_e64 s[60:61], s33, v0
	s_movk_i32 s33, 0x3bf
	v_sub_u32_e32 v2, 63, v2
	s_movk_i32 s0, 0x3ff
	s_movk_i32 s6, 0x5f
	;; [unrolled: 1-line block ×14, first 2 shown]
	v_cmp_lt_u32_e64 s[62:63], s33, v0
	s_movk_i32 s33, 0x3df
	v_mov_b32_e32 v7, 0
	v_lshrrev_b64 v[8:9], v2, -1
	v_lshl_add_u32 v14, v22, 3, 0
	v_cmp_eq_u32_e64 s[0:1], s0, v0
	v_cmp_lt_u32_e64 s[2:3], 31, v0
	v_cmp_lt_u32_e64 s[4:5], 63, v0
	;; [unrolled: 1-line block ×16, first 2 shown]
	s_mov_b64 s[68:69], 0
	v_pk_mov_b32 v[10:11], 0, 0
	s_waitcnt lgkmcnt(0)
	s_barrier
	s_branch .LBB120_45
.LBB120_44:                             ;   in Loop: Header=BB120_45 Depth=1
	s_or_b64 exec, exec, s[80:81]
	s_waitcnt lgkmcnt(0)
	s_barrier
	ds_read_b64 v[2:3], v7 offset:33016
	v_add_u32_e32 v19, 0x2000, v19
	s_waitcnt lgkmcnt(0)
	v_add_co_u32_e32 v10, vcc, v2, v10
	v_addc_co_u32_e32 v11, vcc, v3, v11, vcc
	v_add_co_u32_e32 v1, vcc, 0x400, v1
	s_xor_b64 s[80:81], vcc, -1
	s_and_b64 s[80:81], exec, s[80:81]
	s_or_b64 s[68:69], s[80:81], s[68:69]
	s_andn2_b64 exec, exec, s[68:69]
	s_cbranch_execz .LBB120_111
.LBB120_45:                             ; =>This Inner Loop Header: Depth=1
	ds_read2st64_b64 v[2:5], v19 offset1:32
	s_waitcnt lgkmcnt(0)
	s_barrier
	v_cmp_gt_i64_e32 vcc, s[76:77], v[2:3]
	v_and_b32_e32 v13, vcc_lo, v8
	s_bcnt1_i32_b64 s33, vcc
	v_and_b32_e32 v12, vcc_hi, v9
	v_bcnt_u32_b32 v13, v13, 0
	v_mov_b32_e32 v6, s33
	v_bcnt_u32_b32 v12, v12, v13
	ds_write_b64 v14, v[6:7] offset:32768
	s_waitcnt lgkmcnt(0)
	s_barrier
	s_and_saveexec_b64 s[80:81], s[2:3]
	s_cbranch_execnz .LBB120_78
; %bb.46:                               ;   in Loop: Header=BB120_45 Depth=1
	s_or_b64 exec, exec, s[80:81]
	s_and_saveexec_b64 s[80:81], s[4:5]
	s_cbranch_execnz .LBB120_79
.LBB120_47:                             ;   in Loop: Header=BB120_45 Depth=1
	s_or_b64 exec, exec, s[80:81]
	s_and_saveexec_b64 s[80:81], s[6:7]
	s_cbranch_execnz .LBB120_80
.LBB120_48:                             ;   in Loop: Header=BB120_45 Depth=1
	s_or_b64 exec, exec, s[80:81]
	s_and_saveexec_b64 s[80:81], s[8:9]
	s_cbranch_execnz .LBB120_81
.LBB120_49:                             ;   in Loop: Header=BB120_45 Depth=1
	s_or_b64 exec, exec, s[80:81]
	s_and_saveexec_b64 s[80:81], s[10:11]
	s_cbranch_execnz .LBB120_82
.LBB120_50:                             ;   in Loop: Header=BB120_45 Depth=1
	s_or_b64 exec, exec, s[80:81]
	s_and_saveexec_b64 s[80:81], s[12:13]
	s_cbranch_execnz .LBB120_83
.LBB120_51:                             ;   in Loop: Header=BB120_45 Depth=1
	s_or_b64 exec, exec, s[80:81]
	s_and_saveexec_b64 s[80:81], s[14:15]
	s_cbranch_execnz .LBB120_84
.LBB120_52:                             ;   in Loop: Header=BB120_45 Depth=1
	s_or_b64 exec, exec, s[80:81]
	s_and_saveexec_b64 s[80:81], s[16:17]
	s_cbranch_execnz .LBB120_85
.LBB120_53:                             ;   in Loop: Header=BB120_45 Depth=1
	s_or_b64 exec, exec, s[80:81]
	s_and_saveexec_b64 s[80:81], s[18:19]
	s_cbranch_execnz .LBB120_86
.LBB120_54:                             ;   in Loop: Header=BB120_45 Depth=1
	s_or_b64 exec, exec, s[80:81]
	s_and_saveexec_b64 s[80:81], s[20:21]
	s_cbranch_execnz .LBB120_87
.LBB120_55:                             ;   in Loop: Header=BB120_45 Depth=1
	s_or_b64 exec, exec, s[80:81]
	s_and_saveexec_b64 s[80:81], s[22:23]
	s_cbranch_execnz .LBB120_88
.LBB120_56:                             ;   in Loop: Header=BB120_45 Depth=1
	s_or_b64 exec, exec, s[80:81]
	s_and_saveexec_b64 s[80:81], s[24:25]
	s_cbranch_execnz .LBB120_89
.LBB120_57:                             ;   in Loop: Header=BB120_45 Depth=1
	s_or_b64 exec, exec, s[80:81]
	s_and_saveexec_b64 s[80:81], s[26:27]
	s_cbranch_execnz .LBB120_90
.LBB120_58:                             ;   in Loop: Header=BB120_45 Depth=1
	s_or_b64 exec, exec, s[80:81]
	s_and_saveexec_b64 s[80:81], s[28:29]
	s_cbranch_execnz .LBB120_91
.LBB120_59:                             ;   in Loop: Header=BB120_45 Depth=1
	s_or_b64 exec, exec, s[80:81]
	s_and_saveexec_b64 s[80:81], s[30:31]
	s_cbranch_execnz .LBB120_92
.LBB120_60:                             ;   in Loop: Header=BB120_45 Depth=1
	s_or_b64 exec, exec, s[80:81]
	s_and_saveexec_b64 s[80:81], s[34:35]
	s_cbranch_execnz .LBB120_93
.LBB120_61:                             ;   in Loop: Header=BB120_45 Depth=1
	s_or_b64 exec, exec, s[80:81]
	s_and_saveexec_b64 s[80:81], s[36:37]
	s_cbranch_execnz .LBB120_94
.LBB120_62:                             ;   in Loop: Header=BB120_45 Depth=1
	s_or_b64 exec, exec, s[80:81]
	s_and_saveexec_b64 s[80:81], s[38:39]
	s_cbranch_execnz .LBB120_95
.LBB120_63:                             ;   in Loop: Header=BB120_45 Depth=1
	s_or_b64 exec, exec, s[80:81]
	s_and_saveexec_b64 s[80:81], s[40:41]
	s_cbranch_execnz .LBB120_96
.LBB120_64:                             ;   in Loop: Header=BB120_45 Depth=1
	s_or_b64 exec, exec, s[80:81]
	s_and_saveexec_b64 s[80:81], s[42:43]
	s_cbranch_execnz .LBB120_97
.LBB120_65:                             ;   in Loop: Header=BB120_45 Depth=1
	s_or_b64 exec, exec, s[80:81]
	s_and_saveexec_b64 s[80:81], s[44:45]
	s_cbranch_execnz .LBB120_98
.LBB120_66:                             ;   in Loop: Header=BB120_45 Depth=1
	s_or_b64 exec, exec, s[80:81]
	s_and_saveexec_b64 s[80:81], s[46:47]
	s_cbranch_execnz .LBB120_99
.LBB120_67:                             ;   in Loop: Header=BB120_45 Depth=1
	s_or_b64 exec, exec, s[80:81]
	s_and_saveexec_b64 s[80:81], s[48:49]
	s_cbranch_execnz .LBB120_100
.LBB120_68:                             ;   in Loop: Header=BB120_45 Depth=1
	s_or_b64 exec, exec, s[80:81]
	s_and_saveexec_b64 s[80:81], s[50:51]
	s_cbranch_execnz .LBB120_101
.LBB120_69:                             ;   in Loop: Header=BB120_45 Depth=1
	s_or_b64 exec, exec, s[80:81]
	s_and_saveexec_b64 s[80:81], s[52:53]
	s_cbranch_execnz .LBB120_102
.LBB120_70:                             ;   in Loop: Header=BB120_45 Depth=1
	s_or_b64 exec, exec, s[80:81]
	s_and_saveexec_b64 s[80:81], s[54:55]
	s_cbranch_execnz .LBB120_103
.LBB120_71:                             ;   in Loop: Header=BB120_45 Depth=1
	s_or_b64 exec, exec, s[80:81]
	s_and_saveexec_b64 s[80:81], s[56:57]
	s_cbranch_execnz .LBB120_104
.LBB120_72:                             ;   in Loop: Header=BB120_45 Depth=1
	s_or_b64 exec, exec, s[80:81]
	s_and_saveexec_b64 s[80:81], s[58:59]
	s_cbranch_execnz .LBB120_105
.LBB120_73:                             ;   in Loop: Header=BB120_45 Depth=1
	s_or_b64 exec, exec, s[80:81]
	s_and_saveexec_b64 s[80:81], s[60:61]
	s_cbranch_execnz .LBB120_106
.LBB120_74:                             ;   in Loop: Header=BB120_45 Depth=1
	s_or_b64 exec, exec, s[80:81]
	s_and_saveexec_b64 s[80:81], s[62:63]
	s_cbranch_execnz .LBB120_107
.LBB120_75:                             ;   in Loop: Header=BB120_45 Depth=1
	s_or_b64 exec, exec, s[80:81]
	s_and_saveexec_b64 s[80:81], s[64:65]
	s_cbranch_execnz .LBB120_108
.LBB120_76:                             ;   in Loop: Header=BB120_45 Depth=1
	s_or_b64 exec, exec, s[80:81]
	v_ashrrev_i32_e32 v13, 31, v12
	s_and_saveexec_b64 s[80:81], vcc
	s_cbranch_execnz .LBB120_109
.LBB120_77:                             ;   in Loop: Header=BB120_45 Depth=1
	s_or_b64 exec, exec, s[80:81]
	s_and_saveexec_b64 s[80:81], s[0:1]
	s_cbranch_execz .LBB120_44
	s_branch .LBB120_110
.LBB120_78:                             ;   in Loop: Header=BB120_45 Depth=1
	ds_read_b32 v6, v7 offset:32768
	s_waitcnt lgkmcnt(0)
	v_add_u32_e32 v12, v6, v12
	s_or_b64 exec, exec, s[80:81]
	s_and_saveexec_b64 s[80:81], s[4:5]
	s_cbranch_execz .LBB120_47
.LBB120_79:                             ;   in Loop: Header=BB120_45 Depth=1
	ds_read_b32 v6, v7 offset:32776
	s_waitcnt lgkmcnt(0)
	v_add_u32_e32 v12, v12, v6
	s_or_b64 exec, exec, s[80:81]
	s_and_saveexec_b64 s[80:81], s[6:7]
	s_cbranch_execz .LBB120_48
.LBB120_80:                             ;   in Loop: Header=BB120_45 Depth=1
	ds_read_b32 v6, v7 offset:32784
	s_waitcnt lgkmcnt(0)
	v_add_u32_e32 v12, v12, v6
	s_or_b64 exec, exec, s[80:81]
	s_and_saveexec_b64 s[80:81], s[8:9]
	s_cbranch_execz .LBB120_49
.LBB120_81:                             ;   in Loop: Header=BB120_45 Depth=1
	ds_read_b32 v6, v7 offset:32792
	s_waitcnt lgkmcnt(0)
	v_add_u32_e32 v12, v12, v6
	s_or_b64 exec, exec, s[80:81]
	s_and_saveexec_b64 s[80:81], s[10:11]
	s_cbranch_execz .LBB120_50
.LBB120_82:                             ;   in Loop: Header=BB120_45 Depth=1
	ds_read_b32 v6, v7 offset:32800
	s_waitcnt lgkmcnt(0)
	v_add_u32_e32 v12, v12, v6
	s_or_b64 exec, exec, s[80:81]
	s_and_saveexec_b64 s[80:81], s[12:13]
	s_cbranch_execz .LBB120_51
.LBB120_83:                             ;   in Loop: Header=BB120_45 Depth=1
	ds_read_b32 v6, v7 offset:32808
	s_waitcnt lgkmcnt(0)
	v_add_u32_e32 v12, v12, v6
	s_or_b64 exec, exec, s[80:81]
	s_and_saveexec_b64 s[80:81], s[14:15]
	s_cbranch_execz .LBB120_52
.LBB120_84:                             ;   in Loop: Header=BB120_45 Depth=1
	ds_read_b32 v6, v7 offset:32816
	s_waitcnt lgkmcnt(0)
	v_add_u32_e32 v12, v12, v6
	s_or_b64 exec, exec, s[80:81]
	s_and_saveexec_b64 s[80:81], s[16:17]
	s_cbranch_execz .LBB120_53
.LBB120_85:                             ;   in Loop: Header=BB120_45 Depth=1
	ds_read_b32 v6, v7 offset:32824
	s_waitcnt lgkmcnt(0)
	v_add_u32_e32 v12, v12, v6
	s_or_b64 exec, exec, s[80:81]
	s_and_saveexec_b64 s[80:81], s[18:19]
	s_cbranch_execz .LBB120_54
.LBB120_86:                             ;   in Loop: Header=BB120_45 Depth=1
	ds_read_b32 v6, v7 offset:32832
	s_waitcnt lgkmcnt(0)
	v_add_u32_e32 v12, v12, v6
	s_or_b64 exec, exec, s[80:81]
	s_and_saveexec_b64 s[80:81], s[20:21]
	s_cbranch_execz .LBB120_55
.LBB120_87:                             ;   in Loop: Header=BB120_45 Depth=1
	ds_read_b32 v6, v7 offset:32840
	s_waitcnt lgkmcnt(0)
	v_add_u32_e32 v12, v12, v6
	s_or_b64 exec, exec, s[80:81]
	s_and_saveexec_b64 s[80:81], s[22:23]
	s_cbranch_execz .LBB120_56
.LBB120_88:                             ;   in Loop: Header=BB120_45 Depth=1
	ds_read_b32 v6, v7 offset:32848
	s_waitcnt lgkmcnt(0)
	v_add_u32_e32 v12, v12, v6
	s_or_b64 exec, exec, s[80:81]
	s_and_saveexec_b64 s[80:81], s[24:25]
	s_cbranch_execz .LBB120_57
.LBB120_89:                             ;   in Loop: Header=BB120_45 Depth=1
	ds_read_b32 v6, v7 offset:32856
	s_waitcnt lgkmcnt(0)
	v_add_u32_e32 v12, v12, v6
	s_or_b64 exec, exec, s[80:81]
	s_and_saveexec_b64 s[80:81], s[26:27]
	s_cbranch_execz .LBB120_58
.LBB120_90:                             ;   in Loop: Header=BB120_45 Depth=1
	ds_read_b32 v6, v7 offset:32864
	s_waitcnt lgkmcnt(0)
	v_add_u32_e32 v12, v12, v6
	s_or_b64 exec, exec, s[80:81]
	s_and_saveexec_b64 s[80:81], s[28:29]
	s_cbranch_execz .LBB120_59
.LBB120_91:                             ;   in Loop: Header=BB120_45 Depth=1
	ds_read_b32 v6, v7 offset:32872
	s_waitcnt lgkmcnt(0)
	v_add_u32_e32 v12, v12, v6
	s_or_b64 exec, exec, s[80:81]
	s_and_saveexec_b64 s[80:81], s[30:31]
	s_cbranch_execz .LBB120_60
.LBB120_92:                             ;   in Loop: Header=BB120_45 Depth=1
	ds_read_b32 v6, v7 offset:32880
	s_waitcnt lgkmcnt(0)
	v_add_u32_e32 v12, v12, v6
	s_or_b64 exec, exec, s[80:81]
	s_and_saveexec_b64 s[80:81], s[34:35]
	s_cbranch_execz .LBB120_61
.LBB120_93:                             ;   in Loop: Header=BB120_45 Depth=1
	ds_read_b32 v6, v7 offset:32888
	s_waitcnt lgkmcnt(0)
	v_add_u32_e32 v12, v12, v6
	s_or_b64 exec, exec, s[80:81]
	s_and_saveexec_b64 s[80:81], s[36:37]
	s_cbranch_execz .LBB120_62
.LBB120_94:                             ;   in Loop: Header=BB120_45 Depth=1
	ds_read_b32 v6, v7 offset:32896
	s_waitcnt lgkmcnt(0)
	v_add_u32_e32 v12, v12, v6
	s_or_b64 exec, exec, s[80:81]
	s_and_saveexec_b64 s[80:81], s[38:39]
	s_cbranch_execz .LBB120_63
.LBB120_95:                             ;   in Loop: Header=BB120_45 Depth=1
	ds_read_b32 v6, v7 offset:32904
	s_waitcnt lgkmcnt(0)
	v_add_u32_e32 v12, v12, v6
	s_or_b64 exec, exec, s[80:81]
	s_and_saveexec_b64 s[80:81], s[40:41]
	s_cbranch_execz .LBB120_64
.LBB120_96:                             ;   in Loop: Header=BB120_45 Depth=1
	ds_read_b32 v6, v7 offset:32912
	s_waitcnt lgkmcnt(0)
	v_add_u32_e32 v12, v12, v6
	s_or_b64 exec, exec, s[80:81]
	s_and_saveexec_b64 s[80:81], s[42:43]
	s_cbranch_execz .LBB120_65
.LBB120_97:                             ;   in Loop: Header=BB120_45 Depth=1
	ds_read_b32 v6, v7 offset:32920
	s_waitcnt lgkmcnt(0)
	v_add_u32_e32 v12, v12, v6
	s_or_b64 exec, exec, s[80:81]
	s_and_saveexec_b64 s[80:81], s[44:45]
	s_cbranch_execz .LBB120_66
.LBB120_98:                             ;   in Loop: Header=BB120_45 Depth=1
	ds_read_b32 v6, v7 offset:32928
	s_waitcnt lgkmcnt(0)
	v_add_u32_e32 v12, v12, v6
	s_or_b64 exec, exec, s[80:81]
	s_and_saveexec_b64 s[80:81], s[46:47]
	s_cbranch_execz .LBB120_67
.LBB120_99:                             ;   in Loop: Header=BB120_45 Depth=1
	ds_read_b32 v6, v7 offset:32936
	s_waitcnt lgkmcnt(0)
	v_add_u32_e32 v12, v12, v6
	s_or_b64 exec, exec, s[80:81]
	s_and_saveexec_b64 s[80:81], s[48:49]
	s_cbranch_execz .LBB120_68
.LBB120_100:                            ;   in Loop: Header=BB120_45 Depth=1
	ds_read_b32 v6, v7 offset:32944
	s_waitcnt lgkmcnt(0)
	v_add_u32_e32 v12, v12, v6
	s_or_b64 exec, exec, s[80:81]
	s_and_saveexec_b64 s[80:81], s[50:51]
	s_cbranch_execz .LBB120_69
.LBB120_101:                            ;   in Loop: Header=BB120_45 Depth=1
	ds_read_b32 v6, v7 offset:32952
	s_waitcnt lgkmcnt(0)
	v_add_u32_e32 v12, v12, v6
	s_or_b64 exec, exec, s[80:81]
	s_and_saveexec_b64 s[80:81], s[52:53]
	s_cbranch_execz .LBB120_70
.LBB120_102:                            ;   in Loop: Header=BB120_45 Depth=1
	ds_read_b32 v6, v7 offset:32960
	s_waitcnt lgkmcnt(0)
	v_add_u32_e32 v12, v12, v6
	s_or_b64 exec, exec, s[80:81]
	s_and_saveexec_b64 s[80:81], s[54:55]
	s_cbranch_execz .LBB120_71
.LBB120_103:                            ;   in Loop: Header=BB120_45 Depth=1
	ds_read_b32 v6, v7 offset:32968
	s_waitcnt lgkmcnt(0)
	v_add_u32_e32 v12, v12, v6
	s_or_b64 exec, exec, s[80:81]
	s_and_saveexec_b64 s[80:81], s[56:57]
	s_cbranch_execz .LBB120_72
.LBB120_104:                            ;   in Loop: Header=BB120_45 Depth=1
	ds_read_b32 v6, v7 offset:32976
	s_waitcnt lgkmcnt(0)
	v_add_u32_e32 v12, v12, v6
	s_or_b64 exec, exec, s[80:81]
	s_and_saveexec_b64 s[80:81], s[58:59]
	s_cbranch_execz .LBB120_73
.LBB120_105:                            ;   in Loop: Header=BB120_45 Depth=1
	ds_read_b32 v6, v7 offset:32984
	s_waitcnt lgkmcnt(0)
	v_add_u32_e32 v12, v12, v6
	s_or_b64 exec, exec, s[80:81]
	s_and_saveexec_b64 s[80:81], s[60:61]
	s_cbranch_execz .LBB120_74
.LBB120_106:                            ;   in Loop: Header=BB120_45 Depth=1
	ds_read_b32 v6, v7 offset:32992
	s_waitcnt lgkmcnt(0)
	v_add_u32_e32 v12, v12, v6
	s_or_b64 exec, exec, s[80:81]
	s_and_saveexec_b64 s[80:81], s[62:63]
	s_cbranch_execz .LBB120_75
.LBB120_107:                            ;   in Loop: Header=BB120_45 Depth=1
	ds_read_b32 v6, v7 offset:33000
	s_waitcnt lgkmcnt(0)
	v_add_u32_e32 v12, v12, v6
	s_or_b64 exec, exec, s[80:81]
	s_and_saveexec_b64 s[80:81], s[64:65]
	s_cbranch_execz .LBB120_76
.LBB120_108:                            ;   in Loop: Header=BB120_45 Depth=1
	ds_read_b32 v6, v7 offset:33008
	s_waitcnt lgkmcnt(0)
	v_add_u32_e32 v12, v12, v6
	s_or_b64 exec, exec, s[80:81]
	v_ashrrev_i32_e32 v13, 31, v12
	s_and_saveexec_b64 s[80:81], vcc
	s_cbranch_execz .LBB120_77
.LBB120_109:                            ;   in Loop: Header=BB120_45 Depth=1
	v_add3_u32 v6, v10, -1, v12
	v_lshl_add_u32 v6, v6, 3, 0
	ds_write2st64_b64 v6, v[2:3], v[4:5] offset1:32
	s_or_b64 exec, exec, s[80:81]
	s_and_saveexec_b64 s[80:81], s[0:1]
	s_cbranch_execz .LBB120_44
.LBB120_110:                            ;   in Loop: Header=BB120_45 Depth=1
	ds_write_b64 v7, v[12:13] offset:33016
	s_branch .LBB120_44
.LBB120_111:
	s_or_b64 exec, exec, s[68:69]
	s_lshl_b64 s[0:1], s[78:79], 3
	s_add_u32 s0, s66, s0
	s_addc_u32 s1, s67, s1
	s_load_dwordx4 s[0:3], s[0:1], 0x0
	v_mov_b32_e32 v1, 0
	s_waitcnt lgkmcnt(0)
	s_sub_u32 s4, s2, s0
	s_subb_u32 s5, s3, s1
	v_cmp_gt_i64_e32 vcc, s[4:5], v[0:1]
	s_and_saveexec_b64 s[6:7], vcc
	s_cbranch_execz .LBB120_121
; %bb.112:
	s_sub_u32 s6, s0, s70
	s_subb_u32 s7, s1, 0
	s_and_b32 s8, s4, 7
	s_sub_u32 s0, s0, s2
	s_mov_b32 s16, 0
	s_subb_u32 s1, s1, s3
	s_mov_b32 s9, s16
	s_and_b32 s2, s4, -8
	v_cmp_lt_u64_e64 s[0:1], s[0:1], -7
	s_cmp_lg_u64 s[8:9], 0
	v_cndmask_b32_e64 v2, 0, 1, s[0:1]
	s_mov_b32 s3, s5
	s_mov_b64 s[10:11], 0
	s_cselect_b64 s[12:13], -1, 0
	v_cmp_ne_u32_e64 s[0:1], 1, v2
	s_branch .LBB120_114
.LBB120_113:                            ;   in Loop: Header=BB120_114 Depth=1
	v_mov_b32_e32 v8, s16
	s_waitcnt lgkmcnt(0)
	v_add_co_u32_e32 v2, vcc, s70, v2
	v_addc_co_u32_e32 v3, vcc, v3, v8, vcc
	v_lshlrev_b64 v[6:7], 3, v[6:7]
	v_mov_b32_e32 v9, s73
	v_add_co_u32_e32 v8, vcc, s72, v6
	v_addc_co_u32_e32 v9, vcc, v9, v7, vcc
	global_store_dwordx2 v[8:9], v[2:3], off
	v_mov_b32_e32 v3, s75
	v_add_co_u32_e32 v2, vcc, s74, v6
	v_addc_co_u32_e32 v3, vcc, v3, v7, vcc
	v_add_co_u32_e32 v0, vcc, 0x400, v0
	v_addc_co_u32_e32 v1, vcc, 0, v1, vcc
	v_cmp_le_i64_e32 vcc, s[4:5], v[0:1]
	s_or_b64 s[10:11], vcc, s[10:11]
	global_store_dwordx2 v[2:3], v[4:5], off
	s_andn2_b64 exec, exec, s[10:11]
	s_cbranch_execz .LBB120_121
.LBB120_114:                            ; =>This Loop Header: Depth=1
                                        ;     Child Loop BB120_116 Depth 2
                                        ;     Child Loop BB120_120 Depth 2
	v_lshl_add_u32 v2, v0, 3, 0
	ds_read2st64_b64 v[2:5], v2 offset1:32
	s_and_b64 vcc, exec, s[0:1]
	v_pk_mov_b32 v[6:7], s[6:7], s[6:7] op_sel:[0,1]
	s_mov_b64 s[14:15], 0
	s_cbranch_vccnz .LBB120_118
; %bb.115:                              ;   in Loop: Header=BB120_114 Depth=1
	s_mov_b32 s17, 0
	v_pk_mov_b32 v[6:7], s[6:7], s[6:7] op_sel:[0,1]
.LBB120_116:                            ;   Parent Loop BB120_114 Depth=1
                                        ; =>  This Inner Loop Header: Depth=2
	v_mov_b32_e32 v20, s17
	ds_read2_b64 v[8:11], v20 offset1:1
	ds_read2_b64 v[12:15], v20 offset0:2 offset1:3
	ds_read2_b64 v[16:19], v20 offset0:4 offset1:5
	;; [unrolled: 1-line block ×3, first 2 shown]
	s_add_u32 s14, s14, 8
	s_waitcnt lgkmcnt(3)
	v_cmp_gt_i64_e32 vcc, v[2:3], v[8:9]
	v_cndmask_b32_e64 v8, 0, 1, vcc
	v_cmp_gt_i64_e32 vcc, v[2:3], v[10:11]
	v_cndmask_b32_e64 v9, 0, 1, vcc
	s_waitcnt lgkmcnt(2)
	v_cmp_gt_i64_e32 vcc, v[2:3], v[12:13]
	v_cndmask_b32_e64 v10, 0, 1, vcc
	v_cmp_gt_i64_e32 vcc, v[2:3], v[14:15]
	v_cndmask_b32_e64 v11, 0, 1, vcc
	;; [unrolled: 5-line block ×4, first 2 shown]
	v_add_co_u32_e32 v6, vcc, v6, v8
	v_addc_co_u32_e32 v7, vcc, 0, v7, vcc
	v_add_co_u32_e32 v6, vcc, v6, v9
	v_addc_co_u32_e32 v7, vcc, 0, v7, vcc
	;; [unrolled: 2-line block ×7, first 2 shown]
	s_addc_u32 s15, s15, 0
	s_add_i32 s17, s17, 64
	v_add_co_u32_e32 v6, vcc, v6, v15
	s_cmp_eq_u64 s[2:3], s[14:15]
	v_addc_co_u32_e32 v7, vcc, 0, v7, vcc
	s_cbranch_scc0 .LBB120_116
; %bb.117:                              ;   in Loop: Header=BB120_114 Depth=1
	s_mov_b64 s[14:15], s[2:3]
.LBB120_118:                            ;   in Loop: Header=BB120_114 Depth=1
	s_andn2_b64 vcc, exec, s[12:13]
	s_cbranch_vccnz .LBB120_113
; %bb.119:                              ;   in Loop: Header=BB120_114 Depth=1
	s_lshl_b32 s14, s14, 3
	s_add_i32 s17, s14, 0
	s_mov_b64 s[14:15], s[8:9]
.LBB120_120:                            ;   Parent Loop BB120_114 Depth=1
                                        ; =>  This Inner Loop Header: Depth=2
	v_mov_b32_e32 v8, s17
	ds_read_b64 v[8:9], v8
	s_add_i32 s17, s17, 8
	s_add_u32 s14, s14, -1
	s_addc_u32 s15, s15, -1
	s_cmp_lg_u64 s[14:15], 0
	s_waitcnt lgkmcnt(0)
	v_cmp_gt_i64_e32 vcc, v[2:3], v[8:9]
	v_cndmask_b32_e64 v8, 0, 1, vcc
	v_add_co_u32_e32 v6, vcc, v6, v8
	v_addc_co_u32_e32 v7, vcc, 0, v7, vcc
	s_cbranch_scc1 .LBB120_120
	s_branch .LBB120_113
.LBB120_121:
	s_endpgm
	.section	.rodata,"a",@progbits
	.p2align	6, 0x0
	.amdhsa_kernel _ZN9rocsparseL26csrgemm_fill_block_per_rowILj1024ELj32ELj2048ELj137ELj32ElldEEvT5_PKS1_S3_NS_24const_host_device_scalarIT6_EEPKT4_S3_PKS5_S9_S3_SB_S6_S9_S3_SB_S9_PS1_PS5_21rocsparse_index_base_SE_SE_SE_bbb
		.amdhsa_group_segment_fixed_size 0
		.amdhsa_private_segment_fixed_size 0
		.amdhsa_kernarg_size 156
		.amdhsa_user_sgpr_count 6
		.amdhsa_user_sgpr_private_segment_buffer 1
		.amdhsa_user_sgpr_dispatch_ptr 0
		.amdhsa_user_sgpr_queue_ptr 0
		.amdhsa_user_sgpr_kernarg_segment_ptr 1
		.amdhsa_user_sgpr_dispatch_id 0
		.amdhsa_user_sgpr_flat_scratch_init 0
		.amdhsa_user_sgpr_kernarg_preload_length 0
		.amdhsa_user_sgpr_kernarg_preload_offset 0
		.amdhsa_user_sgpr_private_segment_size 0
		.amdhsa_uses_dynamic_stack 0
		.amdhsa_system_sgpr_private_segment_wavefront_offset 0
		.amdhsa_system_sgpr_workgroup_id_x 1
		.amdhsa_system_sgpr_workgroup_id_y 0
		.amdhsa_system_sgpr_workgroup_id_z 0
		.amdhsa_system_sgpr_workgroup_info 0
		.amdhsa_system_vgpr_workitem_id 0
		.amdhsa_next_free_vgpr 30
		.amdhsa_next_free_sgpr 82
		.amdhsa_accum_offset 32
		.amdhsa_reserve_vcc 1
		.amdhsa_reserve_flat_scratch 0
		.amdhsa_float_round_mode_32 0
		.amdhsa_float_round_mode_16_64 0
		.amdhsa_float_denorm_mode_32 3
		.amdhsa_float_denorm_mode_16_64 3
		.amdhsa_dx10_clamp 1
		.amdhsa_ieee_mode 1
		.amdhsa_fp16_overflow 0
		.amdhsa_tg_split 0
		.amdhsa_exception_fp_ieee_invalid_op 0
		.amdhsa_exception_fp_denorm_src 0
		.amdhsa_exception_fp_ieee_div_zero 0
		.amdhsa_exception_fp_ieee_overflow 0
		.amdhsa_exception_fp_ieee_underflow 0
		.amdhsa_exception_fp_ieee_inexact 0
		.amdhsa_exception_int_div_zero 0
	.end_amdhsa_kernel
	.section	.text._ZN9rocsparseL26csrgemm_fill_block_per_rowILj1024ELj32ELj2048ELj137ELj32ElldEEvT5_PKS1_S3_NS_24const_host_device_scalarIT6_EEPKT4_S3_PKS5_S9_S3_SB_S6_S9_S3_SB_S9_PS1_PS5_21rocsparse_index_base_SE_SE_SE_bbb,"axG",@progbits,_ZN9rocsparseL26csrgemm_fill_block_per_rowILj1024ELj32ELj2048ELj137ELj32ElldEEvT5_PKS1_S3_NS_24const_host_device_scalarIT6_EEPKT4_S3_PKS5_S9_S3_SB_S6_S9_S3_SB_S9_PS1_PS5_21rocsparse_index_base_SE_SE_SE_bbb,comdat
.Lfunc_end120:
	.size	_ZN9rocsparseL26csrgemm_fill_block_per_rowILj1024ELj32ELj2048ELj137ELj32ElldEEvT5_PKS1_S3_NS_24const_host_device_scalarIT6_EEPKT4_S3_PKS5_S9_S3_SB_S6_S9_S3_SB_S9_PS1_PS5_21rocsparse_index_base_SE_SE_SE_bbb, .Lfunc_end120-_ZN9rocsparseL26csrgemm_fill_block_per_rowILj1024ELj32ELj2048ELj137ELj32ElldEEvT5_PKS1_S3_NS_24const_host_device_scalarIT6_EEPKT4_S3_PKS5_S9_S3_SB_S6_S9_S3_SB_S9_PS1_PS5_21rocsparse_index_base_SE_SE_SE_bbb
                                        ; -- End function
	.section	.AMDGPU.csdata,"",@progbits
; Kernel info:
; codeLenInByte = 3908
; NumSgprs: 86
; NumVgprs: 30
; NumAgprs: 0
; TotalNumVgprs: 30
; ScratchSize: 0
; MemoryBound: 0
; FloatMode: 240
; IeeeMode: 1
; LDSByteSize: 0 bytes/workgroup (compile time only)
; SGPRBlocks: 10
; VGPRBlocks: 3
; NumSGPRsForWavesPerEU: 86
; NumVGPRsForWavesPerEU: 30
; AccumOffset: 32
; Occupancy: 8
; WaveLimiterHint : 1
; COMPUTE_PGM_RSRC2:SCRATCH_EN: 0
; COMPUTE_PGM_RSRC2:USER_SGPR: 6
; COMPUTE_PGM_RSRC2:TRAP_HANDLER: 0
; COMPUTE_PGM_RSRC2:TGID_X_EN: 1
; COMPUTE_PGM_RSRC2:TGID_Y_EN: 0
; COMPUTE_PGM_RSRC2:TGID_Z_EN: 0
; COMPUTE_PGM_RSRC2:TIDIG_COMP_CNT: 0
; COMPUTE_PGM_RSRC3_GFX90A:ACCUM_OFFSET: 7
; COMPUTE_PGM_RSRC3_GFX90A:TG_SPLIT: 0
	.section	.text._ZN9rocsparseL26csrgemm_fill_block_per_rowILj1024ELj32ELj2048ELj137ELj64ElldEEvT5_PKS1_S3_NS_24const_host_device_scalarIT6_EEPKT4_S3_PKS5_S9_S3_SB_S6_S9_S3_SB_S9_PS1_PS5_21rocsparse_index_base_SE_SE_SE_bbb,"axG",@progbits,_ZN9rocsparseL26csrgemm_fill_block_per_rowILj1024ELj32ELj2048ELj137ELj64ElldEEvT5_PKS1_S3_NS_24const_host_device_scalarIT6_EEPKT4_S3_PKS5_S9_S3_SB_S6_S9_S3_SB_S9_PS1_PS5_21rocsparse_index_base_SE_SE_SE_bbb,comdat
	.globl	_ZN9rocsparseL26csrgemm_fill_block_per_rowILj1024ELj32ELj2048ELj137ELj64ElldEEvT5_PKS1_S3_NS_24const_host_device_scalarIT6_EEPKT4_S3_PKS5_S9_S3_SB_S6_S9_S3_SB_S9_PS1_PS5_21rocsparse_index_base_SE_SE_SE_bbb ; -- Begin function _ZN9rocsparseL26csrgemm_fill_block_per_rowILj1024ELj32ELj2048ELj137ELj64ElldEEvT5_PKS1_S3_NS_24const_host_device_scalarIT6_EEPKT4_S3_PKS5_S9_S3_SB_S6_S9_S3_SB_S9_PS1_PS5_21rocsparse_index_base_SE_SE_SE_bbb
	.p2align	8
	.type	_ZN9rocsparseL26csrgemm_fill_block_per_rowILj1024ELj32ELj2048ELj137ELj64ElldEEvT5_PKS1_S3_NS_24const_host_device_scalarIT6_EEPKT4_S3_PKS5_S9_S3_SB_S6_S9_S3_SB_S9_PS1_PS5_21rocsparse_index_base_SE_SE_SE_bbb,@function
_ZN9rocsparseL26csrgemm_fill_block_per_rowILj1024ELj32ELj2048ELj137ELj64ElldEEvT5_PKS1_S3_NS_24const_host_device_scalarIT6_EEPKT4_S3_PKS5_S9_S3_SB_S6_S9_S3_SB_S9_PS1_PS5_21rocsparse_index_base_SE_SE_SE_bbb: ; @_ZN9rocsparseL26csrgemm_fill_block_per_rowILj1024ELj32ELj2048ELj137ELj64ElldEEvT5_PKS1_S3_NS_24const_host_device_scalarIT6_EEPKT4_S3_PKS5_S9_S3_SB_S6_S9_S3_SB_S9_PS1_PS5_21rocsparse_index_base_SE_SE_SE_bbb
; %bb.0:
	s_load_dword s7, s[4:5], 0x98
	s_load_dwordx4 s[44:47], s[4:5], 0x88
	s_load_dwordx2 s[0:1], s[4:5], 0x18
	s_load_dwordx2 s[24:25], s[4:5], 0x50
	s_waitcnt lgkmcnt(0)
	s_and_b32 s2, 1, s7
	s_bitcmp1_b32 s7, 16
	s_cselect_b64 s[26:27], -1, 0
	s_cmp_eq_u32 s2, 1
	s_cselect_b64 s[22:23], -1, 0
	s_and_b64 s[2:3], s[22:23], exec
	s_cselect_b32 s3, s1, 0
	s_cselect_b32 s2, s0, 0
	s_xor_b64 s[8:9], s[22:23], -1
	s_or_b64 s[8:9], s[8:9], s[26:27]
	s_and_b64 vcc, exec, s[8:9]
	v_pk_mov_b32 v[4:5], s[2:3], s[2:3] op_sel:[0,1]
	s_cbranch_vccnz .LBB121_2
; %bb.1:
	v_pk_mov_b32 v[2:3], s[0:1], s[0:1] op_sel:[0,1]
	flat_load_dwordx2 v[4:5], v[2:3]
.LBB121_2:
	s_load_dwordx4 s[48:51], s[4:5], 0x78
	s_load_dwordx8 s[36:43], s[4:5], 0x58
	s_load_dwordx4 s[0:3], s[4:5], 0x40
	s_load_dwordx4 s[16:19], s[4:5], 0x8
	s_load_dwordx8 s[8:15], s[4:5], 0x20
	s_bitcmp1_b32 s7, 8
	s_cselect_b64 s[20:21], -1, 0
	s_and_b64 s[28:29], s[20:21], exec
	s_cselect_b32 s29, s25, 0
	s_cselect_b32 s28, s24, 0
	s_xor_b64 s[30:31], s[20:21], -1
	s_or_b64 s[26:27], s[30:31], s[26:27]
	s_and_b64 vcc, exec, s[26:27]
	v_pk_mov_b32 v[2:3], s[28:29], s[28:29] op_sel:[0,1]
	s_cbranch_vccnz .LBB121_4
; %bb.3:
	v_pk_mov_b32 v[2:3], s[24:25], s[24:25] op_sel:[0,1]
	flat_load_dwordx2 v[2:3], v[2:3]
.LBB121_4:
	s_load_dwordx2 s[34:35], s[4:5], 0x0
	v_or_b32_e32 v1, 0xfffffc00, v0
	v_mov_b32_e32 v6, 0
	v_lshl_add_u32 v19, v0, 3, 0
	s_mov_b64 s[4:5], 0
	s_waitcnt lgkmcnt(0)
	v_pk_mov_b32 v[8:9], s[34:35], s[34:35] op_sel:[0,1]
	v_mov_b32_e32 v7, v6
	v_mov_b32_e32 v10, v19
	;; [unrolled: 1-line block ×3, first 2 shown]
.LBB121_5:                              ; =>This Inner Loop Header: Depth=1
	v_add_co_u32_e32 v11, vcc, 0x400, v11
	s_xor_b64 s[24:25], vcc, -1
	s_and_b64 s[24:25], exec, s[24:25]
	ds_write2st64_b64 v10, v[8:9], v[6:7] offset1:32
	s_or_b64 s[4:5], s[24:25], s[4:5]
	v_add_u32_e32 v10, 0x2000, v10
	s_andn2_b64 exec, exec, s[4:5]
	s_cbranch_execnz .LBB121_5
; %bb.6:
	s_or_b64 exec, exec, s[4:5]
	s_waitcnt lgkmcnt(0)
	s_barrier
	s_load_dwordx2 s[4:5], s[16:17], 0x0
	s_mov_b32 s7, 0
	s_waitcnt lgkmcnt(0)
	s_lshl_b64 s[4:5], s[4:5], 3
	s_add_u32 s16, s18, s4
	s_addc_u32 s17, s19, s5
	s_lshl_b64 s[4:5], s[6:7], 3
	s_add_u32 s4, s16, s4
	s_addc_u32 s5, s17, s5
	s_load_dwordx2 s[52:53], s[4:5], 0x0
	s_and_b64 vcc, exec, s[22:23]
	s_cbranch_vccz .LBB121_26
; %bb.7:
	s_waitcnt lgkmcnt(0)
	s_lshl_b64 s[4:5], s[52:53], 3
	s_add_u32 s4, s8, s4
	s_addc_u32 s5, s9, s5
	s_load_dwordx4 s[16:19], s[4:5], 0x0
	v_lshrrev_b32_e32 v6, 5, v0
	v_subrev_co_u32_e32 v6, vcc, s44, v6
	v_subb_co_u32_e64 v7, s[8:9], 0, 0, vcc
	s_waitcnt lgkmcnt(0)
	s_sub_u32 s4, s18, s44
	v_mov_b32_e32 v8, s17
	v_add_co_u32_e32 v6, vcc, s16, v6
	s_subb_u32 s5, s19, 0
	v_addc_co_u32_e32 v7, vcc, v8, v7, vcc
	v_cmp_gt_i64_e32 vcc, s[4:5], v[6:7]
	s_and_saveexec_b64 s[8:9], vcc
	s_cbranch_execz .LBB121_25
; %bb.8:
	v_and_b32_e32 v8, 31, v0
	v_subrev_co_u32_e32 v22, vcc, s45, v8
	s_mov_b32 s6, 0
	v_subb_co_u32_e64 v23, s[16:17], 0, 0, vcc
	s_mov_b32 s33, s44
	s_mov_b32 s54, s45
	s_mov_b64 s[16:17], 0
	v_mov_b32_e32 v24, s11
	v_mov_b32_e32 v25, s7
	;; [unrolled: 1-line block ×4, first 2 shown]
	s_movk_i32 s11, 0x89
	s_branch .LBB121_10
.LBB121_9:                              ;   in Loop: Header=BB121_10 Depth=1
	s_or_b64 exec, exec, s[6:7]
	v_add_co_u32_e32 v6, vcc, 32, v6
	v_addc_co_u32_e32 v7, vcc, 0, v7, vcc
	v_cmp_le_i64_e32 vcc, s[4:5], v[6:7]
	s_or_b64 s[16:17], vcc, s[16:17]
	s_andn2_b64 exec, exec, s[16:17]
	s_cbranch_execz .LBB121_25
.LBB121_10:                             ; =>This Loop Header: Depth=1
                                        ;     Child Loop BB121_13 Depth 2
                                        ;       Child Loop BB121_15 Depth 3
	v_lshlrev_b64 v[12:13], 3, v[6:7]
	v_add_co_u32_e32 v8, vcc, s10, v12
	v_addc_co_u32_e32 v9, vcc, v24, v13, vcc
	global_load_dwordx2 v[8:9], v[8:9], off
	s_waitcnt vmcnt(0)
	v_subrev_co_u32_e32 v8, vcc, s33, v8
	v_subb_co_u32_e32 v9, vcc, v9, v25, vcc
	v_lshlrev_b64 v[8:9], 3, v[8:9]
	v_add_co_u32_e32 v8, vcc, s14, v8
	v_addc_co_u32_e32 v9, vcc, v26, v9, vcc
	global_load_dwordx4 v[14:17], v[8:9], off
	s_waitcnt vmcnt(0)
	v_subrev_co_u32_e32 v8, vcc, s54, v16
	v_subb_co_u32_e32 v9, vcc, v17, v27, vcc
	v_add_co_u32_e32 v10, vcc, v14, v22
	v_addc_co_u32_e32 v11, vcc, v15, v23, vcc
	v_cmp_lt_i64_e32 vcc, v[10:11], v[8:9]
	s_and_saveexec_b64 s[6:7], vcc
	s_cbranch_execz .LBB121_9
; %bb.11:                               ;   in Loop: Header=BB121_10 Depth=1
	v_mov_b32_e32 v14, s13
	v_add_co_u32_e32 v12, vcc, s12, v12
	v_addc_co_u32_e32 v13, vcc, v14, v13, vcc
	global_load_dwordx2 v[12:13], v[12:13], off
	s_mov_b64 s[18:19], 0
	s_waitcnt vmcnt(0)
	v_mul_f64 v[12:13], v[4:5], v[12:13]
	s_branch .LBB121_13
.LBB121_12:                             ;   in Loop: Header=BB121_13 Depth=2
	s_or_b64 exec, exec, s[22:23]
	v_add_co_u32_e32 v10, vcc, 32, v10
	v_addc_co_u32_e32 v11, vcc, 0, v11, vcc
	v_cmp_ge_i64_e32 vcc, v[10:11], v[8:9]
	s_or_b64 s[18:19], vcc, s[18:19]
	s_andn2_b64 exec, exec, s[18:19]
	s_cbranch_execz .LBB121_9
.LBB121_13:                             ;   Parent Loop BB121_10 Depth=1
                                        ; =>  This Loop Header: Depth=2
                                        ;       Child Loop BB121_15 Depth 3
	v_lshlrev_b64 v[14:15], 3, v[10:11]
	v_mov_b32_e32 v17, s1
	v_add_co_u32_e32 v16, vcc, s0, v14
	v_addc_co_u32_e32 v17, vcc, v17, v15, vcc
	global_load_dwordx2 v[16:17], v[16:17], off
	v_mov_b32_e32 v18, s3
	v_add_co_u32_e32 v14, vcc, s2, v14
	v_addc_co_u32_e32 v15, vcc, v18, v15, vcc
	global_load_dwordx2 v[20:21], v[14:15], off
	s_mov_b64 s[22:23], 0
	s_waitcnt vmcnt(1)
	v_subrev_co_u32_e32 v14, vcc, s54, v16
	v_mul_lo_u32 v18, v14, s11
	v_subb_co_u32_e32 v15, vcc, v17, v27, vcc
	v_and_b32_e32 v18, 0x7ff, v18
	s_waitcnt vmcnt(0)
	v_mul_f64 v[16:17], v[12:13], v[20:21]
	s_branch .LBB121_15
.LBB121_14:                             ;   in Loop: Header=BB121_15 Depth=3
	s_or_b64 exec, exec, s[24:25]
	s_xor_b64 s[24:25], s[26:27], -1
	s_and_b64 s[24:25], exec, s[24:25]
	s_or_b64 s[22:23], s[24:25], s[22:23]
	s_andn2_b64 exec, exec, s[22:23]
	s_cbranch_execz .LBB121_12
.LBB121_15:                             ;   Parent Loop BB121_10 Depth=1
                                        ;     Parent Loop BB121_13 Depth=2
                                        ; =>    This Inner Loop Header: Depth=3
	v_lshl_add_u32 v28, v18, 3, 0
	ds_read_b64 v[20:21], v28
                                        ; implicit-def: $sgpr26_sgpr27
	s_waitcnt lgkmcnt(0)
	v_cmp_ne_u64_e32 vcc, v[20:21], v[14:15]
	s_and_saveexec_b64 s[24:25], vcc
	s_xor_b64 s[24:25], exec, s[24:25]
	s_cbranch_execz .LBB121_23
; %bb.16:                               ;   in Loop: Header=BB121_15 Depth=3
	v_cmp_ne_u64_e32 vcc, s[34:35], v[20:21]
                                        ; implicit-def: $sgpr26_sgpr27
	s_and_saveexec_b64 s[28:29], vcc
	s_xor_b64 s[28:29], exec, s[28:29]
; %bb.17:                               ;   in Loop: Header=BB121_15 Depth=3
	v_add_u32_e32 v18, 1, v18
	v_and_b32_e32 v18, 0x7ff, v18
	s_mov_b64 s[26:27], -1
                                        ; implicit-def: $vgpr28
; %bb.18:                               ;   in Loop: Header=BB121_15 Depth=3
	s_andn2_saveexec_b64 s[28:29], s[28:29]
	s_cbranch_execz .LBB121_22
; %bb.19:                               ;   in Loop: Header=BB121_15 Depth=3
	v_pk_mov_b32 v[20:21], s[34:35], s[34:35] op_sel:[0,1]
	ds_cmpst_rtn_b64 v[20:21], v28, v[20:21], v[14:15]
	s_mov_b64 s[30:31], -1
	s_waitcnt lgkmcnt(0)
	v_cmp_eq_u64_e32 vcc, s[34:35], v[20:21]
	s_and_saveexec_b64 s[44:45], vcc
	s_cbranch_execz .LBB121_21
; %bb.20:                               ;   in Loop: Header=BB121_15 Depth=3
	ds_add_f64 v28, v[16:17] offset:16384
	s_xor_b64 s[30:31], exec, -1
.LBB121_21:                             ;   in Loop: Header=BB121_15 Depth=3
	s_or_b64 exec, exec, s[44:45]
	s_andn2_b64 s[26:27], s[26:27], exec
	s_and_b64 s[30:31], s[30:31], exec
	s_or_b64 s[26:27], s[26:27], s[30:31]
.LBB121_22:                             ;   in Loop: Header=BB121_15 Depth=3
	s_or_b64 exec, exec, s[28:29]
	s_and_b64 s[26:27], s[26:27], exec
                                        ; implicit-def: $vgpr28
.LBB121_23:                             ;   in Loop: Header=BB121_15 Depth=3
	s_andn2_saveexec_b64 s[24:25], s[24:25]
	s_cbranch_execz .LBB121_14
; %bb.24:                               ;   in Loop: Header=BB121_15 Depth=3
	ds_add_f64 v28, v[16:17] offset:16384
	s_andn2_b64 s[26:27], s[26:27], exec
	s_branch .LBB121_14
.LBB121_25:
	s_or_b64 exec, exec, s[8:9]
.LBB121_26:
	s_andn2_b64 vcc, exec, s[20:21]
	s_cbranch_vccnz .LBB121_43
; %bb.27:
	s_waitcnt lgkmcnt(0)
	s_lshl_b64 s[0:1], s[52:53], 3
	s_add_u32 s0, s36, s0
	s_addc_u32 s1, s37, s1
	s_load_dwordx4 s[8:11], s[0:1], 0x0
	s_waitcnt vmcnt(0)
	v_subrev_co_u32_e32 v4, vcc, s47, v0
	v_subb_co_u32_e64 v5, s[2:3], 0, 0, vcc
	s_waitcnt lgkmcnt(0)
	s_sub_u32 s0, s10, s47
	v_mov_b32_e32 v6, s9
	v_add_co_u32_e32 v4, vcc, s8, v4
	s_subb_u32 s1, s11, 0
	v_addc_co_u32_e32 v5, vcc, v6, v5, vcc
	s_mov_b32 s6, 0
	v_cmp_gt_i64_e32 vcc, s[0:1], v[4:5]
	s_and_saveexec_b64 s[2:3], vcc
	s_cbranch_execz .LBB121_42
; %bb.28:
	s_mov_b32 s18, s47
	s_mov_b64 s[4:5], 0
	v_mov_b32_e32 v11, s39
	v_mov_b32_e32 v14, s6
	;; [unrolled: 1-line block ×3, first 2 shown]
	s_movk_i32 s19, 0x89
	s_branch .LBB121_30
.LBB121_29:                             ;   in Loop: Header=BB121_30 Depth=1
	s_or_b64 exec, exec, s[6:7]
	v_add_co_u32_e32 v4, vcc, 0x400, v4
	v_addc_co_u32_e32 v5, vcc, 0, v5, vcc
	v_cmp_le_i64_e32 vcc, s[0:1], v[4:5]
	s_or_b64 s[4:5], vcc, s[4:5]
	s_andn2_b64 exec, exec, s[4:5]
	s_cbranch_execz .LBB121_42
.LBB121_30:                             ; =>This Loop Header: Depth=1
                                        ;     Child Loop BB121_32 Depth 2
	v_lshlrev_b64 v[6:7], 3, v[4:5]
	v_add_co_u32_e32 v8, vcc, s38, v6
	v_addc_co_u32_e32 v9, vcc, v11, v7, vcc
	global_load_dwordx2 v[8:9], v[8:9], off
	v_add_co_u32_e32 v6, vcc, s40, v6
	v_addc_co_u32_e32 v7, vcc, v15, v7, vcc
	global_load_dwordx2 v[12:13], v[6:7], off
	s_mov_b64 s[6:7], 0
	s_waitcnt vmcnt(1)
	v_subrev_co_u32_e32 v6, vcc, s18, v8
	v_mul_lo_u32 v10, v6, s19
	v_subb_co_u32_e32 v7, vcc, v9, v14, vcc
	s_waitcnt vmcnt(0)
	v_mul_f64 v[8:9], v[2:3], v[12:13]
	v_and_b32_e32 v10, 0x7ff, v10
	s_branch .LBB121_32
.LBB121_31:                             ;   in Loop: Header=BB121_32 Depth=2
	s_or_b64 exec, exec, s[8:9]
	s_xor_b64 s[8:9], s[10:11], -1
	s_and_b64 s[8:9], exec, s[8:9]
	s_or_b64 s[6:7], s[8:9], s[6:7]
	s_andn2_b64 exec, exec, s[6:7]
	s_cbranch_execz .LBB121_29
.LBB121_32:                             ;   Parent Loop BB121_30 Depth=1
                                        ; =>  This Inner Loop Header: Depth=2
	v_lshl_add_u32 v16, v10, 3, 0
	ds_read_b64 v[12:13], v16
                                        ; implicit-def: $sgpr10_sgpr11
	s_waitcnt lgkmcnt(0)
	v_cmp_ne_u64_e32 vcc, v[12:13], v[6:7]
	s_and_saveexec_b64 s[8:9], vcc
	s_xor_b64 s[8:9], exec, s[8:9]
	s_cbranch_execz .LBB121_40
; %bb.33:                               ;   in Loop: Header=BB121_32 Depth=2
	v_cmp_ne_u64_e32 vcc, s[34:35], v[12:13]
                                        ; implicit-def: $sgpr10_sgpr11
	s_and_saveexec_b64 s[12:13], vcc
	s_xor_b64 s[12:13], exec, s[12:13]
; %bb.34:                               ;   in Loop: Header=BB121_32 Depth=2
	v_add_u32_e32 v10, 1, v10
	v_and_b32_e32 v10, 0x7ff, v10
	s_mov_b64 s[10:11], -1
                                        ; implicit-def: $vgpr16
; %bb.35:                               ;   in Loop: Header=BB121_32 Depth=2
	s_andn2_saveexec_b64 s[12:13], s[12:13]
	s_cbranch_execz .LBB121_39
; %bb.36:                               ;   in Loop: Header=BB121_32 Depth=2
	v_pk_mov_b32 v[12:13], s[34:35], s[34:35] op_sel:[0,1]
	ds_cmpst_rtn_b64 v[12:13], v16, v[12:13], v[6:7]
	s_mov_b64 s[14:15], -1
	s_waitcnt lgkmcnt(0)
	v_cmp_eq_u64_e32 vcc, s[34:35], v[12:13]
	s_and_saveexec_b64 s[16:17], vcc
	s_cbranch_execz .LBB121_38
; %bb.37:                               ;   in Loop: Header=BB121_32 Depth=2
	ds_add_f64 v16, v[8:9] offset:16384
	s_xor_b64 s[14:15], exec, -1
.LBB121_38:                             ;   in Loop: Header=BB121_32 Depth=2
	s_or_b64 exec, exec, s[16:17]
	s_andn2_b64 s[10:11], s[10:11], exec
	s_and_b64 s[14:15], s[14:15], exec
	s_or_b64 s[10:11], s[10:11], s[14:15]
.LBB121_39:                             ;   in Loop: Header=BB121_32 Depth=2
	s_or_b64 exec, exec, s[12:13]
	s_and_b64 s[10:11], s[10:11], exec
                                        ; implicit-def: $vgpr16
.LBB121_40:                             ;   in Loop: Header=BB121_32 Depth=2
	s_andn2_saveexec_b64 s[8:9], s[8:9]
	s_cbranch_execz .LBB121_31
; %bb.41:                               ;   in Loop: Header=BB121_32 Depth=2
	ds_add_f64 v16, v[8:9] offset:16384
	s_andn2_b64 s[10:11], s[10:11], exec
	s_branch .LBB121_31
.LBB121_42:
	s_or_b64 exec, exec, s[2:3]
.LBB121_43:
	s_waitcnt vmcnt(0)
	v_mbcnt_lo_u32_b32 v2, -1, 0
	v_mbcnt_hi_u32_b32 v2, -1, v2
	v_sub_u32_e32 v2, 63, v2
	v_lshrrev_b64 v[8:9], v2, -1
	v_lshrrev_b32_e32 v2, 3, v0
	v_and_b32_e32 v2, 0x78, v2
	s_movk_i32 s0, 0x3ff
	s_movk_i32 s4, 0x7f
	;; [unrolled: 1-line block ×15, first 2 shown]
	v_mov_b32_e32 v7, 0
	v_add_u32_e32 v14, 0, v2
	v_cmp_eq_u32_e64 s[0:1], s0, v0
	v_cmp_lt_u32_e64 s[2:3], 63, v0
	v_cmp_lt_u32_e64 s[4:5], s4, v0
	;; [unrolled: 1-line block ×15, first 2 shown]
	s_mov_b64 s[36:37], 0
	v_pk_mov_b32 v[10:11], 0, 0
	s_waitcnt lgkmcnt(0)
	s_barrier
	s_branch .LBB121_45
.LBB121_44:                             ;   in Loop: Header=BB121_45 Depth=1
	s_or_b64 exec, exec, s[38:39]
	s_waitcnt lgkmcnt(0)
	s_barrier
	ds_read_b64 v[2:3], v7 offset:32888
	v_add_u32_e32 v19, 0x2000, v19
	s_waitcnt lgkmcnt(0)
	v_add_co_u32_e32 v10, vcc, v2, v10
	v_addc_co_u32_e32 v11, vcc, v3, v11, vcc
	v_add_co_u32_e32 v1, vcc, 0x400, v1
	s_xor_b64 s[38:39], vcc, -1
	s_and_b64 s[38:39], exec, s[38:39]
	s_or_b64 s[36:37], s[38:39], s[36:37]
	s_andn2_b64 exec, exec, s[36:37]
	s_cbranch_execz .LBB121_79
.LBB121_45:                             ; =>This Inner Loop Header: Depth=1
	ds_read2st64_b64 v[2:5], v19 offset1:32
	s_waitcnt lgkmcnt(0)
	s_barrier
	v_cmp_gt_i64_e32 vcc, s[34:35], v[2:3]
	v_and_b32_e32 v13, vcc_lo, v8
	s_bcnt1_i32_b64 s33, vcc
	v_and_b32_e32 v12, vcc_hi, v9
	v_bcnt_u32_b32 v13, v13, 0
	v_mov_b32_e32 v6, s33
	v_bcnt_u32_b32 v12, v12, v13
	ds_write_b64 v14, v[6:7] offset:32768
	s_waitcnt lgkmcnt(0)
	s_barrier
	s_and_saveexec_b64 s[38:39], s[2:3]
	s_cbranch_execnz .LBB121_62
; %bb.46:                               ;   in Loop: Header=BB121_45 Depth=1
	s_or_b64 exec, exec, s[38:39]
	s_and_saveexec_b64 s[38:39], s[4:5]
	s_cbranch_execnz .LBB121_63
.LBB121_47:                             ;   in Loop: Header=BB121_45 Depth=1
	s_or_b64 exec, exec, s[38:39]
	s_and_saveexec_b64 s[38:39], s[6:7]
	s_cbranch_execnz .LBB121_64
.LBB121_48:                             ;   in Loop: Header=BB121_45 Depth=1
	s_or_b64 exec, exec, s[38:39]
	s_and_saveexec_b64 s[38:39], s[8:9]
	s_cbranch_execnz .LBB121_65
.LBB121_49:                             ;   in Loop: Header=BB121_45 Depth=1
	s_or_b64 exec, exec, s[38:39]
	s_and_saveexec_b64 s[38:39], s[10:11]
	s_cbranch_execnz .LBB121_66
.LBB121_50:                             ;   in Loop: Header=BB121_45 Depth=1
	s_or_b64 exec, exec, s[38:39]
	s_and_saveexec_b64 s[38:39], s[12:13]
	s_cbranch_execnz .LBB121_67
.LBB121_51:                             ;   in Loop: Header=BB121_45 Depth=1
	s_or_b64 exec, exec, s[38:39]
	s_and_saveexec_b64 s[38:39], s[14:15]
	s_cbranch_execnz .LBB121_68
.LBB121_52:                             ;   in Loop: Header=BB121_45 Depth=1
	s_or_b64 exec, exec, s[38:39]
	s_and_saveexec_b64 s[38:39], s[16:17]
	s_cbranch_execnz .LBB121_69
.LBB121_53:                             ;   in Loop: Header=BB121_45 Depth=1
	s_or_b64 exec, exec, s[38:39]
	s_and_saveexec_b64 s[38:39], s[18:19]
	s_cbranch_execnz .LBB121_70
.LBB121_54:                             ;   in Loop: Header=BB121_45 Depth=1
	s_or_b64 exec, exec, s[38:39]
	s_and_saveexec_b64 s[38:39], s[20:21]
	s_cbranch_execnz .LBB121_71
.LBB121_55:                             ;   in Loop: Header=BB121_45 Depth=1
	s_or_b64 exec, exec, s[38:39]
	s_and_saveexec_b64 s[38:39], s[22:23]
	s_cbranch_execnz .LBB121_72
.LBB121_56:                             ;   in Loop: Header=BB121_45 Depth=1
	s_or_b64 exec, exec, s[38:39]
	s_and_saveexec_b64 s[38:39], s[24:25]
	s_cbranch_execnz .LBB121_73
.LBB121_57:                             ;   in Loop: Header=BB121_45 Depth=1
	s_or_b64 exec, exec, s[38:39]
	s_and_saveexec_b64 s[38:39], s[26:27]
	s_cbranch_execnz .LBB121_74
.LBB121_58:                             ;   in Loop: Header=BB121_45 Depth=1
	s_or_b64 exec, exec, s[38:39]
	s_and_saveexec_b64 s[38:39], s[28:29]
	s_cbranch_execnz .LBB121_75
.LBB121_59:                             ;   in Loop: Header=BB121_45 Depth=1
	s_or_b64 exec, exec, s[38:39]
	s_and_saveexec_b64 s[38:39], s[30:31]
	s_cbranch_execnz .LBB121_76
.LBB121_60:                             ;   in Loop: Header=BB121_45 Depth=1
	s_or_b64 exec, exec, s[38:39]
	v_ashrrev_i32_e32 v13, 31, v12
	s_and_saveexec_b64 s[38:39], vcc
	s_cbranch_execnz .LBB121_77
.LBB121_61:                             ;   in Loop: Header=BB121_45 Depth=1
	s_or_b64 exec, exec, s[38:39]
	s_and_saveexec_b64 s[38:39], s[0:1]
	s_cbranch_execz .LBB121_44
	s_branch .LBB121_78
.LBB121_62:                             ;   in Loop: Header=BB121_45 Depth=1
	ds_read_b32 v6, v7 offset:32768
	s_waitcnt lgkmcnt(0)
	v_add_u32_e32 v12, v6, v12
	s_or_b64 exec, exec, s[38:39]
	s_and_saveexec_b64 s[38:39], s[4:5]
	s_cbranch_execz .LBB121_47
.LBB121_63:                             ;   in Loop: Header=BB121_45 Depth=1
	ds_read_b32 v6, v7 offset:32776
	s_waitcnt lgkmcnt(0)
	v_add_u32_e32 v12, v12, v6
	s_or_b64 exec, exec, s[38:39]
	s_and_saveexec_b64 s[38:39], s[6:7]
	s_cbranch_execz .LBB121_48
.LBB121_64:                             ;   in Loop: Header=BB121_45 Depth=1
	ds_read_b32 v6, v7 offset:32784
	s_waitcnt lgkmcnt(0)
	v_add_u32_e32 v12, v12, v6
	s_or_b64 exec, exec, s[38:39]
	s_and_saveexec_b64 s[38:39], s[8:9]
	s_cbranch_execz .LBB121_49
.LBB121_65:                             ;   in Loop: Header=BB121_45 Depth=1
	ds_read_b32 v6, v7 offset:32792
	s_waitcnt lgkmcnt(0)
	v_add_u32_e32 v12, v12, v6
	s_or_b64 exec, exec, s[38:39]
	s_and_saveexec_b64 s[38:39], s[10:11]
	s_cbranch_execz .LBB121_50
.LBB121_66:                             ;   in Loop: Header=BB121_45 Depth=1
	ds_read_b32 v6, v7 offset:32800
	s_waitcnt lgkmcnt(0)
	v_add_u32_e32 v12, v12, v6
	s_or_b64 exec, exec, s[38:39]
	s_and_saveexec_b64 s[38:39], s[12:13]
	s_cbranch_execz .LBB121_51
.LBB121_67:                             ;   in Loop: Header=BB121_45 Depth=1
	ds_read_b32 v6, v7 offset:32808
	s_waitcnt lgkmcnt(0)
	v_add_u32_e32 v12, v12, v6
	s_or_b64 exec, exec, s[38:39]
	s_and_saveexec_b64 s[38:39], s[14:15]
	s_cbranch_execz .LBB121_52
.LBB121_68:                             ;   in Loop: Header=BB121_45 Depth=1
	ds_read_b32 v6, v7 offset:32816
	s_waitcnt lgkmcnt(0)
	v_add_u32_e32 v12, v12, v6
	s_or_b64 exec, exec, s[38:39]
	s_and_saveexec_b64 s[38:39], s[16:17]
	s_cbranch_execz .LBB121_53
.LBB121_69:                             ;   in Loop: Header=BB121_45 Depth=1
	ds_read_b32 v6, v7 offset:32824
	s_waitcnt lgkmcnt(0)
	v_add_u32_e32 v12, v12, v6
	s_or_b64 exec, exec, s[38:39]
	s_and_saveexec_b64 s[38:39], s[18:19]
	s_cbranch_execz .LBB121_54
.LBB121_70:                             ;   in Loop: Header=BB121_45 Depth=1
	ds_read_b32 v6, v7 offset:32832
	s_waitcnt lgkmcnt(0)
	v_add_u32_e32 v12, v12, v6
	s_or_b64 exec, exec, s[38:39]
	s_and_saveexec_b64 s[38:39], s[20:21]
	s_cbranch_execz .LBB121_55
.LBB121_71:                             ;   in Loop: Header=BB121_45 Depth=1
	ds_read_b32 v6, v7 offset:32840
	s_waitcnt lgkmcnt(0)
	v_add_u32_e32 v12, v12, v6
	s_or_b64 exec, exec, s[38:39]
	s_and_saveexec_b64 s[38:39], s[22:23]
	s_cbranch_execz .LBB121_56
.LBB121_72:                             ;   in Loop: Header=BB121_45 Depth=1
	ds_read_b32 v6, v7 offset:32848
	s_waitcnt lgkmcnt(0)
	v_add_u32_e32 v12, v12, v6
	s_or_b64 exec, exec, s[38:39]
	s_and_saveexec_b64 s[38:39], s[24:25]
	s_cbranch_execz .LBB121_57
.LBB121_73:                             ;   in Loop: Header=BB121_45 Depth=1
	ds_read_b32 v6, v7 offset:32856
	s_waitcnt lgkmcnt(0)
	v_add_u32_e32 v12, v12, v6
	s_or_b64 exec, exec, s[38:39]
	s_and_saveexec_b64 s[38:39], s[26:27]
	s_cbranch_execz .LBB121_58
.LBB121_74:                             ;   in Loop: Header=BB121_45 Depth=1
	ds_read_b32 v6, v7 offset:32864
	s_waitcnt lgkmcnt(0)
	v_add_u32_e32 v12, v12, v6
	s_or_b64 exec, exec, s[38:39]
	s_and_saveexec_b64 s[38:39], s[28:29]
	s_cbranch_execz .LBB121_59
.LBB121_75:                             ;   in Loop: Header=BB121_45 Depth=1
	ds_read_b32 v6, v7 offset:32872
	s_waitcnt lgkmcnt(0)
	v_add_u32_e32 v12, v12, v6
	s_or_b64 exec, exec, s[38:39]
	s_and_saveexec_b64 s[38:39], s[30:31]
	s_cbranch_execz .LBB121_60
.LBB121_76:                             ;   in Loop: Header=BB121_45 Depth=1
	ds_read_b32 v6, v7 offset:32880
	s_waitcnt lgkmcnt(0)
	v_add_u32_e32 v12, v12, v6
	s_or_b64 exec, exec, s[38:39]
	v_ashrrev_i32_e32 v13, 31, v12
	s_and_saveexec_b64 s[38:39], vcc
	s_cbranch_execz .LBB121_61
.LBB121_77:                             ;   in Loop: Header=BB121_45 Depth=1
	v_add3_u32 v6, v10, -1, v12
	v_lshl_add_u32 v6, v6, 3, 0
	ds_write2st64_b64 v6, v[2:3], v[4:5] offset1:32
	s_or_b64 exec, exec, s[38:39]
	s_and_saveexec_b64 s[38:39], s[0:1]
	s_cbranch_execz .LBB121_44
.LBB121_78:                             ;   in Loop: Header=BB121_45 Depth=1
	ds_write_b64 v7, v[12:13] offset:32888
	s_branch .LBB121_44
.LBB121_79:
	s_or_b64 exec, exec, s[36:37]
	s_lshl_b64 s[0:1], s[52:53], 3
	s_add_u32 s0, s42, s0
	s_addc_u32 s1, s43, s1
	s_load_dwordx4 s[0:3], s[0:1], 0x0
	v_mov_b32_e32 v1, 0
	s_waitcnt lgkmcnt(0)
	s_sub_u32 s4, s2, s0
	s_subb_u32 s5, s3, s1
	v_cmp_gt_i64_e32 vcc, s[4:5], v[0:1]
	s_and_saveexec_b64 s[6:7], vcc
	s_cbranch_execz .LBB121_89
; %bb.80:
	s_sub_u32 s6, s0, s46
	s_subb_u32 s7, s1, 0
	s_and_b32 s8, s4, 7
	s_sub_u32 s0, s0, s2
	s_mov_b32 s16, 0
	s_subb_u32 s1, s1, s3
	s_mov_b32 s9, s16
	s_and_b32 s2, s4, -8
	v_cmp_lt_u64_e64 s[0:1], s[0:1], -7
	s_cmp_lg_u64 s[8:9], 0
	v_cndmask_b32_e64 v2, 0, 1, s[0:1]
	s_mov_b32 s3, s5
	s_mov_b64 s[10:11], 0
	s_cselect_b64 s[12:13], -1, 0
	v_cmp_ne_u32_e64 s[0:1], 1, v2
	s_branch .LBB121_82
.LBB121_81:                             ;   in Loop: Header=BB121_82 Depth=1
	v_mov_b32_e32 v8, s16
	s_waitcnt lgkmcnt(0)
	v_add_co_u32_e32 v2, vcc, s46, v2
	v_addc_co_u32_e32 v3, vcc, v3, v8, vcc
	v_lshlrev_b64 v[6:7], 3, v[6:7]
	v_mov_b32_e32 v9, s49
	v_add_co_u32_e32 v8, vcc, s48, v6
	v_addc_co_u32_e32 v9, vcc, v9, v7, vcc
	global_store_dwordx2 v[8:9], v[2:3], off
	v_mov_b32_e32 v3, s51
	v_add_co_u32_e32 v2, vcc, s50, v6
	v_addc_co_u32_e32 v3, vcc, v3, v7, vcc
	v_add_co_u32_e32 v0, vcc, 0x400, v0
	v_addc_co_u32_e32 v1, vcc, 0, v1, vcc
	v_cmp_le_i64_e32 vcc, s[4:5], v[0:1]
	s_or_b64 s[10:11], vcc, s[10:11]
	global_store_dwordx2 v[2:3], v[4:5], off
	s_andn2_b64 exec, exec, s[10:11]
	s_cbranch_execz .LBB121_89
.LBB121_82:                             ; =>This Loop Header: Depth=1
                                        ;     Child Loop BB121_84 Depth 2
                                        ;     Child Loop BB121_88 Depth 2
	v_lshl_add_u32 v2, v0, 3, 0
	ds_read2st64_b64 v[2:5], v2 offset1:32
	s_and_b64 vcc, exec, s[0:1]
	v_pk_mov_b32 v[6:7], s[6:7], s[6:7] op_sel:[0,1]
	s_mov_b64 s[14:15], 0
	s_cbranch_vccnz .LBB121_86
; %bb.83:                               ;   in Loop: Header=BB121_82 Depth=1
	s_mov_b32 s17, 0
	v_pk_mov_b32 v[6:7], s[6:7], s[6:7] op_sel:[0,1]
.LBB121_84:                             ;   Parent Loop BB121_82 Depth=1
                                        ; =>  This Inner Loop Header: Depth=2
	v_mov_b32_e32 v20, s17
	ds_read2_b64 v[8:11], v20 offset1:1
	ds_read2_b64 v[12:15], v20 offset0:2 offset1:3
	ds_read2_b64 v[16:19], v20 offset0:4 offset1:5
	;; [unrolled: 1-line block ×3, first 2 shown]
	s_add_u32 s14, s14, 8
	s_waitcnt lgkmcnt(3)
	v_cmp_gt_i64_e32 vcc, v[2:3], v[8:9]
	v_cndmask_b32_e64 v8, 0, 1, vcc
	v_cmp_gt_i64_e32 vcc, v[2:3], v[10:11]
	v_cndmask_b32_e64 v9, 0, 1, vcc
	s_waitcnt lgkmcnt(2)
	v_cmp_gt_i64_e32 vcc, v[2:3], v[12:13]
	v_cndmask_b32_e64 v10, 0, 1, vcc
	v_cmp_gt_i64_e32 vcc, v[2:3], v[14:15]
	v_cndmask_b32_e64 v11, 0, 1, vcc
	s_waitcnt lgkmcnt(1)
	v_cmp_gt_i64_e32 vcc, v[2:3], v[16:17]
	v_cndmask_b32_e64 v12, 0, 1, vcc
	v_cmp_gt_i64_e32 vcc, v[2:3], v[18:19]
	v_cndmask_b32_e64 v13, 0, 1, vcc
	s_waitcnt lgkmcnt(0)
	v_cmp_gt_i64_e32 vcc, v[2:3], v[20:21]
	v_cndmask_b32_e64 v14, 0, 1, vcc
	v_cmp_gt_i64_e32 vcc, v[2:3], v[22:23]
	v_cndmask_b32_e64 v15, 0, 1, vcc
	v_add_co_u32_e32 v6, vcc, v6, v8
	v_addc_co_u32_e32 v7, vcc, 0, v7, vcc
	v_add_co_u32_e32 v6, vcc, v6, v9
	v_addc_co_u32_e32 v7, vcc, 0, v7, vcc
	;; [unrolled: 2-line block ×7, first 2 shown]
	s_addc_u32 s15, s15, 0
	s_add_i32 s17, s17, 64
	v_add_co_u32_e32 v6, vcc, v6, v15
	s_cmp_eq_u64 s[2:3], s[14:15]
	v_addc_co_u32_e32 v7, vcc, 0, v7, vcc
	s_cbranch_scc0 .LBB121_84
; %bb.85:                               ;   in Loop: Header=BB121_82 Depth=1
	s_mov_b64 s[14:15], s[2:3]
.LBB121_86:                             ;   in Loop: Header=BB121_82 Depth=1
	s_andn2_b64 vcc, exec, s[12:13]
	s_cbranch_vccnz .LBB121_81
; %bb.87:                               ;   in Loop: Header=BB121_82 Depth=1
	s_lshl_b32 s14, s14, 3
	s_add_i32 s17, s14, 0
	s_mov_b64 s[14:15], s[8:9]
.LBB121_88:                             ;   Parent Loop BB121_82 Depth=1
                                        ; =>  This Inner Loop Header: Depth=2
	v_mov_b32_e32 v8, s17
	ds_read_b64 v[8:9], v8
	s_add_i32 s17, s17, 8
	s_add_u32 s14, s14, -1
	s_addc_u32 s15, s15, -1
	s_cmp_lg_u64 s[14:15], 0
	s_waitcnt lgkmcnt(0)
	v_cmp_gt_i64_e32 vcc, v[2:3], v[8:9]
	v_cndmask_b32_e64 v8, 0, 1, vcc
	v_add_co_u32_e32 v6, vcc, v6, v8
	v_addc_co_u32_e32 v7, vcc, 0, v7, vcc
	s_cbranch_scc1 .LBB121_88
	s_branch .LBB121_81
.LBB121_89:
	s_endpgm
	.section	.rodata,"a",@progbits
	.p2align	6, 0x0
	.amdhsa_kernel _ZN9rocsparseL26csrgemm_fill_block_per_rowILj1024ELj32ELj2048ELj137ELj64ElldEEvT5_PKS1_S3_NS_24const_host_device_scalarIT6_EEPKT4_S3_PKS5_S9_S3_SB_S6_S9_S3_SB_S9_PS1_PS5_21rocsparse_index_base_SE_SE_SE_bbb
		.amdhsa_group_segment_fixed_size 0
		.amdhsa_private_segment_fixed_size 0
		.amdhsa_kernarg_size 156
		.amdhsa_user_sgpr_count 6
		.amdhsa_user_sgpr_private_segment_buffer 1
		.amdhsa_user_sgpr_dispatch_ptr 0
		.amdhsa_user_sgpr_queue_ptr 0
		.amdhsa_user_sgpr_kernarg_segment_ptr 1
		.amdhsa_user_sgpr_dispatch_id 0
		.amdhsa_user_sgpr_flat_scratch_init 0
		.amdhsa_user_sgpr_kernarg_preload_length 0
		.amdhsa_user_sgpr_kernarg_preload_offset 0
		.amdhsa_user_sgpr_private_segment_size 0
		.amdhsa_uses_dynamic_stack 0
		.amdhsa_system_sgpr_private_segment_wavefront_offset 0
		.amdhsa_system_sgpr_workgroup_id_x 1
		.amdhsa_system_sgpr_workgroup_id_y 0
		.amdhsa_system_sgpr_workgroup_id_z 0
		.amdhsa_system_sgpr_workgroup_info 0
		.amdhsa_system_vgpr_workitem_id 0
		.amdhsa_next_free_vgpr 29
		.amdhsa_next_free_sgpr 55
		.amdhsa_accum_offset 32
		.amdhsa_reserve_vcc 1
		.amdhsa_reserve_flat_scratch 0
		.amdhsa_float_round_mode_32 0
		.amdhsa_float_round_mode_16_64 0
		.amdhsa_float_denorm_mode_32 3
		.amdhsa_float_denorm_mode_16_64 3
		.amdhsa_dx10_clamp 1
		.amdhsa_ieee_mode 1
		.amdhsa_fp16_overflow 0
		.amdhsa_tg_split 0
		.amdhsa_exception_fp_ieee_invalid_op 0
		.amdhsa_exception_fp_denorm_src 0
		.amdhsa_exception_fp_ieee_div_zero 0
		.amdhsa_exception_fp_ieee_overflow 0
		.amdhsa_exception_fp_ieee_underflow 0
		.amdhsa_exception_fp_ieee_inexact 0
		.amdhsa_exception_int_div_zero 0
	.end_amdhsa_kernel
	.section	.text._ZN9rocsparseL26csrgemm_fill_block_per_rowILj1024ELj32ELj2048ELj137ELj64ElldEEvT5_PKS1_S3_NS_24const_host_device_scalarIT6_EEPKT4_S3_PKS5_S9_S3_SB_S6_S9_S3_SB_S9_PS1_PS5_21rocsparse_index_base_SE_SE_SE_bbb,"axG",@progbits,_ZN9rocsparseL26csrgemm_fill_block_per_rowILj1024ELj32ELj2048ELj137ELj64ElldEEvT5_PKS1_S3_NS_24const_host_device_scalarIT6_EEPKT4_S3_PKS5_S9_S3_SB_S6_S9_S3_SB_S9_PS1_PS5_21rocsparse_index_base_SE_SE_SE_bbb,comdat
.Lfunc_end121:
	.size	_ZN9rocsparseL26csrgemm_fill_block_per_rowILj1024ELj32ELj2048ELj137ELj64ElldEEvT5_PKS1_S3_NS_24const_host_device_scalarIT6_EEPKT4_S3_PKS5_S9_S3_SB_S6_S9_S3_SB_S9_PS1_PS5_21rocsparse_index_base_SE_SE_SE_bbb, .Lfunc_end121-_ZN9rocsparseL26csrgemm_fill_block_per_rowILj1024ELj32ELj2048ELj137ELj64ElldEEvT5_PKS1_S3_NS_24const_host_device_scalarIT6_EEPKT4_S3_PKS5_S9_S3_SB_S6_S9_S3_SB_S9_PS1_PS5_21rocsparse_index_base_SE_SE_SE_bbb
                                        ; -- End function
	.section	.AMDGPU.csdata,"",@progbits
; Kernel info:
; codeLenInByte = 3088
; NumSgprs: 59
; NumVgprs: 29
; NumAgprs: 0
; TotalNumVgprs: 29
; ScratchSize: 0
; MemoryBound: 0
; FloatMode: 240
; IeeeMode: 1
; LDSByteSize: 0 bytes/workgroup (compile time only)
; SGPRBlocks: 7
; VGPRBlocks: 3
; NumSGPRsForWavesPerEU: 59
; NumVGPRsForWavesPerEU: 29
; AccumOffset: 32
; Occupancy: 8
; WaveLimiterHint : 1
; COMPUTE_PGM_RSRC2:SCRATCH_EN: 0
; COMPUTE_PGM_RSRC2:USER_SGPR: 6
; COMPUTE_PGM_RSRC2:TRAP_HANDLER: 0
; COMPUTE_PGM_RSRC2:TGID_X_EN: 1
; COMPUTE_PGM_RSRC2:TGID_Y_EN: 0
; COMPUTE_PGM_RSRC2:TGID_Z_EN: 0
; COMPUTE_PGM_RSRC2:TIDIG_COMP_CNT: 0
; COMPUTE_PGM_RSRC3_GFX90A:ACCUM_OFFSET: 7
; COMPUTE_PGM_RSRC3_GFX90A:TG_SPLIT: 0
	.section	.text._ZN9rocsparseL26csrgemm_fill_block_per_rowILj1024ELj64ELj4096ELj137ELj32ElldEEvT5_PKS1_S3_NS_24const_host_device_scalarIT6_EEPKT4_S3_PKS5_S9_S3_SB_S6_S9_S3_SB_S9_PS1_PS5_21rocsparse_index_base_SE_SE_SE_bbb,"axG",@progbits,_ZN9rocsparseL26csrgemm_fill_block_per_rowILj1024ELj64ELj4096ELj137ELj32ElldEEvT5_PKS1_S3_NS_24const_host_device_scalarIT6_EEPKT4_S3_PKS5_S9_S3_SB_S6_S9_S3_SB_S9_PS1_PS5_21rocsparse_index_base_SE_SE_SE_bbb,comdat
	.globl	_ZN9rocsparseL26csrgemm_fill_block_per_rowILj1024ELj64ELj4096ELj137ELj32ElldEEvT5_PKS1_S3_NS_24const_host_device_scalarIT6_EEPKT4_S3_PKS5_S9_S3_SB_S6_S9_S3_SB_S9_PS1_PS5_21rocsparse_index_base_SE_SE_SE_bbb ; -- Begin function _ZN9rocsparseL26csrgemm_fill_block_per_rowILj1024ELj64ELj4096ELj137ELj32ElldEEvT5_PKS1_S3_NS_24const_host_device_scalarIT6_EEPKT4_S3_PKS5_S9_S3_SB_S6_S9_S3_SB_S9_PS1_PS5_21rocsparse_index_base_SE_SE_SE_bbb
	.p2align	8
	.type	_ZN9rocsparseL26csrgemm_fill_block_per_rowILj1024ELj64ELj4096ELj137ELj32ElldEEvT5_PKS1_S3_NS_24const_host_device_scalarIT6_EEPKT4_S3_PKS5_S9_S3_SB_S6_S9_S3_SB_S9_PS1_PS5_21rocsparse_index_base_SE_SE_SE_bbb,@function
_ZN9rocsparseL26csrgemm_fill_block_per_rowILj1024ELj64ELj4096ELj137ELj32ElldEEvT5_PKS1_S3_NS_24const_host_device_scalarIT6_EEPKT4_S3_PKS5_S9_S3_SB_S6_S9_S3_SB_S9_PS1_PS5_21rocsparse_index_base_SE_SE_SE_bbb: ; @_ZN9rocsparseL26csrgemm_fill_block_per_rowILj1024ELj64ELj4096ELj137ELj32ElldEEvT5_PKS1_S3_NS_24const_host_device_scalarIT6_EEPKT4_S3_PKS5_S9_S3_SB_S6_S9_S3_SB_S9_PS1_PS5_21rocsparse_index_base_SE_SE_SE_bbb
; %bb.0:
	s_load_dword s7, s[4:5], 0x98
	s_load_dwordx4 s[40:43], s[4:5], 0x88
	s_load_dwordx2 s[0:1], s[4:5], 0x18
	s_load_dwordx2 s[24:25], s[4:5], 0x50
	s_waitcnt lgkmcnt(0)
	s_and_b32 s2, 1, s7
	s_bitcmp1_b32 s7, 16
	s_cselect_b64 s[26:27], -1, 0
	s_cmp_eq_u32 s2, 1
	s_cselect_b64 s[22:23], -1, 0
	s_and_b64 s[2:3], s[22:23], exec
	s_cselect_b32 s3, s1, 0
	s_cselect_b32 s2, s0, 0
	s_xor_b64 s[8:9], s[22:23], -1
	s_or_b64 s[8:9], s[8:9], s[26:27]
	s_and_b64 vcc, exec, s[8:9]
	v_pk_mov_b32 v[4:5], s[2:3], s[2:3] op_sel:[0,1]
	s_cbranch_vccnz .LBB122_2
; %bb.1:
	v_pk_mov_b32 v[2:3], s[0:1], s[0:1] op_sel:[0,1]
	flat_load_dwordx2 v[4:5], v[2:3]
.LBB122_2:
	s_load_dwordx4 s[0:3], s[4:5], 0x78
                                        ; implicit-def: $vgpr29 : SGPR spill to VGPR lane
	s_bitcmp1_b32 s7, 8
	s_cselect_b64 s[20:21], -1, 0
	s_and_b64 s[28:29], s[20:21], exec
	s_cselect_b32 s29, s25, 0
	s_waitcnt lgkmcnt(0)
	v_writelane_b32 v29, s0, 0
	v_writelane_b32 v29, s1, 1
	;; [unrolled: 1-line block ×4, first 2 shown]
	s_load_dwordx8 s[44:51], s[4:5], 0x58
	s_load_dwordx4 s[0:3], s[4:5], 0x40
	s_load_dwordx4 s[16:19], s[4:5], 0x8
	s_load_dwordx8 s[8:15], s[4:5], 0x20
	s_cselect_b32 s28, s24, 0
	s_xor_b64 s[30:31], s[20:21], -1
	s_or_b64 s[26:27], s[30:31], s[26:27]
	s_and_b64 vcc, exec, s[26:27]
	v_pk_mov_b32 v[2:3], s[28:29], s[28:29] op_sel:[0,1]
	s_cbranch_vccnz .LBB122_4
; %bb.3:
	v_pk_mov_b32 v[2:3], s[24:25], s[24:25] op_sel:[0,1]
	flat_load_dwordx2 v[2:3], v[2:3]
.LBB122_4:
	s_load_dwordx2 s[76:77], s[4:5], 0x0
	v_or_b32_e32 v1, 0xfffffc00, v0
	v_mov_b32_e32 v6, 0
	v_lshl_add_u32 v19, v0, 3, 0
	s_mov_b64 s[4:5], 0
	s_waitcnt lgkmcnt(0)
	v_pk_mov_b32 v[8:9], s[76:77], s[76:77] op_sel:[0,1]
	v_mov_b32_e32 v7, v6
	s_movk_i32 s7, 0xbff
	v_mov_b32_e32 v10, v19
	v_mov_b32_e32 v11, v1
.LBB122_5:                              ; =>This Inner Loop Header: Depth=1
	v_add_u32_e32 v11, 0x400, v11
	v_cmp_lt_u32_e32 vcc, s7, v11
	ds_write2st64_b64 v10, v[8:9], v[6:7] offset1:64
	s_or_b64 s[4:5], vcc, s[4:5]
	v_add_u32_e32 v10, 0x2000, v10
	s_andn2_b64 exec, exec, s[4:5]
	s_cbranch_execnz .LBB122_5
; %bb.6:
	s_or_b64 exec, exec, s[4:5]
	s_waitcnt lgkmcnt(0)
	s_barrier
	s_load_dwordx2 s[4:5], s[16:17], 0x0
	s_mov_b32 s7, 0
	s_waitcnt lgkmcnt(0)
	s_lshl_b64 s[4:5], s[4:5], 3
	s_add_u32 s16, s18, s4
	s_addc_u32 s17, s19, s5
	s_lshl_b64 s[4:5], s[6:7], 3
	s_add_u32 s4, s16, s4
	s_addc_u32 s5, s17, s5
	s_load_dwordx2 s[52:53], s[4:5], 0x0
	s_and_b64 vcc, exec, s[22:23]
	s_cbranch_vccz .LBB122_26
; %bb.7:
	s_waitcnt lgkmcnt(0)
	s_lshl_b64 s[4:5], s[52:53], 3
	s_add_u32 s4, s8, s4
	s_addc_u32 s5, s9, s5
	s_load_dwordx4 s[16:19], s[4:5], 0x0
	v_lshrrev_b32_e32 v6, 6, v0
	v_subrev_co_u32_e32 v6, vcc, s40, v6
	v_subb_co_u32_e64 v7, s[8:9], 0, 0, vcc
	s_waitcnt lgkmcnt(0)
	s_sub_u32 s4, s18, s40
	v_mov_b32_e32 v8, s17
	v_add_co_u32_e32 v6, vcc, s16, v6
	s_subb_u32 s5, s19, 0
	v_addc_co_u32_e32 v7, vcc, v8, v7, vcc
	v_cmp_gt_i64_e32 vcc, s[4:5], v[6:7]
	s_and_saveexec_b64 s[8:9], vcc
	s_cbranch_execz .LBB122_25
; %bb.8:
	v_and_b32_e32 v8, 63, v0
	v_subrev_co_u32_e32 v22, vcc, s41, v8
	s_mov_b32 s6, 0
	v_subb_co_u32_e64 v23, s[16:17], 0, 0, vcc
	s_mov_b32 s33, s40
	s_mov_b32 s36, s41
	s_mov_b64 s[16:17], 0
	v_mov_b32_e32 v24, s11
	v_mov_b32_e32 v25, s7
	;; [unrolled: 1-line block ×4, first 2 shown]
	s_movk_i32 s11, 0x89
	s_branch .LBB122_10
.LBB122_9:                              ;   in Loop: Header=BB122_10 Depth=1
	s_or_b64 exec, exec, s[6:7]
	v_add_co_u32_e32 v6, vcc, 16, v6
	v_addc_co_u32_e32 v7, vcc, 0, v7, vcc
	v_cmp_le_i64_e32 vcc, s[4:5], v[6:7]
	s_or_b64 s[16:17], vcc, s[16:17]
	s_andn2_b64 exec, exec, s[16:17]
	s_cbranch_execz .LBB122_25
.LBB122_10:                             ; =>This Loop Header: Depth=1
                                        ;     Child Loop BB122_13 Depth 2
                                        ;       Child Loop BB122_15 Depth 3
	v_lshlrev_b64 v[12:13], 3, v[6:7]
	v_add_co_u32_e32 v8, vcc, s10, v12
	v_addc_co_u32_e32 v9, vcc, v24, v13, vcc
	global_load_dwordx2 v[8:9], v[8:9], off
	s_waitcnt vmcnt(0)
	v_subrev_co_u32_e32 v8, vcc, s33, v8
	v_subb_co_u32_e32 v9, vcc, v9, v25, vcc
	v_lshlrev_b64 v[8:9], 3, v[8:9]
	v_add_co_u32_e32 v8, vcc, s14, v8
	v_addc_co_u32_e32 v9, vcc, v26, v9, vcc
	global_load_dwordx4 v[14:17], v[8:9], off
	s_waitcnt vmcnt(0)
	v_subrev_co_u32_e32 v8, vcc, s36, v16
	v_subb_co_u32_e32 v9, vcc, v17, v27, vcc
	v_add_co_u32_e32 v10, vcc, v14, v22
	v_addc_co_u32_e32 v11, vcc, v15, v23, vcc
	v_cmp_lt_i64_e32 vcc, v[10:11], v[8:9]
	s_and_saveexec_b64 s[6:7], vcc
	s_cbranch_execz .LBB122_9
; %bb.11:                               ;   in Loop: Header=BB122_10 Depth=1
	v_mov_b32_e32 v14, s13
	v_add_co_u32_e32 v12, vcc, s12, v12
	v_addc_co_u32_e32 v13, vcc, v14, v13, vcc
	global_load_dwordx2 v[12:13], v[12:13], off
	s_mov_b64 s[18:19], 0
	s_waitcnt vmcnt(0)
	v_mul_f64 v[12:13], v[4:5], v[12:13]
	s_branch .LBB122_13
.LBB122_12:                             ;   in Loop: Header=BB122_13 Depth=2
	s_or_b64 exec, exec, s[22:23]
	v_add_co_u32_e32 v10, vcc, 64, v10
	v_addc_co_u32_e32 v11, vcc, 0, v11, vcc
	v_cmp_ge_i64_e32 vcc, v[10:11], v[8:9]
	s_or_b64 s[18:19], vcc, s[18:19]
	s_andn2_b64 exec, exec, s[18:19]
	s_cbranch_execz .LBB122_9
.LBB122_13:                             ;   Parent Loop BB122_10 Depth=1
                                        ; =>  This Loop Header: Depth=2
                                        ;       Child Loop BB122_15 Depth 3
	v_lshlrev_b64 v[14:15], 3, v[10:11]
	v_mov_b32_e32 v17, s1
	v_add_co_u32_e32 v16, vcc, s0, v14
	v_addc_co_u32_e32 v17, vcc, v17, v15, vcc
	global_load_dwordx2 v[16:17], v[16:17], off
	v_mov_b32_e32 v18, s3
	v_add_co_u32_e32 v14, vcc, s2, v14
	v_addc_co_u32_e32 v15, vcc, v18, v15, vcc
	global_load_dwordx2 v[20:21], v[14:15], off
	s_mov_b64 s[22:23], 0
	s_waitcnt vmcnt(1)
	v_subrev_co_u32_e32 v14, vcc, s36, v16
	v_mul_lo_u32 v18, v14, s11
	v_subb_co_u32_e32 v15, vcc, v17, v27, vcc
	v_and_b32_e32 v18, 0xfff, v18
	s_waitcnt vmcnt(0)
	v_mul_f64 v[16:17], v[12:13], v[20:21]
	s_branch .LBB122_15
.LBB122_14:                             ;   in Loop: Header=BB122_15 Depth=3
	s_or_b64 exec, exec, s[24:25]
	s_xor_b64 s[24:25], s[26:27], -1
	s_and_b64 s[24:25], exec, s[24:25]
	s_or_b64 s[22:23], s[24:25], s[22:23]
	s_andn2_b64 exec, exec, s[22:23]
	s_cbranch_execz .LBB122_12
.LBB122_15:                             ;   Parent Loop BB122_10 Depth=1
                                        ;     Parent Loop BB122_13 Depth=2
                                        ; =>    This Inner Loop Header: Depth=3
	v_lshl_add_u32 v28, v18, 3, 0
	ds_read_b64 v[20:21], v28
                                        ; implicit-def: $sgpr26_sgpr27
	s_waitcnt lgkmcnt(0)
	v_cmp_ne_u64_e32 vcc, v[20:21], v[14:15]
	s_and_saveexec_b64 s[24:25], vcc
	s_xor_b64 s[24:25], exec, s[24:25]
	s_cbranch_execz .LBB122_23
; %bb.16:                               ;   in Loop: Header=BB122_15 Depth=3
	v_cmp_ne_u64_e32 vcc, s[76:77], v[20:21]
                                        ; implicit-def: $sgpr26_sgpr27
	s_and_saveexec_b64 s[28:29], vcc
	s_xor_b64 s[28:29], exec, s[28:29]
; %bb.17:                               ;   in Loop: Header=BB122_15 Depth=3
	v_add_u32_e32 v18, 1, v18
	v_and_b32_e32 v18, 0xfff, v18
	s_mov_b64 s[26:27], -1
                                        ; implicit-def: $vgpr28
; %bb.18:                               ;   in Loop: Header=BB122_15 Depth=3
	s_andn2_saveexec_b64 s[28:29], s[28:29]
	s_cbranch_execz .LBB122_22
; %bb.19:                               ;   in Loop: Header=BB122_15 Depth=3
	v_pk_mov_b32 v[20:21], s[76:77], s[76:77] op_sel:[0,1]
	ds_cmpst_rtn_b64 v[20:21], v28, v[20:21], v[14:15]
	s_mov_b64 s[30:31], -1
	s_waitcnt lgkmcnt(0)
	v_cmp_eq_u64_e32 vcc, s[76:77], v[20:21]
	s_and_saveexec_b64 s[34:35], vcc
	s_cbranch_execz .LBB122_21
; %bb.20:                               ;   in Loop: Header=BB122_15 Depth=3
	ds_add_f64 v28, v[16:17] offset:32768
	s_xor_b64 s[30:31], exec, -1
.LBB122_21:                             ;   in Loop: Header=BB122_15 Depth=3
	s_or_b64 exec, exec, s[34:35]
	s_andn2_b64 s[26:27], s[26:27], exec
	s_and_b64 s[30:31], s[30:31], exec
	s_or_b64 s[26:27], s[26:27], s[30:31]
.LBB122_22:                             ;   in Loop: Header=BB122_15 Depth=3
	s_or_b64 exec, exec, s[28:29]
	s_and_b64 s[26:27], s[26:27], exec
                                        ; implicit-def: $vgpr28
.LBB122_23:                             ;   in Loop: Header=BB122_15 Depth=3
	s_andn2_saveexec_b64 s[24:25], s[24:25]
	s_cbranch_execz .LBB122_14
; %bb.24:                               ;   in Loop: Header=BB122_15 Depth=3
	ds_add_f64 v28, v[16:17] offset:32768
	s_andn2_b64 s[26:27], s[26:27], exec
	s_branch .LBB122_14
.LBB122_25:
	s_or_b64 exec, exec, s[8:9]
.LBB122_26:
	s_andn2_b64 vcc, exec, s[20:21]
	s_cbranch_vccnz .LBB122_43
; %bb.27:
	s_waitcnt lgkmcnt(0)
	s_lshl_b64 s[0:1], s[52:53], 3
	s_add_u32 s0, s44, s0
	s_addc_u32 s1, s45, s1
	s_load_dwordx4 s[8:11], s[0:1], 0x0
	s_waitcnt vmcnt(0)
	v_subrev_co_u32_e32 v4, vcc, s43, v0
	v_subb_co_u32_e64 v5, s[2:3], 0, 0, vcc
	s_waitcnt lgkmcnt(0)
	s_sub_u32 s0, s10, s43
	v_mov_b32_e32 v6, s9
	v_add_co_u32_e32 v4, vcc, s8, v4
	s_subb_u32 s1, s11, 0
	v_addc_co_u32_e32 v5, vcc, v6, v5, vcc
	s_mov_b32 s6, 0
	v_cmp_gt_i64_e32 vcc, s[0:1], v[4:5]
	s_and_saveexec_b64 s[2:3], vcc
	s_cbranch_execz .LBB122_42
; %bb.28:
	s_mov_b32 s18, s43
	s_mov_b64 s[4:5], 0
	v_mov_b32_e32 v11, s47
	v_mov_b32_e32 v14, s6
	;; [unrolled: 1-line block ×3, first 2 shown]
	s_movk_i32 s19, 0x89
	s_branch .LBB122_30
.LBB122_29:                             ;   in Loop: Header=BB122_30 Depth=1
	s_or_b64 exec, exec, s[6:7]
	v_add_co_u32_e32 v4, vcc, 0x400, v4
	v_addc_co_u32_e32 v5, vcc, 0, v5, vcc
	v_cmp_le_i64_e32 vcc, s[0:1], v[4:5]
	s_or_b64 s[4:5], vcc, s[4:5]
	s_andn2_b64 exec, exec, s[4:5]
	s_cbranch_execz .LBB122_42
.LBB122_30:                             ; =>This Loop Header: Depth=1
                                        ;     Child Loop BB122_32 Depth 2
	v_lshlrev_b64 v[6:7], 3, v[4:5]
	v_add_co_u32_e32 v8, vcc, s46, v6
	v_addc_co_u32_e32 v9, vcc, v11, v7, vcc
	global_load_dwordx2 v[8:9], v[8:9], off
	v_add_co_u32_e32 v6, vcc, s48, v6
	v_addc_co_u32_e32 v7, vcc, v15, v7, vcc
	global_load_dwordx2 v[12:13], v[6:7], off
	s_mov_b64 s[6:7], 0
	s_waitcnt vmcnt(1)
	v_subrev_co_u32_e32 v6, vcc, s18, v8
	v_mul_lo_u32 v10, v6, s19
	v_subb_co_u32_e32 v7, vcc, v9, v14, vcc
	s_waitcnt vmcnt(0)
	v_mul_f64 v[8:9], v[2:3], v[12:13]
	v_and_b32_e32 v10, 0xfff, v10
	s_branch .LBB122_32
.LBB122_31:                             ;   in Loop: Header=BB122_32 Depth=2
	s_or_b64 exec, exec, s[8:9]
	s_xor_b64 s[8:9], s[10:11], -1
	s_and_b64 s[8:9], exec, s[8:9]
	s_or_b64 s[6:7], s[8:9], s[6:7]
	s_andn2_b64 exec, exec, s[6:7]
	s_cbranch_execz .LBB122_29
.LBB122_32:                             ;   Parent Loop BB122_30 Depth=1
                                        ; =>  This Inner Loop Header: Depth=2
	v_lshl_add_u32 v16, v10, 3, 0
	ds_read_b64 v[12:13], v16
                                        ; implicit-def: $sgpr10_sgpr11
	s_waitcnt lgkmcnt(0)
	v_cmp_ne_u64_e32 vcc, v[12:13], v[6:7]
	s_and_saveexec_b64 s[8:9], vcc
	s_xor_b64 s[8:9], exec, s[8:9]
	s_cbranch_execz .LBB122_40
; %bb.33:                               ;   in Loop: Header=BB122_32 Depth=2
	v_cmp_ne_u64_e32 vcc, s[76:77], v[12:13]
                                        ; implicit-def: $sgpr10_sgpr11
	s_and_saveexec_b64 s[12:13], vcc
	s_xor_b64 s[12:13], exec, s[12:13]
; %bb.34:                               ;   in Loop: Header=BB122_32 Depth=2
	v_add_u32_e32 v10, 1, v10
	v_and_b32_e32 v10, 0xfff, v10
	s_mov_b64 s[10:11], -1
                                        ; implicit-def: $vgpr16
; %bb.35:                               ;   in Loop: Header=BB122_32 Depth=2
	s_andn2_saveexec_b64 s[12:13], s[12:13]
	s_cbranch_execz .LBB122_39
; %bb.36:                               ;   in Loop: Header=BB122_32 Depth=2
	v_pk_mov_b32 v[12:13], s[76:77], s[76:77] op_sel:[0,1]
	ds_cmpst_rtn_b64 v[12:13], v16, v[12:13], v[6:7]
	s_mov_b64 s[14:15], -1
	s_waitcnt lgkmcnt(0)
	v_cmp_eq_u64_e32 vcc, s[76:77], v[12:13]
	s_and_saveexec_b64 s[16:17], vcc
	s_cbranch_execz .LBB122_38
; %bb.37:                               ;   in Loop: Header=BB122_32 Depth=2
	ds_add_f64 v16, v[8:9] offset:32768
	s_xor_b64 s[14:15], exec, -1
.LBB122_38:                             ;   in Loop: Header=BB122_32 Depth=2
	s_or_b64 exec, exec, s[16:17]
	s_andn2_b64 s[10:11], s[10:11], exec
	s_and_b64 s[14:15], s[14:15], exec
	s_or_b64 s[10:11], s[10:11], s[14:15]
.LBB122_39:                             ;   in Loop: Header=BB122_32 Depth=2
	s_or_b64 exec, exec, s[12:13]
	s_and_b64 s[10:11], s[10:11], exec
                                        ; implicit-def: $vgpr16
.LBB122_40:                             ;   in Loop: Header=BB122_32 Depth=2
	s_andn2_saveexec_b64 s[8:9], s[8:9]
	s_cbranch_execz .LBB122_31
; %bb.41:                               ;   in Loop: Header=BB122_32 Depth=2
	ds_add_f64 v16, v[8:9] offset:32768
	s_andn2_b64 s[10:11], s[10:11], exec
	s_branch .LBB122_31
.LBB122_42:
	s_or_b64 exec, exec, s[2:3]
.LBB122_43:
	s_waitcnt lgkmcnt(0)
	v_writelane_b32 v29, s52, 4
	v_writelane_b32 v29, s53, 5
	;; [unrolled: 1-line block ×10, first 2 shown]
	s_movk_i32 s33, 0x25f
	v_writelane_b32 v29, s40, 14
	v_cmp_lt_u32_e64 s[34:35], s33, v0
	s_movk_i32 s33, 0x27f
	v_writelane_b32 v29, s41, 15
	v_cmp_lt_u32_e64 s[36:37], s33, v0
	;; [unrolled: 3-line block ×4, first 2 shown]
	s_movk_i32 s33, 0x2df
	v_cmp_lt_u32_e64 s[42:43], s33, v0
	s_movk_i32 s33, 0x2ff
	v_cmp_lt_u32_e64 s[44:45], s33, v0
	s_movk_i32 s33, 0x31f
	v_cmp_lt_u32_e64 s[46:47], s33, v0
	s_movk_i32 s33, 0x33f
	v_cmp_lt_u32_e64 s[48:49], s33, v0
	s_movk_i32 s33, 0x35f
	v_cmp_lt_u32_e64 s[50:51], s33, v0
	s_movk_i32 s33, 0x37f
	v_cmp_lt_u32_e64 s[52:53], s33, v0
	s_movk_i32 s33, 0x39f
	v_cmp_lt_u32_e64 s[54:55], s33, v0
	s_movk_i32 s33, 0x3bf
	s_add_i32 s0, 0, 0x10000
	v_cmp_lt_u32_e64 s[56:57], s33, v0
	s_movk_i32 s33, 0x3df
	v_writelane_b32 v29, s0, 18
	v_cmp_lt_u32_e64 s[58:59], s33, v0
	s_add_i32 s33, 0, 0x10008
	v_writelane_b32 v29, s33, 19
	s_add_i32 s33, 0, 0x10010
	s_waitcnt vmcnt(0)
	v_mbcnt_lo_u32_b32 v2, -1, 0
	v_writelane_b32 v29, s33, 20
	s_add_i32 s33, 0, 0x10018
	v_mbcnt_hi_u32_b32 v2, -1, v2
	v_writelane_b32 v29, s33, 21
	s_add_i32 s33, 0, 0x10020
	v_sub_u32_e32 v2, 63, v2
	v_writelane_b32 v29, s33, 22
	s_add_i32 s33, 0, 0x10028
	v_lshrrev_b64 v[8:9], v2, -1
	v_lshrrev_b32_e32 v2, 2, v0
	v_writelane_b32 v29, s33, 23
	s_add_i32 s33, 0, 0x10030
	v_and_b32_e32 v2, 0xf8, v2
	v_writelane_b32 v29, s33, 24
	s_add_i32 s33, 0, 0x10038
	v_add_u32_e32 v14, s0, v2
	s_movk_i32 s0, 0x3ff
	v_writelane_b32 v29, s33, 25
	s_add_i32 s33, 0, 0x10040
	v_cmp_eq_u32_e32 vcc, s0, v0
	s_movk_i32 s0, 0x5f
	s_movk_i32 s2, 0x7f
	;; [unrolled: 1-line block ×16, first 2 shown]
	v_writelane_b32 v29, s33, 26
	s_add_i32 s33, 0, 0x10048
	v_mov_b32_e32 v7, 0
	v_cmp_lt_u32_e64 s[0:1], s0, v0
	v_cmp_lt_u32_e64 s[2:3], s2, v0
	;; [unrolled: 1-line block ×16, first 2 shown]
	v_pk_mov_b32 v[10:11], 0, 0
	v_writelane_b32 v29, s33, 27
	s_add_i32 s90, 0, 0x10050
	s_add_i32 s91, 0, 0x10058
	;; [unrolled: 1-line block ×22, first 2 shown]
	s_movk_i32 s87, 0xbff
	v_cmp_lt_u32_e64 s[60:61], 31, v0
	v_cmp_lt_u32_e64 s[62:63], 63, v0
	s_mov_b64 s[68:69], 0
	s_barrier
	s_branch .LBB122_45
.LBB122_44:                             ;   in Loop: Header=BB122_45 Depth=1
	s_or_b64 exec, exec, s[64:65]
	v_mov_b32_e32 v2, s86
	s_waitcnt lgkmcnt(0)
	s_barrier
	ds_read_b64 v[2:3], v2
	v_add_u32_e32 v1, 0x400, v1
	v_add_u32_e32 v19, 0x2000, v19
	s_waitcnt lgkmcnt(0)
	v_add_co_u32_e64 v10, s[64:65], v2, v10
	v_addc_co_u32_e64 v11, s[64:65], v3, v11, s[64:65]
	v_cmp_lt_u32_e64 s[64:65], s87, v1
	s_or_b64 s[68:69], s[64:65], s[68:69]
	s_andn2_b64 exec, exec, s[68:69]
	s_cbranch_execz .LBB122_111
.LBB122_45:                             ; =>This Inner Loop Header: Depth=1
	ds_read2st64_b64 v[2:5], v19 offset1:64
	s_waitcnt lgkmcnt(0)
	s_barrier
	v_cmp_gt_i64_e64 s[64:65], s[76:77], v[2:3]
	v_and_b32_e32 v13, s64, v8
	s_bcnt1_i32_b64 s80, s[64:65]
	v_and_b32_e32 v12, s65, v9
	v_bcnt_u32_b32 v13, v13, 0
	v_mov_b32_e32 v6, s80
	v_bcnt_u32_b32 v12, v12, v13
	ds_write_b64 v14, v[6:7]
	s_waitcnt lgkmcnt(0)
	s_barrier
	s_and_saveexec_b64 s[80:81], s[60:61]
	s_cbranch_execnz .LBB122_78
; %bb.46:                               ;   in Loop: Header=BB122_45 Depth=1
	s_or_b64 exec, exec, s[80:81]
	s_and_saveexec_b64 s[80:81], s[62:63]
	s_cbranch_execnz .LBB122_79
.LBB122_47:                             ;   in Loop: Header=BB122_45 Depth=1
	s_or_b64 exec, exec, s[80:81]
	s_and_saveexec_b64 s[80:81], s[0:1]
	s_cbranch_execnz .LBB122_80
.LBB122_48:                             ;   in Loop: Header=BB122_45 Depth=1
	s_or_b64 exec, exec, s[80:81]
	s_and_saveexec_b64 s[80:81], s[2:3]
	s_cbranch_execnz .LBB122_81
.LBB122_49:                             ;   in Loop: Header=BB122_45 Depth=1
	s_or_b64 exec, exec, s[80:81]
	s_and_saveexec_b64 s[80:81], s[4:5]
	s_cbranch_execnz .LBB122_82
.LBB122_50:                             ;   in Loop: Header=BB122_45 Depth=1
	s_or_b64 exec, exec, s[80:81]
	s_and_saveexec_b64 s[80:81], s[6:7]
	s_cbranch_execnz .LBB122_83
.LBB122_51:                             ;   in Loop: Header=BB122_45 Depth=1
	s_or_b64 exec, exec, s[80:81]
	s_and_saveexec_b64 s[80:81], s[8:9]
	s_cbranch_execnz .LBB122_84
.LBB122_52:                             ;   in Loop: Header=BB122_45 Depth=1
	s_or_b64 exec, exec, s[80:81]
	s_and_saveexec_b64 s[80:81], s[10:11]
	s_cbranch_execnz .LBB122_85
.LBB122_53:                             ;   in Loop: Header=BB122_45 Depth=1
	s_or_b64 exec, exec, s[80:81]
	s_and_saveexec_b64 s[80:81], s[12:13]
	s_cbranch_execnz .LBB122_86
.LBB122_54:                             ;   in Loop: Header=BB122_45 Depth=1
	s_or_b64 exec, exec, s[80:81]
	s_and_saveexec_b64 s[80:81], s[14:15]
	s_cbranch_execnz .LBB122_87
.LBB122_55:                             ;   in Loop: Header=BB122_45 Depth=1
	s_or_b64 exec, exec, s[80:81]
	s_and_saveexec_b64 s[80:81], s[16:17]
	s_cbranch_execnz .LBB122_88
.LBB122_56:                             ;   in Loop: Header=BB122_45 Depth=1
	s_or_b64 exec, exec, s[80:81]
	s_and_saveexec_b64 s[80:81], s[18:19]
	s_cbranch_execnz .LBB122_89
.LBB122_57:                             ;   in Loop: Header=BB122_45 Depth=1
	s_or_b64 exec, exec, s[80:81]
	s_and_saveexec_b64 s[80:81], s[20:21]
	s_cbranch_execnz .LBB122_90
.LBB122_58:                             ;   in Loop: Header=BB122_45 Depth=1
	s_or_b64 exec, exec, s[80:81]
	s_and_saveexec_b64 s[80:81], s[22:23]
	s_cbranch_execnz .LBB122_91
.LBB122_59:                             ;   in Loop: Header=BB122_45 Depth=1
	s_or_b64 exec, exec, s[80:81]
	s_and_saveexec_b64 s[80:81], s[24:25]
	s_cbranch_execnz .LBB122_92
.LBB122_60:                             ;   in Loop: Header=BB122_45 Depth=1
	s_or_b64 exec, exec, s[80:81]
	s_and_saveexec_b64 s[80:81], s[26:27]
	s_cbranch_execnz .LBB122_93
.LBB122_61:                             ;   in Loop: Header=BB122_45 Depth=1
	s_or_b64 exec, exec, s[80:81]
	s_and_saveexec_b64 s[80:81], s[28:29]
	s_cbranch_execnz .LBB122_94
.LBB122_62:                             ;   in Loop: Header=BB122_45 Depth=1
	s_or_b64 exec, exec, s[80:81]
	s_and_saveexec_b64 s[80:81], s[30:31]
	s_cbranch_execnz .LBB122_95
.LBB122_63:                             ;   in Loop: Header=BB122_45 Depth=1
	s_or_b64 exec, exec, s[80:81]
	s_and_saveexec_b64 s[80:81], s[34:35]
	s_cbranch_execnz .LBB122_96
.LBB122_64:                             ;   in Loop: Header=BB122_45 Depth=1
	s_or_b64 exec, exec, s[80:81]
	s_and_saveexec_b64 s[80:81], s[36:37]
	s_cbranch_execnz .LBB122_97
.LBB122_65:                             ;   in Loop: Header=BB122_45 Depth=1
	s_or_b64 exec, exec, s[80:81]
	s_and_saveexec_b64 s[80:81], s[38:39]
	s_cbranch_execnz .LBB122_98
.LBB122_66:                             ;   in Loop: Header=BB122_45 Depth=1
	s_or_b64 exec, exec, s[80:81]
	s_and_saveexec_b64 s[80:81], s[40:41]
	s_cbranch_execnz .LBB122_99
.LBB122_67:                             ;   in Loop: Header=BB122_45 Depth=1
	s_or_b64 exec, exec, s[80:81]
	s_and_saveexec_b64 s[80:81], s[42:43]
	s_cbranch_execnz .LBB122_100
.LBB122_68:                             ;   in Loop: Header=BB122_45 Depth=1
	s_or_b64 exec, exec, s[80:81]
	s_and_saveexec_b64 s[80:81], s[44:45]
	s_cbranch_execnz .LBB122_101
.LBB122_69:                             ;   in Loop: Header=BB122_45 Depth=1
	s_or_b64 exec, exec, s[80:81]
	s_and_saveexec_b64 s[80:81], s[46:47]
	s_cbranch_execnz .LBB122_102
.LBB122_70:                             ;   in Loop: Header=BB122_45 Depth=1
	s_or_b64 exec, exec, s[80:81]
	s_and_saveexec_b64 s[80:81], s[48:49]
	s_cbranch_execnz .LBB122_103
.LBB122_71:                             ;   in Loop: Header=BB122_45 Depth=1
	s_or_b64 exec, exec, s[80:81]
	s_and_saveexec_b64 s[80:81], s[50:51]
	s_cbranch_execnz .LBB122_104
.LBB122_72:                             ;   in Loop: Header=BB122_45 Depth=1
	s_or_b64 exec, exec, s[80:81]
	s_and_saveexec_b64 s[80:81], s[52:53]
	s_cbranch_execnz .LBB122_105
.LBB122_73:                             ;   in Loop: Header=BB122_45 Depth=1
	s_or_b64 exec, exec, s[80:81]
	s_and_saveexec_b64 s[80:81], s[54:55]
	s_cbranch_execnz .LBB122_106
.LBB122_74:                             ;   in Loop: Header=BB122_45 Depth=1
	s_or_b64 exec, exec, s[80:81]
	s_and_saveexec_b64 s[80:81], s[56:57]
	s_cbranch_execnz .LBB122_107
.LBB122_75:                             ;   in Loop: Header=BB122_45 Depth=1
	s_or_b64 exec, exec, s[80:81]
	s_and_saveexec_b64 s[80:81], s[58:59]
	s_cbranch_execnz .LBB122_108
.LBB122_76:                             ;   in Loop: Header=BB122_45 Depth=1
	s_or_b64 exec, exec, s[80:81]
	v_ashrrev_i32_e32 v13, 31, v12
	s_and_saveexec_b64 s[80:81], s[64:65]
	s_cbranch_execnz .LBB122_109
.LBB122_77:                             ;   in Loop: Header=BB122_45 Depth=1
	s_or_b64 exec, exec, s[80:81]
	s_and_saveexec_b64 s[64:65], vcc
	s_cbranch_execz .LBB122_44
	s_branch .LBB122_110
.LBB122_78:                             ;   in Loop: Header=BB122_45 Depth=1
	v_readlane_b32 s88, v29, 18
	v_mov_b32_e32 v6, s88
	ds_read_b32 v6, v6
	s_waitcnt lgkmcnt(0)
	v_add_u32_e32 v12, v6, v12
	s_or_b64 exec, exec, s[80:81]
	s_and_saveexec_b64 s[80:81], s[62:63]
	s_cbranch_execz .LBB122_47
.LBB122_79:                             ;   in Loop: Header=BB122_45 Depth=1
	v_readlane_b32 s88, v29, 19
	v_mov_b32_e32 v6, s88
	ds_read_b32 v6, v6
	s_waitcnt lgkmcnt(0)
	v_add_u32_e32 v12, v12, v6
	s_or_b64 exec, exec, s[80:81]
	s_and_saveexec_b64 s[80:81], s[0:1]
	s_cbranch_execz .LBB122_48
.LBB122_80:                             ;   in Loop: Header=BB122_45 Depth=1
	v_readlane_b32 s88, v29, 20
	v_mov_b32_e32 v6, s88
	ds_read_b32 v6, v6
	s_waitcnt lgkmcnt(0)
	v_add_u32_e32 v12, v12, v6
	s_or_b64 exec, exec, s[80:81]
	s_and_saveexec_b64 s[80:81], s[2:3]
	s_cbranch_execz .LBB122_49
.LBB122_81:                             ;   in Loop: Header=BB122_45 Depth=1
	v_readlane_b32 s88, v29, 21
	v_mov_b32_e32 v6, s88
	ds_read_b32 v6, v6
	s_waitcnt lgkmcnt(0)
	v_add_u32_e32 v12, v12, v6
	s_or_b64 exec, exec, s[80:81]
	s_and_saveexec_b64 s[80:81], s[4:5]
	s_cbranch_execz .LBB122_50
.LBB122_82:                             ;   in Loop: Header=BB122_45 Depth=1
	v_readlane_b32 s88, v29, 22
	v_mov_b32_e32 v6, s88
	ds_read_b32 v6, v6
	s_waitcnt lgkmcnt(0)
	v_add_u32_e32 v12, v12, v6
	s_or_b64 exec, exec, s[80:81]
	s_and_saveexec_b64 s[80:81], s[6:7]
	s_cbranch_execz .LBB122_51
.LBB122_83:                             ;   in Loop: Header=BB122_45 Depth=1
	v_readlane_b32 s88, v29, 23
	v_mov_b32_e32 v6, s88
	ds_read_b32 v6, v6
	s_waitcnt lgkmcnt(0)
	v_add_u32_e32 v12, v12, v6
	s_or_b64 exec, exec, s[80:81]
	s_and_saveexec_b64 s[80:81], s[8:9]
	s_cbranch_execz .LBB122_52
.LBB122_84:                             ;   in Loop: Header=BB122_45 Depth=1
	v_readlane_b32 s88, v29, 24
	v_mov_b32_e32 v6, s88
	ds_read_b32 v6, v6
	s_waitcnt lgkmcnt(0)
	v_add_u32_e32 v12, v12, v6
	s_or_b64 exec, exec, s[80:81]
	s_and_saveexec_b64 s[80:81], s[10:11]
	s_cbranch_execz .LBB122_53
.LBB122_85:                             ;   in Loop: Header=BB122_45 Depth=1
	v_readlane_b32 s88, v29, 25
	v_mov_b32_e32 v6, s88
	ds_read_b32 v6, v6
	s_waitcnt lgkmcnt(0)
	v_add_u32_e32 v12, v12, v6
	s_or_b64 exec, exec, s[80:81]
	s_and_saveexec_b64 s[80:81], s[12:13]
	s_cbranch_execz .LBB122_54
.LBB122_86:                             ;   in Loop: Header=BB122_45 Depth=1
	v_readlane_b32 s88, v29, 26
	v_mov_b32_e32 v6, s88
	ds_read_b32 v6, v6
	s_waitcnt lgkmcnt(0)
	v_add_u32_e32 v12, v12, v6
	s_or_b64 exec, exec, s[80:81]
	s_and_saveexec_b64 s[80:81], s[14:15]
	s_cbranch_execz .LBB122_55
.LBB122_87:                             ;   in Loop: Header=BB122_45 Depth=1
	v_readlane_b32 s88, v29, 27
	v_mov_b32_e32 v6, s88
	ds_read_b32 v6, v6
	s_waitcnt lgkmcnt(0)
	v_add_u32_e32 v12, v12, v6
	s_or_b64 exec, exec, s[80:81]
	s_and_saveexec_b64 s[80:81], s[16:17]
	s_cbranch_execz .LBB122_56
.LBB122_88:                             ;   in Loop: Header=BB122_45 Depth=1
	v_mov_b32_e32 v6, s90
	ds_read_b32 v6, v6
	s_waitcnt lgkmcnt(0)
	v_add_u32_e32 v12, v12, v6
	s_or_b64 exec, exec, s[80:81]
	s_and_saveexec_b64 s[80:81], s[18:19]
	s_cbranch_execz .LBB122_57
.LBB122_89:                             ;   in Loop: Header=BB122_45 Depth=1
	v_mov_b32_e32 v6, s91
	ds_read_b32 v6, v6
	s_waitcnt lgkmcnt(0)
	v_add_u32_e32 v12, v12, v6
	s_or_b64 exec, exec, s[80:81]
	s_and_saveexec_b64 s[80:81], s[20:21]
	s_cbranch_execz .LBB122_58
.LBB122_90:                             ;   in Loop: Header=BB122_45 Depth=1
	v_mov_b32_e32 v6, s92
	ds_read_b32 v6, v6
	s_waitcnt lgkmcnt(0)
	v_add_u32_e32 v12, v12, v6
	s_or_b64 exec, exec, s[80:81]
	s_and_saveexec_b64 s[80:81], s[22:23]
	s_cbranch_execz .LBB122_59
.LBB122_91:                             ;   in Loop: Header=BB122_45 Depth=1
	v_mov_b32_e32 v6, s93
	ds_read_b32 v6, v6
	s_waitcnt lgkmcnt(0)
	v_add_u32_e32 v12, v12, v6
	s_or_b64 exec, exec, s[80:81]
	s_and_saveexec_b64 s[80:81], s[24:25]
	s_cbranch_execz .LBB122_60
.LBB122_92:                             ;   in Loop: Header=BB122_45 Depth=1
	v_mov_b32_e32 v6, s94
	ds_read_b32 v6, v6
	s_waitcnt lgkmcnt(0)
	v_add_u32_e32 v12, v12, v6
	s_or_b64 exec, exec, s[80:81]
	s_and_saveexec_b64 s[80:81], s[26:27]
	s_cbranch_execz .LBB122_61
.LBB122_93:                             ;   in Loop: Header=BB122_45 Depth=1
	v_mov_b32_e32 v6, s95
	ds_read_b32 v6, v6
	s_waitcnt lgkmcnt(0)
	v_add_u32_e32 v12, v12, v6
	s_or_b64 exec, exec, s[80:81]
	s_and_saveexec_b64 s[80:81], s[28:29]
	s_cbranch_execz .LBB122_62
.LBB122_94:                             ;   in Loop: Header=BB122_45 Depth=1
	v_mov_b32_e32 v6, s78
	ds_read_b32 v6, v6
	s_waitcnt lgkmcnt(0)
	v_add_u32_e32 v12, v12, v6
	s_or_b64 exec, exec, s[80:81]
	s_and_saveexec_b64 s[80:81], s[30:31]
	s_cbranch_execz .LBB122_63
.LBB122_95:                             ;   in Loop: Header=BB122_45 Depth=1
	v_mov_b32_e32 v6, s79
	ds_read_b32 v6, v6
	s_waitcnt lgkmcnt(0)
	v_add_u32_e32 v12, v12, v6
	s_or_b64 exec, exec, s[80:81]
	s_and_saveexec_b64 s[80:81], s[34:35]
	s_cbranch_execz .LBB122_64
.LBB122_96:                             ;   in Loop: Header=BB122_45 Depth=1
	v_mov_b32_e32 v6, s70
	ds_read_b32 v6, v6
	s_waitcnt lgkmcnt(0)
	v_add_u32_e32 v12, v12, v6
	s_or_b64 exec, exec, s[80:81]
	s_and_saveexec_b64 s[80:81], s[36:37]
	s_cbranch_execz .LBB122_65
.LBB122_97:                             ;   in Loop: Header=BB122_45 Depth=1
	v_mov_b32_e32 v6, s66
	ds_read_b32 v6, v6
	s_waitcnt lgkmcnt(0)
	v_add_u32_e32 v12, v12, v6
	s_or_b64 exec, exec, s[80:81]
	s_and_saveexec_b64 s[80:81], s[38:39]
	s_cbranch_execz .LBB122_66
.LBB122_98:                             ;   in Loop: Header=BB122_45 Depth=1
	v_mov_b32_e32 v6, s67
	ds_read_b32 v6, v6
	s_waitcnt lgkmcnt(0)
	v_add_u32_e32 v12, v12, v6
	s_or_b64 exec, exec, s[80:81]
	s_and_saveexec_b64 s[80:81], s[40:41]
	s_cbranch_execz .LBB122_67
.LBB122_99:                             ;   in Loop: Header=BB122_45 Depth=1
	v_mov_b32_e32 v6, s72
	ds_read_b32 v6, v6
	s_waitcnt lgkmcnt(0)
	v_add_u32_e32 v12, v12, v6
	s_or_b64 exec, exec, s[80:81]
	s_and_saveexec_b64 s[80:81], s[42:43]
	s_cbranch_execz .LBB122_68
.LBB122_100:                            ;   in Loop: Header=BB122_45 Depth=1
	v_mov_b32_e32 v6, s73
	ds_read_b32 v6, v6
	s_waitcnt lgkmcnt(0)
	v_add_u32_e32 v12, v12, v6
	s_or_b64 exec, exec, s[80:81]
	s_and_saveexec_b64 s[80:81], s[44:45]
	s_cbranch_execz .LBB122_69
.LBB122_101:                            ;   in Loop: Header=BB122_45 Depth=1
	v_mov_b32_e32 v6, s74
	ds_read_b32 v6, v6
	s_waitcnt lgkmcnt(0)
	v_add_u32_e32 v12, v12, v6
	s_or_b64 exec, exec, s[80:81]
	s_and_saveexec_b64 s[80:81], s[46:47]
	s_cbranch_execz .LBB122_70
.LBB122_102:                            ;   in Loop: Header=BB122_45 Depth=1
	v_mov_b32_e32 v6, s75
	ds_read_b32 v6, v6
	s_waitcnt lgkmcnt(0)
	v_add_u32_e32 v12, v12, v6
	s_or_b64 exec, exec, s[80:81]
	s_and_saveexec_b64 s[80:81], s[48:49]
	s_cbranch_execz .LBB122_71
.LBB122_103:                            ;   in Loop: Header=BB122_45 Depth=1
	v_mov_b32_e32 v6, s33
	ds_read_b32 v6, v6
	s_waitcnt lgkmcnt(0)
	v_add_u32_e32 v12, v12, v6
	s_or_b64 exec, exec, s[80:81]
	s_and_saveexec_b64 s[80:81], s[50:51]
	s_cbranch_execz .LBB122_72
.LBB122_104:                            ;   in Loop: Header=BB122_45 Depth=1
	v_mov_b32_e32 v6, s71
	ds_read_b32 v6, v6
	s_waitcnt lgkmcnt(0)
	v_add_u32_e32 v12, v12, v6
	s_or_b64 exec, exec, s[80:81]
	s_and_saveexec_b64 s[80:81], s[52:53]
	s_cbranch_execz .LBB122_73
.LBB122_105:                            ;   in Loop: Header=BB122_45 Depth=1
	v_mov_b32_e32 v6, s82
	ds_read_b32 v6, v6
	s_waitcnt lgkmcnt(0)
	v_add_u32_e32 v12, v12, v6
	s_or_b64 exec, exec, s[80:81]
	s_and_saveexec_b64 s[80:81], s[54:55]
	s_cbranch_execz .LBB122_74
.LBB122_106:                            ;   in Loop: Header=BB122_45 Depth=1
	v_mov_b32_e32 v6, s83
	ds_read_b32 v6, v6
	s_waitcnt lgkmcnt(0)
	v_add_u32_e32 v12, v12, v6
	s_or_b64 exec, exec, s[80:81]
	s_and_saveexec_b64 s[80:81], s[56:57]
	s_cbranch_execz .LBB122_75
.LBB122_107:                            ;   in Loop: Header=BB122_45 Depth=1
	v_mov_b32_e32 v6, s84
	ds_read_b32 v6, v6
	s_waitcnt lgkmcnt(0)
	v_add_u32_e32 v12, v12, v6
	s_or_b64 exec, exec, s[80:81]
	s_and_saveexec_b64 s[80:81], s[58:59]
	s_cbranch_execz .LBB122_76
.LBB122_108:                            ;   in Loop: Header=BB122_45 Depth=1
	v_mov_b32_e32 v6, s85
	ds_read_b32 v6, v6
	s_waitcnt lgkmcnt(0)
	v_add_u32_e32 v12, v12, v6
	s_or_b64 exec, exec, s[80:81]
	v_ashrrev_i32_e32 v13, 31, v12
	s_and_saveexec_b64 s[80:81], s[64:65]
	s_cbranch_execz .LBB122_77
.LBB122_109:                            ;   in Loop: Header=BB122_45 Depth=1
	v_add3_u32 v6, v10, -1, v12
	v_lshl_add_u32 v6, v6, 3, 0
	ds_write2st64_b64 v6, v[2:3], v[4:5] offset1:64
	s_or_b64 exec, exec, s[80:81]
	s_and_saveexec_b64 s[64:65], vcc
	s_cbranch_execz .LBB122_44
.LBB122_110:                            ;   in Loop: Header=BB122_45 Depth=1
	v_mov_b32_e32 v2, s86
	ds_write_b64 v2, v[12:13]
	s_branch .LBB122_44
.LBB122_111:
	s_or_b64 exec, exec, s[68:69]
	v_readlane_b32 s0, v29, 4
	v_readlane_b32 s4, v29, 6
	v_readlane_b32 s1, v29, 5
	v_readlane_b32 s6, v29, 8
	v_readlane_b32 s7, v29, 9
	v_readlane_b32 s10, v29, 12
	v_readlane_b32 s11, v29, 13
	s_lshl_b64 s[0:1], s[0:1], 3
	s_mov_b64 s[6:7], s[10:11]
	s_add_u32 s0, s6, s0
	s_addc_u32 s1, s7, s1
	s_load_dwordx4 s[0:3], s[0:1], 0x0
	v_readlane_b32 s5, v29, 7
	v_mov_b32_e32 v1, 0
	v_readlane_b32 s8, v29, 10
	v_readlane_b32 s9, v29, 11
	s_waitcnt lgkmcnt(0)
	s_sub_u32 s4, s2, s0
	s_subb_u32 s5, s3, s1
	v_cmp_gt_i64_e32 vcc, s[4:5], v[0:1]
	s_and_saveexec_b64 s[6:7], vcc
	v_readlane_b32 s16, v29, 14
	v_readlane_b32 s18, v29, 16
	v_readlane_b32 s17, v29, 15
	v_readlane_b32 s19, v29, 17
	s_cbranch_execz .LBB122_121
; %bb.112:
	s_sub_u32 s6, s0, s18
	s_subb_u32 s7, s1, 0
	s_and_b32 s8, s4, 7
	s_sub_u32 s0, s0, s2
	s_mov_b32 s16, 0
	s_subb_u32 s1, s1, s3
	s_mov_b32 s9, s16
	s_and_b32 s2, s4, -8
	v_cmp_lt_u64_e64 s[0:1], s[0:1], -7
	s_cmp_lg_u64 s[8:9], 0
	v_cndmask_b32_e64 v2, 0, 1, s[0:1]
	s_mov_b32 s3, s5
	s_mov_b64 s[10:11], 0
	s_cselect_b64 s[12:13], -1, 0
	v_cmp_ne_u32_e64 s[0:1], 1, v2
	s_branch .LBB122_114
.LBB122_113:                            ;   in Loop: Header=BB122_114 Depth=1
	v_mov_b32_e32 v8, s16
	s_waitcnt lgkmcnt(0)
	v_add_co_u32_e32 v2, vcc, s18, v2
	v_readlane_b32 s20, v29, 0
	v_addc_co_u32_e32 v3, vcc, v3, v8, vcc
	v_lshlrev_b64 v[6:7], 3, v[6:7]
	v_readlane_b32 s21, v29, 1
	v_mov_b32_e32 v9, s21
	v_add_co_u32_e32 v8, vcc, s20, v6
	v_readlane_b32 s22, v29, 2
	v_readlane_b32 s23, v29, 3
	v_addc_co_u32_e32 v9, vcc, v9, v7, vcc
	global_store_dwordx2 v[8:9], v[2:3], off
	v_mov_b32_e32 v3, s23
	v_add_co_u32_e32 v2, vcc, s22, v6
	v_addc_co_u32_e32 v3, vcc, v3, v7, vcc
	v_add_co_u32_e32 v0, vcc, 0x400, v0
	v_addc_co_u32_e32 v1, vcc, 0, v1, vcc
	v_cmp_le_i64_e32 vcc, s[4:5], v[0:1]
	s_or_b64 s[10:11], vcc, s[10:11]
	global_store_dwordx2 v[2:3], v[4:5], off
	s_andn2_b64 exec, exec, s[10:11]
	s_cbranch_execz .LBB122_121
.LBB122_114:                            ; =>This Loop Header: Depth=1
                                        ;     Child Loop BB122_116 Depth 2
                                        ;     Child Loop BB122_120 Depth 2
	v_lshl_add_u32 v2, v0, 3, 0
	ds_read2st64_b64 v[2:5], v2 offset1:64
	s_and_b64 vcc, exec, s[0:1]
	v_pk_mov_b32 v[6:7], s[6:7], s[6:7] op_sel:[0,1]
	s_mov_b64 s[14:15], 0
	s_cbranch_vccnz .LBB122_118
; %bb.115:                              ;   in Loop: Header=BB122_114 Depth=1
	s_mov_b32 s17, 0
	v_pk_mov_b32 v[6:7], s[6:7], s[6:7] op_sel:[0,1]
.LBB122_116:                            ;   Parent Loop BB122_114 Depth=1
                                        ; =>  This Inner Loop Header: Depth=2
	v_mov_b32_e32 v20, s17
	ds_read2_b64 v[8:11], v20 offset1:1
	ds_read2_b64 v[12:15], v20 offset0:2 offset1:3
	ds_read2_b64 v[16:19], v20 offset0:4 offset1:5
	;; [unrolled: 1-line block ×3, first 2 shown]
	s_add_u32 s14, s14, 8
	s_waitcnt lgkmcnt(3)
	v_cmp_gt_i64_e32 vcc, v[2:3], v[8:9]
	v_cndmask_b32_e64 v8, 0, 1, vcc
	v_cmp_gt_i64_e32 vcc, v[2:3], v[10:11]
	v_cndmask_b32_e64 v9, 0, 1, vcc
	s_waitcnt lgkmcnt(2)
	v_cmp_gt_i64_e32 vcc, v[2:3], v[12:13]
	v_cndmask_b32_e64 v10, 0, 1, vcc
	v_cmp_gt_i64_e32 vcc, v[2:3], v[14:15]
	v_cndmask_b32_e64 v11, 0, 1, vcc
	;; [unrolled: 5-line block ×4, first 2 shown]
	v_add_co_u32_e32 v6, vcc, v6, v8
	v_addc_co_u32_e32 v7, vcc, 0, v7, vcc
	v_add_co_u32_e32 v6, vcc, v6, v9
	v_addc_co_u32_e32 v7, vcc, 0, v7, vcc
	;; [unrolled: 2-line block ×7, first 2 shown]
	s_addc_u32 s15, s15, 0
	s_add_i32 s17, s17, 64
	v_add_co_u32_e32 v6, vcc, v6, v15
	s_cmp_eq_u64 s[2:3], s[14:15]
	v_addc_co_u32_e32 v7, vcc, 0, v7, vcc
	s_cbranch_scc0 .LBB122_116
; %bb.117:                              ;   in Loop: Header=BB122_114 Depth=1
	s_mov_b64 s[14:15], s[2:3]
.LBB122_118:                            ;   in Loop: Header=BB122_114 Depth=1
	s_andn2_b64 vcc, exec, s[12:13]
	s_cbranch_vccnz .LBB122_113
; %bb.119:                              ;   in Loop: Header=BB122_114 Depth=1
	s_lshl_b32 s14, s14, 3
	s_add_i32 s17, s14, 0
	s_mov_b64 s[14:15], s[8:9]
.LBB122_120:                            ;   Parent Loop BB122_114 Depth=1
                                        ; =>  This Inner Loop Header: Depth=2
	v_mov_b32_e32 v8, s17
	ds_read_b64 v[8:9], v8
	s_add_i32 s17, s17, 8
	s_add_u32 s14, s14, -1
	s_addc_u32 s15, s15, -1
	s_cmp_lg_u64 s[14:15], 0
	s_waitcnt lgkmcnt(0)
	v_cmp_gt_i64_e32 vcc, v[2:3], v[8:9]
	v_cndmask_b32_e64 v8, 0, 1, vcc
	v_add_co_u32_e32 v6, vcc, v6, v8
	v_addc_co_u32_e32 v7, vcc, 0, v7, vcc
	s_cbranch_scc1 .LBB122_120
	s_branch .LBB122_113
.LBB122_121:
	s_endpgm
	.section	.rodata,"a",@progbits
	.p2align	6, 0x0
	.amdhsa_kernel _ZN9rocsparseL26csrgemm_fill_block_per_rowILj1024ELj64ELj4096ELj137ELj32ElldEEvT5_PKS1_S3_NS_24const_host_device_scalarIT6_EEPKT4_S3_PKS5_S9_S3_SB_S6_S9_S3_SB_S9_PS1_PS5_21rocsparse_index_base_SE_SE_SE_bbb
		.amdhsa_group_segment_fixed_size 0
		.amdhsa_private_segment_fixed_size 0
		.amdhsa_kernarg_size 156
		.amdhsa_user_sgpr_count 6
		.amdhsa_user_sgpr_private_segment_buffer 1
		.amdhsa_user_sgpr_dispatch_ptr 0
		.amdhsa_user_sgpr_queue_ptr 0
		.amdhsa_user_sgpr_kernarg_segment_ptr 1
		.amdhsa_user_sgpr_dispatch_id 0
		.amdhsa_user_sgpr_flat_scratch_init 0
		.amdhsa_user_sgpr_kernarg_preload_length 0
		.amdhsa_user_sgpr_kernarg_preload_offset 0
		.amdhsa_user_sgpr_private_segment_size 0
		.amdhsa_uses_dynamic_stack 0
		.amdhsa_system_sgpr_private_segment_wavefront_offset 0
		.amdhsa_system_sgpr_workgroup_id_x 1
		.amdhsa_system_sgpr_workgroup_id_y 0
		.amdhsa_system_sgpr_workgroup_id_z 0
		.amdhsa_system_sgpr_workgroup_info 0
		.amdhsa_system_vgpr_workitem_id 0
		.amdhsa_next_free_vgpr 30
		.amdhsa_next_free_sgpr 96
		.amdhsa_accum_offset 32
		.amdhsa_reserve_vcc 1
		.amdhsa_reserve_flat_scratch 0
		.amdhsa_float_round_mode_32 0
		.amdhsa_float_round_mode_16_64 0
		.amdhsa_float_denorm_mode_32 3
		.amdhsa_float_denorm_mode_16_64 3
		.amdhsa_dx10_clamp 1
		.amdhsa_ieee_mode 1
		.amdhsa_fp16_overflow 0
		.amdhsa_tg_split 0
		.amdhsa_exception_fp_ieee_invalid_op 0
		.amdhsa_exception_fp_denorm_src 0
		.amdhsa_exception_fp_ieee_div_zero 0
		.amdhsa_exception_fp_ieee_overflow 0
		.amdhsa_exception_fp_ieee_underflow 0
		.amdhsa_exception_fp_ieee_inexact 0
		.amdhsa_exception_int_div_zero 0
	.end_amdhsa_kernel
	.section	.text._ZN9rocsparseL26csrgemm_fill_block_per_rowILj1024ELj64ELj4096ELj137ELj32ElldEEvT5_PKS1_S3_NS_24const_host_device_scalarIT6_EEPKT4_S3_PKS5_S9_S3_SB_S6_S9_S3_SB_S9_PS1_PS5_21rocsparse_index_base_SE_SE_SE_bbb,"axG",@progbits,_ZN9rocsparseL26csrgemm_fill_block_per_rowILj1024ELj64ELj4096ELj137ELj32ElldEEvT5_PKS1_S3_NS_24const_host_device_scalarIT6_EEPKT4_S3_PKS5_S9_S3_SB_S6_S9_S3_SB_S9_PS1_PS5_21rocsparse_index_base_SE_SE_SE_bbb,comdat
.Lfunc_end122:
	.size	_ZN9rocsparseL26csrgemm_fill_block_per_rowILj1024ELj64ELj4096ELj137ELj32ElldEEvT5_PKS1_S3_NS_24const_host_device_scalarIT6_EEPKT4_S3_PKS5_S9_S3_SB_S6_S9_S3_SB_S9_PS1_PS5_21rocsparse_index_base_SE_SE_SE_bbb, .Lfunc_end122-_ZN9rocsparseL26csrgemm_fill_block_per_rowILj1024ELj64ELj4096ELj137ELj32ElldEEvT5_PKS1_S3_NS_24const_host_device_scalarIT6_EEPKT4_S3_PKS5_S9_S3_SB_S6_S9_S3_SB_S9_PS1_PS5_21rocsparse_index_base_SE_SE_SE_bbb
                                        ; -- End function
	.section	.AMDGPU.csdata,"",@progbits
; Kernel info:
; codeLenInByte = 4772
; NumSgprs: 100
; NumVgprs: 30
; NumAgprs: 0
; TotalNumVgprs: 30
; ScratchSize: 0
; MemoryBound: 0
; FloatMode: 240
; IeeeMode: 1
; LDSByteSize: 0 bytes/workgroup (compile time only)
; SGPRBlocks: 12
; VGPRBlocks: 3
; NumSGPRsForWavesPerEU: 100
; NumVGPRsForWavesPerEU: 30
; AccumOffset: 32
; Occupancy: 8
; WaveLimiterHint : 1
; COMPUTE_PGM_RSRC2:SCRATCH_EN: 0
; COMPUTE_PGM_RSRC2:USER_SGPR: 6
; COMPUTE_PGM_RSRC2:TRAP_HANDLER: 0
; COMPUTE_PGM_RSRC2:TGID_X_EN: 1
; COMPUTE_PGM_RSRC2:TGID_Y_EN: 0
; COMPUTE_PGM_RSRC2:TGID_Z_EN: 0
; COMPUTE_PGM_RSRC2:TIDIG_COMP_CNT: 0
; COMPUTE_PGM_RSRC3_GFX90A:ACCUM_OFFSET: 7
; COMPUTE_PGM_RSRC3_GFX90A:TG_SPLIT: 0
	.section	.text._ZN9rocsparseL26csrgemm_fill_block_per_rowILj1024ELj64ELj4096ELj137ELj64ElldEEvT5_PKS1_S3_NS_24const_host_device_scalarIT6_EEPKT4_S3_PKS5_S9_S3_SB_S6_S9_S3_SB_S9_PS1_PS5_21rocsparse_index_base_SE_SE_SE_bbb,"axG",@progbits,_ZN9rocsparseL26csrgemm_fill_block_per_rowILj1024ELj64ELj4096ELj137ELj64ElldEEvT5_PKS1_S3_NS_24const_host_device_scalarIT6_EEPKT4_S3_PKS5_S9_S3_SB_S6_S9_S3_SB_S9_PS1_PS5_21rocsparse_index_base_SE_SE_SE_bbb,comdat
	.globl	_ZN9rocsparseL26csrgemm_fill_block_per_rowILj1024ELj64ELj4096ELj137ELj64ElldEEvT5_PKS1_S3_NS_24const_host_device_scalarIT6_EEPKT4_S3_PKS5_S9_S3_SB_S6_S9_S3_SB_S9_PS1_PS5_21rocsparse_index_base_SE_SE_SE_bbb ; -- Begin function _ZN9rocsparseL26csrgemm_fill_block_per_rowILj1024ELj64ELj4096ELj137ELj64ElldEEvT5_PKS1_S3_NS_24const_host_device_scalarIT6_EEPKT4_S3_PKS5_S9_S3_SB_S6_S9_S3_SB_S9_PS1_PS5_21rocsparse_index_base_SE_SE_SE_bbb
	.p2align	8
	.type	_ZN9rocsparseL26csrgemm_fill_block_per_rowILj1024ELj64ELj4096ELj137ELj64ElldEEvT5_PKS1_S3_NS_24const_host_device_scalarIT6_EEPKT4_S3_PKS5_S9_S3_SB_S6_S9_S3_SB_S9_PS1_PS5_21rocsparse_index_base_SE_SE_SE_bbb,@function
_ZN9rocsparseL26csrgemm_fill_block_per_rowILj1024ELj64ELj4096ELj137ELj64ElldEEvT5_PKS1_S3_NS_24const_host_device_scalarIT6_EEPKT4_S3_PKS5_S9_S3_SB_S6_S9_S3_SB_S9_PS1_PS5_21rocsparse_index_base_SE_SE_SE_bbb: ; @_ZN9rocsparseL26csrgemm_fill_block_per_rowILj1024ELj64ELj4096ELj137ELj64ElldEEvT5_PKS1_S3_NS_24const_host_device_scalarIT6_EEPKT4_S3_PKS5_S9_S3_SB_S6_S9_S3_SB_S9_PS1_PS5_21rocsparse_index_base_SE_SE_SE_bbb
; %bb.0:
	s_load_dword s7, s[4:5], 0x98
	s_load_dwordx4 s[44:47], s[4:5], 0x88
	s_load_dwordx2 s[0:1], s[4:5], 0x18
	s_load_dwordx2 s[24:25], s[4:5], 0x50
	s_waitcnt lgkmcnt(0)
	s_and_b32 s2, 1, s7
	s_bitcmp1_b32 s7, 16
	s_cselect_b64 s[26:27], -1, 0
	s_cmp_eq_u32 s2, 1
	s_cselect_b64 s[22:23], -1, 0
	s_and_b64 s[2:3], s[22:23], exec
	s_cselect_b32 s3, s1, 0
	s_cselect_b32 s2, s0, 0
	s_xor_b64 s[8:9], s[22:23], -1
	s_or_b64 s[8:9], s[8:9], s[26:27]
	s_and_b64 vcc, exec, s[8:9]
	v_pk_mov_b32 v[4:5], s[2:3], s[2:3] op_sel:[0,1]
	s_cbranch_vccnz .LBB123_2
; %bb.1:
	v_pk_mov_b32 v[2:3], s[0:1], s[0:1] op_sel:[0,1]
	flat_load_dwordx2 v[4:5], v[2:3]
.LBB123_2:
	s_load_dwordx4 s[48:51], s[4:5], 0x78
	s_load_dwordx8 s[36:43], s[4:5], 0x58
	s_load_dwordx4 s[0:3], s[4:5], 0x40
	s_load_dwordx4 s[16:19], s[4:5], 0x8
	s_load_dwordx8 s[8:15], s[4:5], 0x20
	s_bitcmp1_b32 s7, 8
	s_cselect_b64 s[20:21], -1, 0
	s_and_b64 s[28:29], s[20:21], exec
	s_cselect_b32 s29, s25, 0
	s_cselect_b32 s28, s24, 0
	s_xor_b64 s[30:31], s[20:21], -1
	s_or_b64 s[26:27], s[30:31], s[26:27]
	s_and_b64 vcc, exec, s[26:27]
	v_pk_mov_b32 v[2:3], s[28:29], s[28:29] op_sel:[0,1]
	s_cbranch_vccnz .LBB123_4
; %bb.3:
	v_pk_mov_b32 v[2:3], s[24:25], s[24:25] op_sel:[0,1]
	flat_load_dwordx2 v[2:3], v[2:3]
.LBB123_4:
	s_load_dwordx2 s[34:35], s[4:5], 0x0
	v_or_b32_e32 v1, 0xfffffc00, v0
	v_mov_b32_e32 v6, 0
	v_lshl_add_u32 v19, v0, 3, 0
	s_mov_b64 s[4:5], 0
	s_waitcnt lgkmcnt(0)
	v_pk_mov_b32 v[8:9], s[34:35], s[34:35] op_sel:[0,1]
	v_mov_b32_e32 v7, v6
	s_movk_i32 s7, 0xbff
	v_mov_b32_e32 v10, v19
	v_mov_b32_e32 v11, v1
.LBB123_5:                              ; =>This Inner Loop Header: Depth=1
	v_add_u32_e32 v11, 0x400, v11
	v_cmp_lt_u32_e32 vcc, s7, v11
	ds_write2st64_b64 v10, v[8:9], v[6:7] offset1:64
	s_or_b64 s[4:5], vcc, s[4:5]
	v_add_u32_e32 v10, 0x2000, v10
	s_andn2_b64 exec, exec, s[4:5]
	s_cbranch_execnz .LBB123_5
; %bb.6:
	s_or_b64 exec, exec, s[4:5]
	s_waitcnt lgkmcnt(0)
	s_barrier
	s_load_dwordx2 s[4:5], s[16:17], 0x0
	s_mov_b32 s7, 0
	v_lshrrev_b32_e32 v22, 6, v0
	s_waitcnt lgkmcnt(0)
	s_lshl_b64 s[4:5], s[4:5], 3
	s_add_u32 s16, s18, s4
	s_addc_u32 s17, s19, s5
	s_lshl_b64 s[4:5], s[6:7], 3
	s_add_u32 s4, s16, s4
	s_addc_u32 s5, s17, s5
	s_load_dwordx2 s[52:53], s[4:5], 0x0
	s_and_b64 vcc, exec, s[22:23]
	s_cbranch_vccz .LBB123_26
; %bb.7:
	s_waitcnt lgkmcnt(0)
	s_lshl_b64 s[4:5], s[52:53], 3
	s_add_u32 s4, s8, s4
	s_addc_u32 s5, s9, s5
	s_load_dwordx4 s[16:19], s[4:5], 0x0
	v_subrev_co_u32_e32 v6, vcc, s44, v22
	v_subb_co_u32_e64 v7, s[8:9], 0, 0, vcc
	s_waitcnt lgkmcnt(0)
	s_sub_u32 s4, s18, s44
	v_mov_b32_e32 v8, s17
	v_add_co_u32_e32 v6, vcc, s16, v6
	s_subb_u32 s5, s19, 0
	v_addc_co_u32_e32 v7, vcc, v8, v7, vcc
	v_cmp_gt_i64_e32 vcc, s[4:5], v[6:7]
	s_and_saveexec_b64 s[8:9], vcc
	s_cbranch_execz .LBB123_25
; %bb.8:
	v_and_b32_e32 v8, 63, v0
	v_subrev_co_u32_e32 v23, vcc, s45, v8
	s_mov_b32 s6, 0
	v_subb_co_u32_e64 v24, s[16:17], 0, 0, vcc
	s_mov_b32 s33, s44
	s_mov_b32 s54, s45
	s_mov_b64 s[16:17], 0
	v_mov_b32_e32 v25, s11
	v_mov_b32_e32 v26, s7
	;; [unrolled: 1-line block ×4, first 2 shown]
	s_movk_i32 s11, 0x89
	s_branch .LBB123_10
.LBB123_9:                              ;   in Loop: Header=BB123_10 Depth=1
	s_or_b64 exec, exec, s[6:7]
	v_add_co_u32_e32 v6, vcc, 16, v6
	v_addc_co_u32_e32 v7, vcc, 0, v7, vcc
	v_cmp_le_i64_e32 vcc, s[4:5], v[6:7]
	s_or_b64 s[16:17], vcc, s[16:17]
	s_andn2_b64 exec, exec, s[16:17]
	s_cbranch_execz .LBB123_25
.LBB123_10:                             ; =>This Loop Header: Depth=1
                                        ;     Child Loop BB123_13 Depth 2
                                        ;       Child Loop BB123_15 Depth 3
	v_lshlrev_b64 v[12:13], 3, v[6:7]
	v_add_co_u32_e32 v8, vcc, s10, v12
	v_addc_co_u32_e32 v9, vcc, v25, v13, vcc
	global_load_dwordx2 v[8:9], v[8:9], off
	s_waitcnt vmcnt(0)
	v_subrev_co_u32_e32 v8, vcc, s33, v8
	v_subb_co_u32_e32 v9, vcc, v9, v26, vcc
	v_lshlrev_b64 v[8:9], 3, v[8:9]
	v_add_co_u32_e32 v8, vcc, s14, v8
	v_addc_co_u32_e32 v9, vcc, v27, v9, vcc
	global_load_dwordx4 v[14:17], v[8:9], off
	s_waitcnt vmcnt(0)
	v_subrev_co_u32_e32 v8, vcc, s54, v16
	v_subb_co_u32_e32 v9, vcc, v17, v28, vcc
	v_add_co_u32_e32 v10, vcc, v14, v23
	v_addc_co_u32_e32 v11, vcc, v15, v24, vcc
	v_cmp_lt_i64_e32 vcc, v[10:11], v[8:9]
	s_and_saveexec_b64 s[6:7], vcc
	s_cbranch_execz .LBB123_9
; %bb.11:                               ;   in Loop: Header=BB123_10 Depth=1
	v_mov_b32_e32 v14, s13
	v_add_co_u32_e32 v12, vcc, s12, v12
	v_addc_co_u32_e32 v13, vcc, v14, v13, vcc
	global_load_dwordx2 v[12:13], v[12:13], off
	s_mov_b64 s[18:19], 0
	s_waitcnt vmcnt(0)
	v_mul_f64 v[12:13], v[4:5], v[12:13]
	s_branch .LBB123_13
.LBB123_12:                             ;   in Loop: Header=BB123_13 Depth=2
	s_or_b64 exec, exec, s[22:23]
	v_add_co_u32_e32 v10, vcc, 64, v10
	v_addc_co_u32_e32 v11, vcc, 0, v11, vcc
	v_cmp_ge_i64_e32 vcc, v[10:11], v[8:9]
	s_or_b64 s[18:19], vcc, s[18:19]
	s_andn2_b64 exec, exec, s[18:19]
	s_cbranch_execz .LBB123_9
.LBB123_13:                             ;   Parent Loop BB123_10 Depth=1
                                        ; =>  This Loop Header: Depth=2
                                        ;       Child Loop BB123_15 Depth 3
	v_lshlrev_b64 v[14:15], 3, v[10:11]
	v_mov_b32_e32 v17, s1
	v_add_co_u32_e32 v16, vcc, s0, v14
	v_addc_co_u32_e32 v17, vcc, v17, v15, vcc
	global_load_dwordx2 v[16:17], v[16:17], off
	v_mov_b32_e32 v18, s3
	v_add_co_u32_e32 v14, vcc, s2, v14
	v_addc_co_u32_e32 v15, vcc, v18, v15, vcc
	global_load_dwordx2 v[20:21], v[14:15], off
	s_mov_b64 s[22:23], 0
	s_waitcnt vmcnt(1)
	v_subrev_co_u32_e32 v14, vcc, s54, v16
	v_mul_lo_u32 v18, v14, s11
	v_subb_co_u32_e32 v15, vcc, v17, v28, vcc
	v_and_b32_e32 v18, 0xfff, v18
	s_waitcnt vmcnt(0)
	v_mul_f64 v[16:17], v[12:13], v[20:21]
	s_branch .LBB123_15
.LBB123_14:                             ;   in Loop: Header=BB123_15 Depth=3
	s_or_b64 exec, exec, s[24:25]
	s_xor_b64 s[24:25], s[26:27], -1
	s_and_b64 s[24:25], exec, s[24:25]
	s_or_b64 s[22:23], s[24:25], s[22:23]
	s_andn2_b64 exec, exec, s[22:23]
	s_cbranch_execz .LBB123_12
.LBB123_15:                             ;   Parent Loop BB123_10 Depth=1
                                        ;     Parent Loop BB123_13 Depth=2
                                        ; =>    This Inner Loop Header: Depth=3
	v_lshl_add_u32 v29, v18, 3, 0
	ds_read_b64 v[20:21], v29
                                        ; implicit-def: $sgpr26_sgpr27
	s_waitcnt lgkmcnt(0)
	v_cmp_ne_u64_e32 vcc, v[20:21], v[14:15]
	s_and_saveexec_b64 s[24:25], vcc
	s_xor_b64 s[24:25], exec, s[24:25]
	s_cbranch_execz .LBB123_23
; %bb.16:                               ;   in Loop: Header=BB123_15 Depth=3
	v_cmp_ne_u64_e32 vcc, s[34:35], v[20:21]
                                        ; implicit-def: $sgpr26_sgpr27
	s_and_saveexec_b64 s[28:29], vcc
	s_xor_b64 s[28:29], exec, s[28:29]
; %bb.17:                               ;   in Loop: Header=BB123_15 Depth=3
	v_add_u32_e32 v18, 1, v18
	v_and_b32_e32 v18, 0xfff, v18
	s_mov_b64 s[26:27], -1
                                        ; implicit-def: $vgpr29
; %bb.18:                               ;   in Loop: Header=BB123_15 Depth=3
	s_andn2_saveexec_b64 s[28:29], s[28:29]
	s_cbranch_execz .LBB123_22
; %bb.19:                               ;   in Loop: Header=BB123_15 Depth=3
	v_pk_mov_b32 v[20:21], s[34:35], s[34:35] op_sel:[0,1]
	ds_cmpst_rtn_b64 v[20:21], v29, v[20:21], v[14:15]
	s_mov_b64 s[30:31], -1
	s_waitcnt lgkmcnt(0)
	v_cmp_eq_u64_e32 vcc, s[34:35], v[20:21]
	s_and_saveexec_b64 s[44:45], vcc
	s_cbranch_execz .LBB123_21
; %bb.20:                               ;   in Loop: Header=BB123_15 Depth=3
	ds_add_f64 v29, v[16:17] offset:32768
	s_xor_b64 s[30:31], exec, -1
.LBB123_21:                             ;   in Loop: Header=BB123_15 Depth=3
	s_or_b64 exec, exec, s[44:45]
	s_andn2_b64 s[26:27], s[26:27], exec
	s_and_b64 s[30:31], s[30:31], exec
	s_or_b64 s[26:27], s[26:27], s[30:31]
.LBB123_22:                             ;   in Loop: Header=BB123_15 Depth=3
	s_or_b64 exec, exec, s[28:29]
	s_and_b64 s[26:27], s[26:27], exec
                                        ; implicit-def: $vgpr29
.LBB123_23:                             ;   in Loop: Header=BB123_15 Depth=3
	s_andn2_saveexec_b64 s[24:25], s[24:25]
	s_cbranch_execz .LBB123_14
; %bb.24:                               ;   in Loop: Header=BB123_15 Depth=3
	ds_add_f64 v29, v[16:17] offset:32768
	s_andn2_b64 s[26:27], s[26:27], exec
	s_branch .LBB123_14
.LBB123_25:
	s_or_b64 exec, exec, s[8:9]
.LBB123_26:
	s_andn2_b64 vcc, exec, s[20:21]
	s_cbranch_vccnz .LBB123_43
; %bb.27:
	s_waitcnt lgkmcnt(0)
	s_lshl_b64 s[0:1], s[52:53], 3
	s_add_u32 s0, s36, s0
	s_addc_u32 s1, s37, s1
	s_load_dwordx4 s[8:11], s[0:1], 0x0
	s_waitcnt vmcnt(0)
	v_subrev_co_u32_e32 v4, vcc, s47, v0
	v_subb_co_u32_e64 v5, s[2:3], 0, 0, vcc
	s_waitcnt lgkmcnt(0)
	s_sub_u32 s0, s10, s47
	v_mov_b32_e32 v6, s9
	v_add_co_u32_e32 v4, vcc, s8, v4
	s_subb_u32 s1, s11, 0
	v_addc_co_u32_e32 v5, vcc, v6, v5, vcc
	s_mov_b32 s6, 0
	v_cmp_gt_i64_e32 vcc, s[0:1], v[4:5]
	s_and_saveexec_b64 s[2:3], vcc
	s_cbranch_execz .LBB123_42
; %bb.28:
	s_mov_b32 s18, s47
	s_mov_b64 s[4:5], 0
	v_mov_b32_e32 v11, s39
	v_mov_b32_e32 v14, s6
	;; [unrolled: 1-line block ×3, first 2 shown]
	s_movk_i32 s19, 0x89
	s_branch .LBB123_30
.LBB123_29:                             ;   in Loop: Header=BB123_30 Depth=1
	s_or_b64 exec, exec, s[6:7]
	v_add_co_u32_e32 v4, vcc, 0x400, v4
	v_addc_co_u32_e32 v5, vcc, 0, v5, vcc
	v_cmp_le_i64_e32 vcc, s[0:1], v[4:5]
	s_or_b64 s[4:5], vcc, s[4:5]
	s_andn2_b64 exec, exec, s[4:5]
	s_cbranch_execz .LBB123_42
.LBB123_30:                             ; =>This Loop Header: Depth=1
                                        ;     Child Loop BB123_32 Depth 2
	v_lshlrev_b64 v[6:7], 3, v[4:5]
	v_add_co_u32_e32 v8, vcc, s38, v6
	v_addc_co_u32_e32 v9, vcc, v11, v7, vcc
	global_load_dwordx2 v[8:9], v[8:9], off
	v_add_co_u32_e32 v6, vcc, s40, v6
	v_addc_co_u32_e32 v7, vcc, v15, v7, vcc
	global_load_dwordx2 v[12:13], v[6:7], off
	s_mov_b64 s[6:7], 0
	s_waitcnt vmcnt(1)
	v_subrev_co_u32_e32 v6, vcc, s18, v8
	v_mul_lo_u32 v10, v6, s19
	v_subb_co_u32_e32 v7, vcc, v9, v14, vcc
	s_waitcnt vmcnt(0)
	v_mul_f64 v[8:9], v[2:3], v[12:13]
	v_and_b32_e32 v10, 0xfff, v10
	s_branch .LBB123_32
.LBB123_31:                             ;   in Loop: Header=BB123_32 Depth=2
	s_or_b64 exec, exec, s[8:9]
	s_xor_b64 s[8:9], s[10:11], -1
	s_and_b64 s[8:9], exec, s[8:9]
	s_or_b64 s[6:7], s[8:9], s[6:7]
	s_andn2_b64 exec, exec, s[6:7]
	s_cbranch_execz .LBB123_29
.LBB123_32:                             ;   Parent Loop BB123_30 Depth=1
                                        ; =>  This Inner Loop Header: Depth=2
	v_lshl_add_u32 v16, v10, 3, 0
	ds_read_b64 v[12:13], v16
                                        ; implicit-def: $sgpr10_sgpr11
	s_waitcnt lgkmcnt(0)
	v_cmp_ne_u64_e32 vcc, v[12:13], v[6:7]
	s_and_saveexec_b64 s[8:9], vcc
	s_xor_b64 s[8:9], exec, s[8:9]
	s_cbranch_execz .LBB123_40
; %bb.33:                               ;   in Loop: Header=BB123_32 Depth=2
	v_cmp_ne_u64_e32 vcc, s[34:35], v[12:13]
                                        ; implicit-def: $sgpr10_sgpr11
	s_and_saveexec_b64 s[12:13], vcc
	s_xor_b64 s[12:13], exec, s[12:13]
; %bb.34:                               ;   in Loop: Header=BB123_32 Depth=2
	v_add_u32_e32 v10, 1, v10
	v_and_b32_e32 v10, 0xfff, v10
	s_mov_b64 s[10:11], -1
                                        ; implicit-def: $vgpr16
; %bb.35:                               ;   in Loop: Header=BB123_32 Depth=2
	s_andn2_saveexec_b64 s[12:13], s[12:13]
	s_cbranch_execz .LBB123_39
; %bb.36:                               ;   in Loop: Header=BB123_32 Depth=2
	v_pk_mov_b32 v[12:13], s[34:35], s[34:35] op_sel:[0,1]
	ds_cmpst_rtn_b64 v[12:13], v16, v[12:13], v[6:7]
	s_mov_b64 s[14:15], -1
	s_waitcnt lgkmcnt(0)
	v_cmp_eq_u64_e32 vcc, s[34:35], v[12:13]
	s_and_saveexec_b64 s[16:17], vcc
	s_cbranch_execz .LBB123_38
; %bb.37:                               ;   in Loop: Header=BB123_32 Depth=2
	ds_add_f64 v16, v[8:9] offset:32768
	s_xor_b64 s[14:15], exec, -1
.LBB123_38:                             ;   in Loop: Header=BB123_32 Depth=2
	s_or_b64 exec, exec, s[16:17]
	s_andn2_b64 s[10:11], s[10:11], exec
	s_and_b64 s[14:15], s[14:15], exec
	s_or_b64 s[10:11], s[10:11], s[14:15]
.LBB123_39:                             ;   in Loop: Header=BB123_32 Depth=2
	s_or_b64 exec, exec, s[12:13]
	s_and_b64 s[10:11], s[10:11], exec
                                        ; implicit-def: $vgpr16
.LBB123_40:                             ;   in Loop: Header=BB123_32 Depth=2
	s_andn2_saveexec_b64 s[8:9], s[8:9]
	s_cbranch_execz .LBB123_31
; %bb.41:                               ;   in Loop: Header=BB123_32 Depth=2
	ds_add_f64 v16, v[8:9] offset:32768
	s_andn2_b64 s[10:11], s[10:11], exec
	s_branch .LBB123_31
.LBB123_42:
	s_or_b64 exec, exec, s[2:3]
.LBB123_43:
	s_waitcnt vmcnt(0)
	v_mbcnt_lo_u32_b32 v2, -1, 0
	v_mbcnt_hi_u32_b32 v2, -1, v2
	v_sub_u32_e32 v2, 63, v2
	s_add_i32 s33, 0, 0x10000
	s_movk_i32 s0, 0x3ff
	s_movk_i32 s2, 0x7f
	;; [unrolled: 1-line block ×15, first 2 shown]
	s_add_i32 s63, 0, 0x10078
	v_mov_b32_e32 v7, 0
	v_lshrrev_b64 v[8:9], v2, -1
	v_lshl_add_u32 v14, v22, 3, s33
	v_cmp_eq_u32_e32 vcc, s0, v0
	v_cmp_lt_u32_e64 s[0:1], 63, v0
	v_cmp_lt_u32_e64 s[2:3], s2, v0
	;; [unrolled: 1-line block ×15, first 2 shown]
	s_mov_b64 s[36:37], 0
	v_pk_mov_b32 v[10:11], 0, 0
	s_add_i32 s40, 0, 0x10008
	s_add_i32 s41, 0, 0x10010
	;; [unrolled: 1-line block ×14, first 2 shown]
	v_mov_b32_e32 v15, s63
	s_movk_i32 s64, 0xbff
	s_waitcnt lgkmcnt(0)
	s_barrier
	s_branch .LBB123_45
.LBB123_44:                             ;   in Loop: Header=BB123_45 Depth=1
	s_or_b64 exec, exec, s[30:31]
	s_waitcnt lgkmcnt(0)
	s_barrier
	ds_read_b64 v[2:3], v15
	v_add_u32_e32 v1, 0x400, v1
	v_add_u32_e32 v19, 0x2000, v19
	s_waitcnt lgkmcnt(0)
	v_add_co_u32_e64 v10, s[30:31], v2, v10
	v_addc_co_u32_e64 v11, s[30:31], v3, v11, s[30:31]
	v_cmp_lt_u32_e64 s[30:31], s64, v1
	s_or_b64 s[36:37], s[30:31], s[36:37]
	s_andn2_b64 exec, exec, s[36:37]
	s_cbranch_execz .LBB123_79
.LBB123_45:                             ; =>This Inner Loop Header: Depth=1
	ds_read2st64_b64 v[2:5], v19 offset1:64
	s_waitcnt lgkmcnt(0)
	s_barrier
	v_cmp_gt_i64_e64 s[30:31], s[34:35], v[2:3]
	v_and_b32_e32 v13, s30, v8
	s_bcnt1_i32_b64 s38, s[30:31]
	v_and_b32_e32 v12, s31, v9
	v_bcnt_u32_b32 v13, v13, 0
	v_mov_b32_e32 v6, s38
	v_bcnt_u32_b32 v12, v12, v13
	ds_write_b64 v14, v[6:7]
	s_waitcnt lgkmcnt(0)
	s_barrier
	s_and_saveexec_b64 s[38:39], s[0:1]
	s_cbranch_execnz .LBB123_62
; %bb.46:                               ;   in Loop: Header=BB123_45 Depth=1
	s_or_b64 exec, exec, s[38:39]
	s_and_saveexec_b64 s[38:39], s[2:3]
	s_cbranch_execnz .LBB123_63
.LBB123_47:                             ;   in Loop: Header=BB123_45 Depth=1
	s_or_b64 exec, exec, s[38:39]
	s_and_saveexec_b64 s[38:39], s[4:5]
	s_cbranch_execnz .LBB123_64
.LBB123_48:                             ;   in Loop: Header=BB123_45 Depth=1
	s_or_b64 exec, exec, s[38:39]
	s_and_saveexec_b64 s[38:39], s[6:7]
	s_cbranch_execnz .LBB123_65
.LBB123_49:                             ;   in Loop: Header=BB123_45 Depth=1
	s_or_b64 exec, exec, s[38:39]
	s_and_saveexec_b64 s[38:39], s[8:9]
	s_cbranch_execnz .LBB123_66
.LBB123_50:                             ;   in Loop: Header=BB123_45 Depth=1
	s_or_b64 exec, exec, s[38:39]
	s_and_saveexec_b64 s[38:39], s[10:11]
	s_cbranch_execnz .LBB123_67
.LBB123_51:                             ;   in Loop: Header=BB123_45 Depth=1
	s_or_b64 exec, exec, s[38:39]
	s_and_saveexec_b64 s[38:39], s[12:13]
	s_cbranch_execnz .LBB123_68
.LBB123_52:                             ;   in Loop: Header=BB123_45 Depth=1
	s_or_b64 exec, exec, s[38:39]
	s_and_saveexec_b64 s[38:39], s[14:15]
	s_cbranch_execnz .LBB123_69
.LBB123_53:                             ;   in Loop: Header=BB123_45 Depth=1
	s_or_b64 exec, exec, s[38:39]
	s_and_saveexec_b64 s[38:39], s[16:17]
	s_cbranch_execnz .LBB123_70
.LBB123_54:                             ;   in Loop: Header=BB123_45 Depth=1
	s_or_b64 exec, exec, s[38:39]
	s_and_saveexec_b64 s[38:39], s[18:19]
	s_cbranch_execnz .LBB123_71
.LBB123_55:                             ;   in Loop: Header=BB123_45 Depth=1
	s_or_b64 exec, exec, s[38:39]
	s_and_saveexec_b64 s[38:39], s[20:21]
	s_cbranch_execnz .LBB123_72
.LBB123_56:                             ;   in Loop: Header=BB123_45 Depth=1
	s_or_b64 exec, exec, s[38:39]
	s_and_saveexec_b64 s[38:39], s[22:23]
	s_cbranch_execnz .LBB123_73
.LBB123_57:                             ;   in Loop: Header=BB123_45 Depth=1
	s_or_b64 exec, exec, s[38:39]
	s_and_saveexec_b64 s[38:39], s[24:25]
	s_cbranch_execnz .LBB123_74
.LBB123_58:                             ;   in Loop: Header=BB123_45 Depth=1
	s_or_b64 exec, exec, s[38:39]
	s_and_saveexec_b64 s[38:39], s[26:27]
	s_cbranch_execnz .LBB123_75
.LBB123_59:                             ;   in Loop: Header=BB123_45 Depth=1
	s_or_b64 exec, exec, s[38:39]
	s_and_saveexec_b64 s[38:39], s[28:29]
	s_cbranch_execnz .LBB123_76
.LBB123_60:                             ;   in Loop: Header=BB123_45 Depth=1
	s_or_b64 exec, exec, s[38:39]
	v_ashrrev_i32_e32 v13, 31, v12
	s_and_saveexec_b64 s[38:39], s[30:31]
	s_cbranch_execnz .LBB123_77
.LBB123_61:                             ;   in Loop: Header=BB123_45 Depth=1
	s_or_b64 exec, exec, s[38:39]
	s_and_saveexec_b64 s[30:31], vcc
	s_cbranch_execz .LBB123_44
	s_branch .LBB123_78
.LBB123_62:                             ;   in Loop: Header=BB123_45 Depth=1
	v_mov_b32_e32 v6, s33
	ds_read_b32 v6, v6
	s_waitcnt lgkmcnt(0)
	v_add_u32_e32 v12, v6, v12
	s_or_b64 exec, exec, s[38:39]
	s_and_saveexec_b64 s[38:39], s[2:3]
	s_cbranch_execz .LBB123_47
.LBB123_63:                             ;   in Loop: Header=BB123_45 Depth=1
	v_mov_b32_e32 v6, s40
	ds_read_b32 v6, v6
	s_waitcnt lgkmcnt(0)
	v_add_u32_e32 v12, v12, v6
	s_or_b64 exec, exec, s[38:39]
	s_and_saveexec_b64 s[38:39], s[4:5]
	s_cbranch_execz .LBB123_48
.LBB123_64:                             ;   in Loop: Header=BB123_45 Depth=1
	v_mov_b32_e32 v6, s41
	ds_read_b32 v6, v6
	s_waitcnt lgkmcnt(0)
	v_add_u32_e32 v12, v12, v6
	s_or_b64 exec, exec, s[38:39]
	s_and_saveexec_b64 s[38:39], s[6:7]
	s_cbranch_execz .LBB123_49
.LBB123_65:                             ;   in Loop: Header=BB123_45 Depth=1
	v_mov_b32_e32 v6, s44
	ds_read_b32 v6, v6
	s_waitcnt lgkmcnt(0)
	v_add_u32_e32 v12, v12, v6
	s_or_b64 exec, exec, s[38:39]
	s_and_saveexec_b64 s[38:39], s[8:9]
	s_cbranch_execz .LBB123_50
.LBB123_66:                             ;   in Loop: Header=BB123_45 Depth=1
	v_mov_b32_e32 v6, s45
	ds_read_b32 v6, v6
	s_waitcnt lgkmcnt(0)
	v_add_u32_e32 v12, v12, v6
	s_or_b64 exec, exec, s[38:39]
	s_and_saveexec_b64 s[38:39], s[10:11]
	s_cbranch_execz .LBB123_51
.LBB123_67:                             ;   in Loop: Header=BB123_45 Depth=1
	v_mov_b32_e32 v6, s47
	ds_read_b32 v6, v6
	s_waitcnt lgkmcnt(0)
	v_add_u32_e32 v12, v12, v6
	s_or_b64 exec, exec, s[38:39]
	s_and_saveexec_b64 s[38:39], s[12:13]
	s_cbranch_execz .LBB123_52
.LBB123_68:                             ;   in Loop: Header=BB123_45 Depth=1
	v_mov_b32_e32 v6, s54
	ds_read_b32 v6, v6
	s_waitcnt lgkmcnt(0)
	v_add_u32_e32 v12, v12, v6
	s_or_b64 exec, exec, s[38:39]
	s_and_saveexec_b64 s[38:39], s[14:15]
	s_cbranch_execz .LBB123_53
.LBB123_69:                             ;   in Loop: Header=BB123_45 Depth=1
	v_mov_b32_e32 v6, s55
	ds_read_b32 v6, v6
	s_waitcnt lgkmcnt(0)
	v_add_u32_e32 v12, v12, v6
	s_or_b64 exec, exec, s[38:39]
	s_and_saveexec_b64 s[38:39], s[16:17]
	s_cbranch_execz .LBB123_54
.LBB123_70:                             ;   in Loop: Header=BB123_45 Depth=1
	v_mov_b32_e32 v6, s56
	ds_read_b32 v6, v6
	s_waitcnt lgkmcnt(0)
	v_add_u32_e32 v12, v12, v6
	s_or_b64 exec, exec, s[38:39]
	s_and_saveexec_b64 s[38:39], s[18:19]
	s_cbranch_execz .LBB123_55
.LBB123_71:                             ;   in Loop: Header=BB123_45 Depth=1
	v_mov_b32_e32 v6, s57
	ds_read_b32 v6, v6
	s_waitcnt lgkmcnt(0)
	v_add_u32_e32 v12, v12, v6
	s_or_b64 exec, exec, s[38:39]
	s_and_saveexec_b64 s[38:39], s[20:21]
	s_cbranch_execz .LBB123_56
.LBB123_72:                             ;   in Loop: Header=BB123_45 Depth=1
	v_mov_b32_e32 v6, s58
	ds_read_b32 v6, v6
	s_waitcnt lgkmcnt(0)
	v_add_u32_e32 v12, v12, v6
	s_or_b64 exec, exec, s[38:39]
	s_and_saveexec_b64 s[38:39], s[22:23]
	s_cbranch_execz .LBB123_57
.LBB123_73:                             ;   in Loop: Header=BB123_45 Depth=1
	v_mov_b32_e32 v6, s59
	ds_read_b32 v6, v6
	s_waitcnt lgkmcnt(0)
	v_add_u32_e32 v12, v12, v6
	s_or_b64 exec, exec, s[38:39]
	s_and_saveexec_b64 s[38:39], s[24:25]
	s_cbranch_execz .LBB123_58
.LBB123_74:                             ;   in Loop: Header=BB123_45 Depth=1
	v_mov_b32_e32 v6, s60
	ds_read_b32 v6, v6
	s_waitcnt lgkmcnt(0)
	v_add_u32_e32 v12, v12, v6
	s_or_b64 exec, exec, s[38:39]
	s_and_saveexec_b64 s[38:39], s[26:27]
	s_cbranch_execz .LBB123_59
.LBB123_75:                             ;   in Loop: Header=BB123_45 Depth=1
	v_mov_b32_e32 v6, s61
	ds_read_b32 v6, v6
	s_waitcnt lgkmcnt(0)
	v_add_u32_e32 v12, v12, v6
	s_or_b64 exec, exec, s[38:39]
	s_and_saveexec_b64 s[38:39], s[28:29]
	s_cbranch_execz .LBB123_60
.LBB123_76:                             ;   in Loop: Header=BB123_45 Depth=1
	v_mov_b32_e32 v6, s62
	ds_read_b32 v6, v6
	s_waitcnt lgkmcnt(0)
	v_add_u32_e32 v12, v12, v6
	s_or_b64 exec, exec, s[38:39]
	v_ashrrev_i32_e32 v13, 31, v12
	s_and_saveexec_b64 s[38:39], s[30:31]
	s_cbranch_execz .LBB123_61
.LBB123_77:                             ;   in Loop: Header=BB123_45 Depth=1
	v_add3_u32 v6, v10, -1, v12
	v_lshl_add_u32 v6, v6, 3, 0
	ds_write2st64_b64 v6, v[2:3], v[4:5] offset1:64
	s_or_b64 exec, exec, s[38:39]
	s_and_saveexec_b64 s[30:31], vcc
	s_cbranch_execz .LBB123_44
.LBB123_78:                             ;   in Loop: Header=BB123_45 Depth=1
	v_mov_b32_e32 v2, s63
	ds_write_b64 v2, v[12:13]
	s_branch .LBB123_44
.LBB123_79:
	s_or_b64 exec, exec, s[36:37]
	s_lshl_b64 s[0:1], s[52:53], 3
	s_add_u32 s0, s42, s0
	s_addc_u32 s1, s43, s1
	s_load_dwordx4 s[0:3], s[0:1], 0x0
	v_mov_b32_e32 v1, 0
	s_waitcnt lgkmcnt(0)
	s_sub_u32 s4, s2, s0
	s_subb_u32 s5, s3, s1
	v_cmp_gt_i64_e32 vcc, s[4:5], v[0:1]
	s_and_saveexec_b64 s[6:7], vcc
	s_cbranch_execz .LBB123_89
; %bb.80:
	s_sub_u32 s6, s0, s46
	s_subb_u32 s7, s1, 0
	s_and_b32 s8, s4, 7
	s_sub_u32 s0, s0, s2
	s_mov_b32 s16, 0
	s_subb_u32 s1, s1, s3
	s_mov_b32 s9, s16
	s_and_b32 s2, s4, -8
	v_cmp_lt_u64_e64 s[0:1], s[0:1], -7
	s_cmp_lg_u64 s[8:9], 0
	v_cndmask_b32_e64 v2, 0, 1, s[0:1]
	s_mov_b32 s3, s5
	s_mov_b64 s[10:11], 0
	s_cselect_b64 s[12:13], -1, 0
	v_cmp_ne_u32_e64 s[0:1], 1, v2
	s_branch .LBB123_82
.LBB123_81:                             ;   in Loop: Header=BB123_82 Depth=1
	v_mov_b32_e32 v8, s16
	s_waitcnt lgkmcnt(0)
	v_add_co_u32_e32 v2, vcc, s46, v2
	v_addc_co_u32_e32 v3, vcc, v3, v8, vcc
	v_lshlrev_b64 v[6:7], 3, v[6:7]
	v_mov_b32_e32 v9, s49
	v_add_co_u32_e32 v8, vcc, s48, v6
	v_addc_co_u32_e32 v9, vcc, v9, v7, vcc
	global_store_dwordx2 v[8:9], v[2:3], off
	v_mov_b32_e32 v3, s51
	v_add_co_u32_e32 v2, vcc, s50, v6
	v_addc_co_u32_e32 v3, vcc, v3, v7, vcc
	v_add_co_u32_e32 v0, vcc, 0x400, v0
	v_addc_co_u32_e32 v1, vcc, 0, v1, vcc
	v_cmp_le_i64_e32 vcc, s[4:5], v[0:1]
	s_or_b64 s[10:11], vcc, s[10:11]
	global_store_dwordx2 v[2:3], v[4:5], off
	s_andn2_b64 exec, exec, s[10:11]
	s_cbranch_execz .LBB123_89
.LBB123_82:                             ; =>This Loop Header: Depth=1
                                        ;     Child Loop BB123_84 Depth 2
                                        ;     Child Loop BB123_88 Depth 2
	v_lshl_add_u32 v2, v0, 3, 0
	ds_read2st64_b64 v[2:5], v2 offset1:64
	s_and_b64 vcc, exec, s[0:1]
	v_pk_mov_b32 v[6:7], s[6:7], s[6:7] op_sel:[0,1]
	s_mov_b64 s[14:15], 0
	s_cbranch_vccnz .LBB123_86
; %bb.83:                               ;   in Loop: Header=BB123_82 Depth=1
	s_mov_b32 s17, 0
	v_pk_mov_b32 v[6:7], s[6:7], s[6:7] op_sel:[0,1]
.LBB123_84:                             ;   Parent Loop BB123_82 Depth=1
                                        ; =>  This Inner Loop Header: Depth=2
	v_mov_b32_e32 v20, s17
	ds_read2_b64 v[8:11], v20 offset1:1
	ds_read2_b64 v[12:15], v20 offset0:2 offset1:3
	ds_read2_b64 v[16:19], v20 offset0:4 offset1:5
	;; [unrolled: 1-line block ×3, first 2 shown]
	s_add_u32 s14, s14, 8
	s_waitcnt lgkmcnt(3)
	v_cmp_gt_i64_e32 vcc, v[2:3], v[8:9]
	v_cndmask_b32_e64 v8, 0, 1, vcc
	v_cmp_gt_i64_e32 vcc, v[2:3], v[10:11]
	v_cndmask_b32_e64 v9, 0, 1, vcc
	s_waitcnt lgkmcnt(2)
	v_cmp_gt_i64_e32 vcc, v[2:3], v[12:13]
	v_cndmask_b32_e64 v10, 0, 1, vcc
	v_cmp_gt_i64_e32 vcc, v[2:3], v[14:15]
	v_cndmask_b32_e64 v11, 0, 1, vcc
	s_waitcnt lgkmcnt(1)
	v_cmp_gt_i64_e32 vcc, v[2:3], v[16:17]
	v_cndmask_b32_e64 v12, 0, 1, vcc
	v_cmp_gt_i64_e32 vcc, v[2:3], v[18:19]
	v_cndmask_b32_e64 v13, 0, 1, vcc
	s_waitcnt lgkmcnt(0)
	v_cmp_gt_i64_e32 vcc, v[2:3], v[20:21]
	v_cndmask_b32_e64 v14, 0, 1, vcc
	v_cmp_gt_i64_e32 vcc, v[2:3], v[22:23]
	v_cndmask_b32_e64 v15, 0, 1, vcc
	v_add_co_u32_e32 v6, vcc, v6, v8
	v_addc_co_u32_e32 v7, vcc, 0, v7, vcc
	v_add_co_u32_e32 v6, vcc, v6, v9
	v_addc_co_u32_e32 v7, vcc, 0, v7, vcc
	;; [unrolled: 2-line block ×7, first 2 shown]
	s_addc_u32 s15, s15, 0
	s_add_i32 s17, s17, 64
	v_add_co_u32_e32 v6, vcc, v6, v15
	s_cmp_eq_u64 s[2:3], s[14:15]
	v_addc_co_u32_e32 v7, vcc, 0, v7, vcc
	s_cbranch_scc0 .LBB123_84
; %bb.85:                               ;   in Loop: Header=BB123_82 Depth=1
	s_mov_b64 s[14:15], s[2:3]
.LBB123_86:                             ;   in Loop: Header=BB123_82 Depth=1
	s_andn2_b64 vcc, exec, s[12:13]
	s_cbranch_vccnz .LBB123_81
; %bb.87:                               ;   in Loop: Header=BB123_82 Depth=1
	s_lshl_b32 s14, s14, 3
	s_add_i32 s17, s14, 0
	s_mov_b64 s[14:15], s[8:9]
.LBB123_88:                             ;   Parent Loop BB123_82 Depth=1
                                        ; =>  This Inner Loop Header: Depth=2
	v_mov_b32_e32 v8, s17
	ds_read_b64 v[8:9], v8
	s_add_i32 s17, s17, 8
	s_add_u32 s14, s14, -1
	s_addc_u32 s15, s15, -1
	s_cmp_lg_u64 s[14:15], 0
	s_waitcnt lgkmcnt(0)
	v_cmp_gt_i64_e32 vcc, v[2:3], v[8:9]
	v_cndmask_b32_e64 v8, 0, 1, vcc
	v_add_co_u32_e32 v6, vcc, v6, v8
	v_addc_co_u32_e32 v7, vcc, 0, v7, vcc
	s_cbranch_scc1 .LBB123_88
	s_branch .LBB123_81
.LBB123_89:
	s_endpgm
	.section	.rodata,"a",@progbits
	.p2align	6, 0x0
	.amdhsa_kernel _ZN9rocsparseL26csrgemm_fill_block_per_rowILj1024ELj64ELj4096ELj137ELj64ElldEEvT5_PKS1_S3_NS_24const_host_device_scalarIT6_EEPKT4_S3_PKS5_S9_S3_SB_S6_S9_S3_SB_S9_PS1_PS5_21rocsparse_index_base_SE_SE_SE_bbb
		.amdhsa_group_segment_fixed_size 0
		.amdhsa_private_segment_fixed_size 0
		.amdhsa_kernarg_size 156
		.amdhsa_user_sgpr_count 6
		.amdhsa_user_sgpr_private_segment_buffer 1
		.amdhsa_user_sgpr_dispatch_ptr 0
		.amdhsa_user_sgpr_queue_ptr 0
		.amdhsa_user_sgpr_kernarg_segment_ptr 1
		.amdhsa_user_sgpr_dispatch_id 0
		.amdhsa_user_sgpr_flat_scratch_init 0
		.amdhsa_user_sgpr_kernarg_preload_length 0
		.amdhsa_user_sgpr_kernarg_preload_offset 0
		.amdhsa_user_sgpr_private_segment_size 0
		.amdhsa_uses_dynamic_stack 0
		.amdhsa_system_sgpr_private_segment_wavefront_offset 0
		.amdhsa_system_sgpr_workgroup_id_x 1
		.amdhsa_system_sgpr_workgroup_id_y 0
		.amdhsa_system_sgpr_workgroup_id_z 0
		.amdhsa_system_sgpr_workgroup_info 0
		.amdhsa_system_vgpr_workitem_id 0
		.amdhsa_next_free_vgpr 30
		.amdhsa_next_free_sgpr 65
		.amdhsa_accum_offset 32
		.amdhsa_reserve_vcc 1
		.amdhsa_reserve_flat_scratch 0
		.amdhsa_float_round_mode_32 0
		.amdhsa_float_round_mode_16_64 0
		.amdhsa_float_denorm_mode_32 3
		.amdhsa_float_denorm_mode_16_64 3
		.amdhsa_dx10_clamp 1
		.amdhsa_ieee_mode 1
		.amdhsa_fp16_overflow 0
		.amdhsa_tg_split 0
		.amdhsa_exception_fp_ieee_invalid_op 0
		.amdhsa_exception_fp_denorm_src 0
		.amdhsa_exception_fp_ieee_div_zero 0
		.amdhsa_exception_fp_ieee_overflow 0
		.amdhsa_exception_fp_ieee_underflow 0
		.amdhsa_exception_fp_ieee_inexact 0
		.amdhsa_exception_int_div_zero 0
	.end_amdhsa_kernel
	.section	.text._ZN9rocsparseL26csrgemm_fill_block_per_rowILj1024ELj64ELj4096ELj137ELj64ElldEEvT5_PKS1_S3_NS_24const_host_device_scalarIT6_EEPKT4_S3_PKS5_S9_S3_SB_S6_S9_S3_SB_S9_PS1_PS5_21rocsparse_index_base_SE_SE_SE_bbb,"axG",@progbits,_ZN9rocsparseL26csrgemm_fill_block_per_rowILj1024ELj64ELj4096ELj137ELj64ElldEEvT5_PKS1_S3_NS_24const_host_device_scalarIT6_EEPKT4_S3_PKS5_S9_S3_SB_S6_S9_S3_SB_S9_PS1_PS5_21rocsparse_index_base_SE_SE_SE_bbb,comdat
.Lfunc_end123:
	.size	_ZN9rocsparseL26csrgemm_fill_block_per_rowILj1024ELj64ELj4096ELj137ELj64ElldEEvT5_PKS1_S3_NS_24const_host_device_scalarIT6_EEPKT4_S3_PKS5_S9_S3_SB_S6_S9_S3_SB_S9_PS1_PS5_21rocsparse_index_base_SE_SE_SE_bbb, .Lfunc_end123-_ZN9rocsparseL26csrgemm_fill_block_per_rowILj1024ELj64ELj4096ELj137ELj64ElldEEvT5_PKS1_S3_NS_24const_host_device_scalarIT6_EEPKT4_S3_PKS5_S9_S3_SB_S6_S9_S3_SB_S9_PS1_PS5_21rocsparse_index_base_SE_SE_SE_bbb
                                        ; -- End function
	.section	.AMDGPU.csdata,"",@progbits
; Kernel info:
; codeLenInByte = 3288
; NumSgprs: 69
; NumVgprs: 30
; NumAgprs: 0
; TotalNumVgprs: 30
; ScratchSize: 0
; MemoryBound: 0
; FloatMode: 240
; IeeeMode: 1
; LDSByteSize: 0 bytes/workgroup (compile time only)
; SGPRBlocks: 8
; VGPRBlocks: 3
; NumSGPRsForWavesPerEU: 69
; NumVGPRsForWavesPerEU: 30
; AccumOffset: 32
; Occupancy: 8
; WaveLimiterHint : 1
; COMPUTE_PGM_RSRC2:SCRATCH_EN: 0
; COMPUTE_PGM_RSRC2:USER_SGPR: 6
; COMPUTE_PGM_RSRC2:TRAP_HANDLER: 0
; COMPUTE_PGM_RSRC2:TGID_X_EN: 1
; COMPUTE_PGM_RSRC2:TGID_Y_EN: 0
; COMPUTE_PGM_RSRC2:TGID_Z_EN: 0
; COMPUTE_PGM_RSRC2:TIDIG_COMP_CNT: 0
; COMPUTE_PGM_RSRC3_GFX90A:ACCUM_OFFSET: 7
; COMPUTE_PGM_RSRC3_GFX90A:TG_SPLIT: 0
	.section	.text._ZN9rocsparseL26csrgemm_fill_block_per_rowILj1024ELj64ELj8192ELj137ELj32ElldEEvT5_PKS1_S3_NS_24const_host_device_scalarIT6_EEPKT4_S3_PKS5_S9_S3_SB_S6_S9_S3_SB_S9_PS1_PS5_21rocsparse_index_base_SE_SE_SE_bbb,"axG",@progbits,_ZN9rocsparseL26csrgemm_fill_block_per_rowILj1024ELj64ELj8192ELj137ELj32ElldEEvT5_PKS1_S3_NS_24const_host_device_scalarIT6_EEPKT4_S3_PKS5_S9_S3_SB_S6_S9_S3_SB_S9_PS1_PS5_21rocsparse_index_base_SE_SE_SE_bbb,comdat
	.globl	_ZN9rocsparseL26csrgemm_fill_block_per_rowILj1024ELj64ELj8192ELj137ELj32ElldEEvT5_PKS1_S3_NS_24const_host_device_scalarIT6_EEPKT4_S3_PKS5_S9_S3_SB_S6_S9_S3_SB_S9_PS1_PS5_21rocsparse_index_base_SE_SE_SE_bbb ; -- Begin function _ZN9rocsparseL26csrgemm_fill_block_per_rowILj1024ELj64ELj8192ELj137ELj32ElldEEvT5_PKS1_S3_NS_24const_host_device_scalarIT6_EEPKT4_S3_PKS5_S9_S3_SB_S6_S9_S3_SB_S9_PS1_PS5_21rocsparse_index_base_SE_SE_SE_bbb
	.p2align	8
	.type	_ZN9rocsparseL26csrgemm_fill_block_per_rowILj1024ELj64ELj8192ELj137ELj32ElldEEvT5_PKS1_S3_NS_24const_host_device_scalarIT6_EEPKT4_S3_PKS5_S9_S3_SB_S6_S9_S3_SB_S9_PS1_PS5_21rocsparse_index_base_SE_SE_SE_bbb,@function
_ZN9rocsparseL26csrgemm_fill_block_per_rowILj1024ELj64ELj8192ELj137ELj32ElldEEvT5_PKS1_S3_NS_24const_host_device_scalarIT6_EEPKT4_S3_PKS5_S9_S3_SB_S6_S9_S3_SB_S9_PS1_PS5_21rocsparse_index_base_SE_SE_SE_bbb: ; @_ZN9rocsparseL26csrgemm_fill_block_per_rowILj1024ELj64ELj8192ELj137ELj32ElldEEvT5_PKS1_S3_NS_24const_host_device_scalarIT6_EEPKT4_S3_PKS5_S9_S3_SB_S6_S9_S3_SB_S9_PS1_PS5_21rocsparse_index_base_SE_SE_SE_bbb
; %bb.0:
	s_load_dword s7, s[4:5], 0x98
	s_load_dwordx4 s[0:3], s[4:5], 0x8
	s_load_dwordx2 s[14:15], s[4:5], 0x18
	s_load_dwordx4 s[40:43], s[4:5], 0x88
	s_load_dwordx2 s[10:11], s[4:5], 0x50
	s_waitcnt lgkmcnt(0)
	s_and_b32 s8, 1, s7
	s_bitcmp1_b32 s7, 16
	s_cselect_b64 s[12:13], -1, 0
	s_cmp_eq_u32 s8, 1
	s_cselect_b64 s[8:9], -1, 0
	s_and_b64 s[16:17], s[8:9], exec
	s_cselect_b32 s17, s15, 0
	s_cselect_b32 s16, s14, 0
	s_xor_b64 s[18:19], s[8:9], -1
	s_or_b64 s[18:19], s[18:19], s[12:13]
	s_and_b64 vcc, exec, s[18:19]
	v_pk_mov_b32 v[4:5], s[16:17], s[16:17] op_sel:[0,1]
	s_cbranch_vccnz .LBB124_2
; %bb.1:
	v_pk_mov_b32 v[2:3], s[14:15], s[14:15] op_sel:[0,1]
	flat_load_dwordx2 v[4:5], v[2:3]
.LBB124_2:
	s_bitcmp1_b32 s7, 8
	s_cselect_b64 s[16:17], -1, 0
	s_and_b64 s[14:15], s[16:17], exec
	s_cselect_b32 s15, s11, 0
	s_cselect_b32 s14, s10, 0
	s_xor_b64 s[18:19], s[16:17], -1
	s_or_b64 s[12:13], s[18:19], s[12:13]
	s_and_b64 vcc, exec, s[12:13]
	v_pk_mov_b32 v[2:3], s[14:15], s[14:15] op_sel:[0,1]
	s_cbranch_vccnz .LBB124_4
; %bb.3:
	v_pk_mov_b32 v[2:3], s[10:11], s[10:11] op_sel:[0,1]
	flat_load_dwordx2 v[2:3], v[2:3]
.LBB124_4:
	s_load_dwordx2 s[72:73], s[4:5], 0x0
	s_mov_b32 s21, 0
	v_lshl_add_u32 v1, v0, 3, 0
	s_mov_b32 s20, s21
	v_add_u32_e32 v12, 0x10000, v1
	s_waitcnt lgkmcnt(0)
	v_pk_mov_b32 v[6:7], s[72:73], s[72:73] op_sel:[0,1]
	v_pk_mov_b32 v[10:11], s[72:73], s[72:73] op_sel:[0,1]
	v_pk_mov_b32 v[8:9], s[20:21], s[20:21] op_sel:[0,1]
	ds_write2st64_b64 v1, v[6:7], v[10:11] offset1:16
	ds_write2st64_b64 v12, v[8:9], v[8:9] offset1:16
	ds_write2st64_b64 v1, v[6:7], v[10:11] offset0:32 offset1:48
	ds_write2st64_b64 v12, v[8:9], v[8:9] offset0:32 offset1:48
	;; [unrolled: 1-line block ×6, first 2 shown]
	s_waitcnt lgkmcnt(0)
	s_barrier
	s_load_dwordx2 s[0:1], s[0:1], 0x0
	s_mov_b32 s7, s21
	s_waitcnt lgkmcnt(0)
	s_lshl_b64 s[0:1], s[0:1], 3
	s_add_u32 s2, s2, s0
	s_addc_u32 s3, s3, s1
	s_lshl_b64 s[0:1], s[6:7], 3
	s_add_u32 s0, s2, s0
	s_addc_u32 s1, s3, s1
	s_load_dwordx2 s[44:45], s[0:1], 0x0
	s_andn2_b64 vcc, exec, s[8:9]
	s_cbranch_vccnz .LBB124_24
; %bb.5:
	s_load_dwordx2 s[0:1], s[4:5], 0x20
	s_waitcnt lgkmcnt(0)
	s_lshl_b64 s[2:3], s[44:45], 3
	v_lshrrev_b32_e32 v6, 6, v0
	v_subrev_co_u32_e32 v6, vcc, s40, v6
	s_add_u32 s0, s0, s2
	s_addc_u32 s1, s1, s3
	s_load_dwordx4 s[8:11], s[0:1], 0x0
	v_subb_co_u32_e64 v7, s[0:1], 0, 0, vcc
	s_waitcnt lgkmcnt(0)
	s_sub_u32 s0, s10, s40
	v_mov_b32_e32 v8, s9
	v_add_co_u32_e32 v6, vcc, s8, v6
	s_subb_u32 s1, s11, 0
	v_addc_co_u32_e32 v7, vcc, v8, v7, vcc
	v_cmp_gt_i64_e32 vcc, s[0:1], v[6:7]
	s_and_saveexec_b64 s[2:3], vcc
	s_cbranch_execz .LBB124_23
; %bb.6:
	s_load_dwordx2 s[6:7], s[4:5], 0x48
	s_load_dwordx8 s[8:15], s[4:5], 0x28
	v_and_b32_e32 v8, 63, v0
	v_subrev_co_u32_e32 v19, vcc, s41, v8
	s_mov_b32 s20, 0
	v_subb_co_u32_e64 v22, s[18:19], 0, 0, vcc
	s_mov_b32 s33, s40
	s_mov_b32 s38, s41
	s_mov_b64 s[18:19], 0
	s_waitcnt lgkmcnt(0)
	v_mov_b32_e32 v23, s9
	v_mov_b32_e32 v24, s21
	;; [unrolled: 1-line block ×4, first 2 shown]
	s_movk_i32 s9, 0x89
	s_branch .LBB124_8
.LBB124_7:                              ;   in Loop: Header=BB124_8 Depth=1
	s_or_b64 exec, exec, s[20:21]
	v_add_co_u32_e32 v6, vcc, 16, v6
	v_addc_co_u32_e32 v7, vcc, 0, v7, vcc
	v_cmp_le_i64_e32 vcc, s[0:1], v[6:7]
	s_or_b64 s[18:19], vcc, s[18:19]
	s_andn2_b64 exec, exec, s[18:19]
	s_cbranch_execz .LBB124_23
.LBB124_8:                              ; =>This Loop Header: Depth=1
                                        ;     Child Loop BB124_11 Depth 2
                                        ;       Child Loop BB124_13 Depth 3
	v_lshlrev_b64 v[12:13], 3, v[6:7]
	v_add_co_u32_e32 v8, vcc, s8, v12
	v_addc_co_u32_e32 v9, vcc, v23, v13, vcc
	global_load_dwordx2 v[8:9], v[8:9], off
	s_waitcnt vmcnt(0)
	v_subrev_co_u32_e32 v8, vcc, s33, v8
	v_subb_co_u32_e32 v9, vcc, v9, v24, vcc
	v_lshlrev_b64 v[8:9], 3, v[8:9]
	v_add_co_u32_e32 v8, vcc, s12, v8
	v_addc_co_u32_e32 v9, vcc, v25, v9, vcc
	global_load_dwordx4 v[14:17], v[8:9], off
	s_waitcnt vmcnt(0)
	v_subrev_co_u32_e32 v8, vcc, s38, v16
	v_subb_co_u32_e32 v9, vcc, v17, v26, vcc
	v_add_co_u32_e32 v10, vcc, v14, v19
	v_addc_co_u32_e32 v11, vcc, v15, v22, vcc
	v_cmp_lt_i64_e32 vcc, v[10:11], v[8:9]
	s_and_saveexec_b64 s[20:21], vcc
	s_cbranch_execz .LBB124_7
; %bb.9:                                ;   in Loop: Header=BB124_8 Depth=1
	v_mov_b32_e32 v14, s11
	v_add_co_u32_e32 v12, vcc, s10, v12
	v_addc_co_u32_e32 v13, vcc, v14, v13, vcc
	global_load_dwordx2 v[12:13], v[12:13], off
	s_mov_b64 s[22:23], 0
	s_waitcnt vmcnt(0)
	v_mul_f64 v[12:13], v[4:5], v[12:13]
	s_branch .LBB124_11
.LBB124_10:                             ;   in Loop: Header=BB124_11 Depth=2
	s_or_b64 exec, exec, s[24:25]
	v_add_co_u32_e32 v10, vcc, 64, v10
	v_addc_co_u32_e32 v11, vcc, 0, v11, vcc
	v_cmp_ge_i64_e32 vcc, v[10:11], v[8:9]
	s_or_b64 s[22:23], vcc, s[22:23]
	s_andn2_b64 exec, exec, s[22:23]
	s_cbranch_execz .LBB124_7
.LBB124_11:                             ;   Parent Loop BB124_8 Depth=1
                                        ; =>  This Loop Header: Depth=2
                                        ;       Child Loop BB124_13 Depth 3
	v_lshlrev_b64 v[14:15], 3, v[10:11]
	v_mov_b32_e32 v17, s15
	v_add_co_u32_e32 v16, vcc, s14, v14
	v_addc_co_u32_e32 v17, vcc, v17, v15, vcc
	global_load_dwordx2 v[16:17], v[16:17], off
	v_mov_b32_e32 v18, s7
	v_add_co_u32_e32 v14, vcc, s6, v14
	v_addc_co_u32_e32 v15, vcc, v18, v15, vcc
	global_load_dwordx2 v[20:21], v[14:15], off
	s_mov_b64 s[24:25], 0
	s_waitcnt vmcnt(1)
	v_subrev_co_u32_e32 v14, vcc, s38, v16
	v_mul_lo_u32 v18, v14, s9
	v_subb_co_u32_e32 v15, vcc, v17, v26, vcc
	v_and_b32_e32 v18, 0x1fff, v18
	s_waitcnt vmcnt(0)
	v_mul_f64 v[16:17], v[12:13], v[20:21]
	s_branch .LBB124_13
.LBB124_12:                             ;   in Loop: Header=BB124_13 Depth=3
	s_or_b64 exec, exec, s[26:27]
	s_xor_b64 s[26:27], s[28:29], -1
	s_and_b64 s[26:27], exec, s[26:27]
	s_or_b64 s[24:25], s[26:27], s[24:25]
	s_andn2_b64 exec, exec, s[24:25]
	s_cbranch_execz .LBB124_10
.LBB124_13:                             ;   Parent Loop BB124_8 Depth=1
                                        ;     Parent Loop BB124_11 Depth=2
                                        ; =>    This Inner Loop Header: Depth=3
	v_lshl_add_u32 v27, v18, 3, 0
	ds_read_b64 v[20:21], v27
                                        ; implicit-def: $sgpr28_sgpr29
	s_waitcnt lgkmcnt(0)
	v_cmp_ne_u64_e32 vcc, v[20:21], v[14:15]
	s_and_saveexec_b64 s[26:27], vcc
	s_xor_b64 s[26:27], exec, s[26:27]
	s_cbranch_execz .LBB124_21
; %bb.14:                               ;   in Loop: Header=BB124_13 Depth=3
	v_cmp_ne_u64_e32 vcc, s[72:73], v[20:21]
                                        ; implicit-def: $sgpr28_sgpr29
	s_and_saveexec_b64 s[30:31], vcc
	s_xor_b64 s[30:31], exec, s[30:31]
; %bb.15:                               ;   in Loop: Header=BB124_13 Depth=3
	v_add_u32_e32 v18, 1, v18
	v_and_b32_e32 v18, 0x1fff, v18
	s_mov_b64 s[28:29], -1
                                        ; implicit-def: $vgpr27
; %bb.16:                               ;   in Loop: Header=BB124_13 Depth=3
	s_andn2_saveexec_b64 s[30:31], s[30:31]
	s_cbranch_execz .LBB124_20
; %bb.17:                               ;   in Loop: Header=BB124_13 Depth=3
	v_pk_mov_b32 v[20:21], s[72:73], s[72:73] op_sel:[0,1]
	ds_cmpst_rtn_b64 v[20:21], v27, v[20:21], v[14:15]
	s_mov_b64 s[34:35], -1
	s_waitcnt lgkmcnt(0)
	v_cmp_eq_u64_e32 vcc, s[72:73], v[20:21]
	s_and_saveexec_b64 s[36:37], vcc
	s_cbranch_execz .LBB124_19
; %bb.18:                               ;   in Loop: Header=BB124_13 Depth=3
	v_add_u32_e32 v20, 0x10000, v27
	ds_add_f64 v20, v[16:17]
	s_xor_b64 s[34:35], exec, -1
.LBB124_19:                             ;   in Loop: Header=BB124_13 Depth=3
	s_or_b64 exec, exec, s[36:37]
	s_andn2_b64 s[28:29], s[28:29], exec
	s_and_b64 s[34:35], s[34:35], exec
	s_or_b64 s[28:29], s[28:29], s[34:35]
.LBB124_20:                             ;   in Loop: Header=BB124_13 Depth=3
	s_or_b64 exec, exec, s[30:31]
	s_and_b64 s[28:29], s[28:29], exec
                                        ; implicit-def: $vgpr27
.LBB124_21:                             ;   in Loop: Header=BB124_13 Depth=3
	s_andn2_saveexec_b64 s[26:27], s[26:27]
	s_cbranch_execz .LBB124_12
; %bb.22:                               ;   in Loop: Header=BB124_13 Depth=3
	v_add_u32_e32 v20, 0x10000, v27
	ds_add_f64 v20, v[16:17]
	s_andn2_b64 s[28:29], s[28:29], exec
	s_branch .LBB124_12
.LBB124_23:
	s_or_b64 exec, exec, s[2:3]
.LBB124_24:
	s_load_dwordx2 s[26:27], s[4:5], 0x80
	s_load_dwordx4 s[0:3], s[4:5], 0x70
                                        ; implicit-def: $vgpr28 : SGPR spill to VGPR lane
	s_andn2_b64 vcc, exec, s[16:17]
	s_waitcnt lgkmcnt(0)
	v_writelane_b32 v28, s0, 0
	v_writelane_b32 v28, s1, 1
	;; [unrolled: 1-line block ×4, first 2 shown]
	s_cbranch_vccnz .LBB124_41
; %bb.25:
	s_load_dwordx2 s[0:1], s[4:5], 0x58
	s_lshl_b64 s[2:3], s[44:45], 3
	s_waitcnt vmcnt(0)
	v_subrev_co_u32_e32 v4, vcc, s43, v0
	v_subb_co_u32_e64 v5, s[6:7], 0, 0, vcc
	s_waitcnt lgkmcnt(0)
	s_add_u32 s0, s0, s2
	s_addc_u32 s1, s1, s3
	s_load_dwordx4 s[0:3], s[0:1], 0x0
	s_mov_b32 s10, 0
	s_waitcnt lgkmcnt(0)
	s_sub_u32 s6, s2, s43
	v_mov_b32_e32 v6, s1
	v_add_co_u32_e32 v4, vcc, s0, v4
	s_subb_u32 s7, s3, 0
	v_addc_co_u32_e32 v5, vcc, v6, v5, vcc
	v_cmp_gt_i64_e32 vcc, s[6:7], v[4:5]
	s_and_saveexec_b64 s[8:9], vcc
	s_cbranch_execz .LBB124_40
; %bb.26:
	s_load_dwordx4 s[0:3], s[4:5], 0x60
	s_mov_b32 s22, s43
	s_mov_b64 s[4:5], 0
	v_mov_b32_e32 v11, s10
	s_waitcnt lgkmcnt(0)
	v_mov_b32_e32 v14, s1
	v_mov_b32_e32 v15, s3
	s_movk_i32 s1, 0x89
	s_branch .LBB124_28
.LBB124_27:                             ;   in Loop: Header=BB124_28 Depth=1
	s_or_b64 exec, exec, s[10:11]
	v_add_co_u32_e32 v4, vcc, 0x400, v4
	v_addc_co_u32_e32 v5, vcc, 0, v5, vcc
	v_cmp_le_i64_e32 vcc, s[6:7], v[4:5]
	s_or_b64 s[4:5], vcc, s[4:5]
	s_andn2_b64 exec, exec, s[4:5]
	s_cbranch_execz .LBB124_40
.LBB124_28:                             ; =>This Loop Header: Depth=1
                                        ;     Child Loop BB124_30 Depth 2
	v_lshlrev_b64 v[6:7], 3, v[4:5]
	v_add_co_u32_e32 v8, vcc, s0, v6
	v_addc_co_u32_e32 v9, vcc, v14, v7, vcc
	global_load_dwordx2 v[8:9], v[8:9], off
	v_add_co_u32_e32 v6, vcc, s2, v6
	v_addc_co_u32_e32 v7, vcc, v15, v7, vcc
	global_load_dwordx2 v[12:13], v[6:7], off
	s_mov_b64 s[10:11], 0
	s_waitcnt vmcnt(1)
	v_subrev_co_u32_e32 v6, vcc, s22, v8
	v_mul_lo_u32 v10, v6, s1
	v_subb_co_u32_e32 v7, vcc, v9, v11, vcc
	s_waitcnt vmcnt(0)
	v_mul_f64 v[8:9], v[2:3], v[12:13]
	v_and_b32_e32 v10, 0x1fff, v10
	s_branch .LBB124_30
.LBB124_29:                             ;   in Loop: Header=BB124_30 Depth=2
	s_or_b64 exec, exec, s[12:13]
	s_xor_b64 s[12:13], s[14:15], -1
	s_and_b64 s[12:13], exec, s[12:13]
	s_or_b64 s[10:11], s[12:13], s[10:11]
	s_andn2_b64 exec, exec, s[10:11]
	s_cbranch_execz .LBB124_27
.LBB124_30:                             ;   Parent Loop BB124_28 Depth=1
                                        ; =>  This Inner Loop Header: Depth=2
	v_lshl_add_u32 v16, v10, 3, 0
	ds_read_b64 v[12:13], v16
                                        ; implicit-def: $sgpr14_sgpr15
	s_waitcnt lgkmcnt(0)
	v_cmp_ne_u64_e32 vcc, v[12:13], v[6:7]
	s_and_saveexec_b64 s[12:13], vcc
	s_xor_b64 s[12:13], exec, s[12:13]
	s_cbranch_execz .LBB124_38
; %bb.31:                               ;   in Loop: Header=BB124_30 Depth=2
	v_cmp_ne_u64_e32 vcc, s[72:73], v[12:13]
                                        ; implicit-def: $sgpr14_sgpr15
	s_and_saveexec_b64 s[16:17], vcc
	s_xor_b64 s[16:17], exec, s[16:17]
; %bb.32:                               ;   in Loop: Header=BB124_30 Depth=2
	v_add_u32_e32 v10, 1, v10
	v_and_b32_e32 v10, 0x1fff, v10
	s_mov_b64 s[14:15], -1
                                        ; implicit-def: $vgpr16
; %bb.33:                               ;   in Loop: Header=BB124_30 Depth=2
	s_andn2_saveexec_b64 s[16:17], s[16:17]
	s_cbranch_execz .LBB124_37
; %bb.34:                               ;   in Loop: Header=BB124_30 Depth=2
	v_pk_mov_b32 v[12:13], s[72:73], s[72:73] op_sel:[0,1]
	ds_cmpst_rtn_b64 v[12:13], v16, v[12:13], v[6:7]
	s_mov_b64 s[18:19], -1
	s_waitcnt lgkmcnt(0)
	v_cmp_eq_u64_e32 vcc, s[72:73], v[12:13]
	s_and_saveexec_b64 s[20:21], vcc
	s_cbranch_execz .LBB124_36
; %bb.35:                               ;   in Loop: Header=BB124_30 Depth=2
	v_add_u32_e32 v12, 0x10000, v16
	ds_add_f64 v12, v[8:9]
	s_xor_b64 s[18:19], exec, -1
.LBB124_36:                             ;   in Loop: Header=BB124_30 Depth=2
	s_or_b64 exec, exec, s[20:21]
	s_andn2_b64 s[14:15], s[14:15], exec
	s_and_b64 s[18:19], s[18:19], exec
	s_or_b64 s[14:15], s[14:15], s[18:19]
.LBB124_37:                             ;   in Loop: Header=BB124_30 Depth=2
	s_or_b64 exec, exec, s[16:17]
	s_and_b64 s[14:15], s[14:15], exec
                                        ; implicit-def: $vgpr16
.LBB124_38:                             ;   in Loop: Header=BB124_30 Depth=2
	s_andn2_saveexec_b64 s[12:13], s[12:13]
	s_cbranch_execz .LBB124_29
; %bb.39:                               ;   in Loop: Header=BB124_30 Depth=2
	v_add_u32_e32 v12, 0x10000, v16
	ds_add_f64 v12, v[8:9]
	s_andn2_b64 s[14:15], s[14:15], exec
	s_branch .LBB124_29
.LBB124_40:
	s_or_b64 exec, exec, s[8:9]
.LBB124_41:
	v_writelane_b32 v28, s26, 4
	v_writelane_b32 v28, s27, 5
	;; [unrolled: 1-line block ×4, first 2 shown]
	s_movk_i32 s33, 0x25f
	v_writelane_b32 v28, s40, 8
	v_cmp_lt_u32_e64 s[34:35], s33, v0
	s_movk_i32 s33, 0x27f
	v_writelane_b32 v28, s41, 9
	v_cmp_lt_u32_e64 s[36:37], s33, v0
	;; [unrolled: 3-line block ×4, first 2 shown]
	s_movk_i32 s33, 0x2df
	v_cmp_lt_u32_e64 s[42:43], s33, v0
	s_movk_i32 s33, 0x2ff
	v_cmp_lt_u32_e64 s[44:45], s33, v0
	;; [unrolled: 2-line block ×7, first 2 shown]
	s_movk_i32 s33, 0x3bf
	s_add_i32 s0, 0, 0x20000
	v_cmp_lt_u32_e64 s[56:57], s33, v0
	s_movk_i32 s33, 0x3df
	v_writelane_b32 v28, s0, 12
	v_cmp_lt_u32_e64 s[58:59], s33, v0
	s_add_i32 s33, 0, 0x20008
	v_writelane_b32 v28, s33, 13
	s_add_i32 s33, 0, 0x20010
	s_waitcnt vmcnt(0)
	v_mbcnt_lo_u32_b32 v2, -1, 0
	v_writelane_b32 v28, s33, 14
	s_add_i32 s33, 0, 0x20018
	v_mbcnt_hi_u32_b32 v2, -1, v2
	v_writelane_b32 v28, s33, 15
	s_add_i32 s33, 0, 0x20020
	v_sub_u32_e32 v2, 63, v2
	v_writelane_b32 v28, s33, 16
	s_add_i32 s33, 0, 0x20028
	v_lshrrev_b64 v[4:5], v2, -1
	v_lshrrev_b32_e32 v2, 2, v0
	v_writelane_b32 v28, s33, 17
	s_add_i32 s33, 0, 0x20030
	v_and_b32_e32 v2, 0xf8, v2
	v_writelane_b32 v28, s33, 18
	s_add_i32 s33, 0, 0x20038
	v_add_u32_e32 v14, s0, v2
	s_movk_i32 s0, 0x3ff
	v_writelane_b32 v28, s33, 19
	s_add_i32 s33, 0, 0x20040
	v_cmp_eq_u32_e32 vcc, s0, v0
	s_movk_i32 s0, 0x5f
	s_movk_i32 s2, 0x7f
	;; [unrolled: 1-line block ×16, first 2 shown]
	v_writelane_b32 v28, s33, 20
	s_add_i32 s33, 0, 0x20048
	v_mov_b32_e32 v3, 0
	v_cmp_lt_u32_e64 s[0:1], s0, v0
	v_cmp_lt_u32_e64 s[2:3], s2, v0
	;; [unrolled: 1-line block ×16, first 2 shown]
	v_or_b32_e32 v15, 0xfffffc00, v0
	v_pk_mov_b32 v[6:7], 0, 0
	v_writelane_b32 v28, s33, 21
	s_add_i32 s90, 0, 0x20050
	s_add_i32 s91, 0, 0x20058
	;; [unrolled: 1-line block ×22, first 2 shown]
	s_movk_i32 s87, 0x1bff
	v_cmp_lt_u32_e64 s[60:61], 31, v0
	v_cmp_lt_u32_e64 s[62:63], 63, v0
	s_mov_b64 s[78:79], 0
	s_waitcnt lgkmcnt(0)
	s_barrier
	s_branch .LBB124_43
.LBB124_42:                             ;   in Loop: Header=BB124_43 Depth=1
	s_or_b64 exec, exec, s[64:65]
	v_mov_b32_e32 v2, s86
	s_waitcnt lgkmcnt(0)
	s_barrier
	ds_read_b64 v[8:9], v2
	v_add_u32_e32 v15, 0x400, v15
	v_add_u32_e32 v1, 0x2000, v1
	s_waitcnt lgkmcnt(0)
	v_add_co_u32_e64 v6, s[64:65], v8, v6
	v_addc_co_u32_e64 v7, s[64:65], v9, v7, s[64:65]
	v_cmp_lt_u32_e64 s[64:65], s87, v15
	s_or_b64 s[78:79], s[64:65], s[78:79]
	s_andn2_b64 exec, exec, s[78:79]
	s_cbranch_execz .LBB124_109
.LBB124_43:                             ; =>This Inner Loop Header: Depth=1
	ds_read_b64 v[8:9], v1
	v_add_u32_e32 v2, 0x10000, v1
	ds_read_b64 v[10:11], v2
	s_waitcnt lgkmcnt(0)
	s_barrier
	v_cmp_gt_i64_e64 s[64:65], s[72:73], v[8:9]
	v_and_b32_e32 v13, s64, v4
	s_bcnt1_i32_b64 s80, s[64:65]
	v_and_b32_e32 v12, s65, v5
	v_bcnt_u32_b32 v13, v13, 0
	v_mov_b32_e32 v2, s80
	v_bcnt_u32_b32 v12, v12, v13
	ds_write_b64 v14, v[2:3]
	s_waitcnt lgkmcnt(0)
	s_barrier
	s_and_saveexec_b64 s[80:81], s[60:61]
	s_cbranch_execnz .LBB124_76
; %bb.44:                               ;   in Loop: Header=BB124_43 Depth=1
	s_or_b64 exec, exec, s[80:81]
	s_and_saveexec_b64 s[80:81], s[62:63]
	s_cbranch_execnz .LBB124_77
.LBB124_45:                             ;   in Loop: Header=BB124_43 Depth=1
	s_or_b64 exec, exec, s[80:81]
	s_and_saveexec_b64 s[80:81], s[0:1]
	s_cbranch_execnz .LBB124_78
.LBB124_46:                             ;   in Loop: Header=BB124_43 Depth=1
	s_or_b64 exec, exec, s[80:81]
	s_and_saveexec_b64 s[80:81], s[2:3]
	s_cbranch_execnz .LBB124_79
.LBB124_47:                             ;   in Loop: Header=BB124_43 Depth=1
	s_or_b64 exec, exec, s[80:81]
	s_and_saveexec_b64 s[80:81], s[4:5]
	s_cbranch_execnz .LBB124_80
.LBB124_48:                             ;   in Loop: Header=BB124_43 Depth=1
	s_or_b64 exec, exec, s[80:81]
	s_and_saveexec_b64 s[80:81], s[6:7]
	s_cbranch_execnz .LBB124_81
.LBB124_49:                             ;   in Loop: Header=BB124_43 Depth=1
	s_or_b64 exec, exec, s[80:81]
	s_and_saveexec_b64 s[80:81], s[8:9]
	s_cbranch_execnz .LBB124_82
.LBB124_50:                             ;   in Loop: Header=BB124_43 Depth=1
	s_or_b64 exec, exec, s[80:81]
	s_and_saveexec_b64 s[80:81], s[10:11]
	s_cbranch_execnz .LBB124_83
.LBB124_51:                             ;   in Loop: Header=BB124_43 Depth=1
	s_or_b64 exec, exec, s[80:81]
	s_and_saveexec_b64 s[80:81], s[12:13]
	s_cbranch_execnz .LBB124_84
.LBB124_52:                             ;   in Loop: Header=BB124_43 Depth=1
	s_or_b64 exec, exec, s[80:81]
	s_and_saveexec_b64 s[80:81], s[14:15]
	s_cbranch_execnz .LBB124_85
.LBB124_53:                             ;   in Loop: Header=BB124_43 Depth=1
	s_or_b64 exec, exec, s[80:81]
	s_and_saveexec_b64 s[80:81], s[16:17]
	s_cbranch_execnz .LBB124_86
.LBB124_54:                             ;   in Loop: Header=BB124_43 Depth=1
	s_or_b64 exec, exec, s[80:81]
	s_and_saveexec_b64 s[80:81], s[18:19]
	s_cbranch_execnz .LBB124_87
.LBB124_55:                             ;   in Loop: Header=BB124_43 Depth=1
	s_or_b64 exec, exec, s[80:81]
	s_and_saveexec_b64 s[80:81], s[20:21]
	s_cbranch_execnz .LBB124_88
.LBB124_56:                             ;   in Loop: Header=BB124_43 Depth=1
	s_or_b64 exec, exec, s[80:81]
	s_and_saveexec_b64 s[80:81], s[22:23]
	s_cbranch_execnz .LBB124_89
.LBB124_57:                             ;   in Loop: Header=BB124_43 Depth=1
	s_or_b64 exec, exec, s[80:81]
	s_and_saveexec_b64 s[80:81], s[24:25]
	s_cbranch_execnz .LBB124_90
.LBB124_58:                             ;   in Loop: Header=BB124_43 Depth=1
	s_or_b64 exec, exec, s[80:81]
	s_and_saveexec_b64 s[80:81], s[26:27]
	s_cbranch_execnz .LBB124_91
.LBB124_59:                             ;   in Loop: Header=BB124_43 Depth=1
	s_or_b64 exec, exec, s[80:81]
	s_and_saveexec_b64 s[80:81], s[28:29]
	s_cbranch_execnz .LBB124_92
.LBB124_60:                             ;   in Loop: Header=BB124_43 Depth=1
	s_or_b64 exec, exec, s[80:81]
	s_and_saveexec_b64 s[80:81], s[30:31]
	s_cbranch_execnz .LBB124_93
.LBB124_61:                             ;   in Loop: Header=BB124_43 Depth=1
	s_or_b64 exec, exec, s[80:81]
	s_and_saveexec_b64 s[80:81], s[34:35]
	s_cbranch_execnz .LBB124_94
.LBB124_62:                             ;   in Loop: Header=BB124_43 Depth=1
	s_or_b64 exec, exec, s[80:81]
	s_and_saveexec_b64 s[80:81], s[36:37]
	s_cbranch_execnz .LBB124_95
.LBB124_63:                             ;   in Loop: Header=BB124_43 Depth=1
	s_or_b64 exec, exec, s[80:81]
	s_and_saveexec_b64 s[80:81], s[38:39]
	s_cbranch_execnz .LBB124_96
.LBB124_64:                             ;   in Loop: Header=BB124_43 Depth=1
	s_or_b64 exec, exec, s[80:81]
	s_and_saveexec_b64 s[80:81], s[40:41]
	s_cbranch_execnz .LBB124_97
.LBB124_65:                             ;   in Loop: Header=BB124_43 Depth=1
	s_or_b64 exec, exec, s[80:81]
	s_and_saveexec_b64 s[80:81], s[42:43]
	s_cbranch_execnz .LBB124_98
.LBB124_66:                             ;   in Loop: Header=BB124_43 Depth=1
	s_or_b64 exec, exec, s[80:81]
	s_and_saveexec_b64 s[80:81], s[44:45]
	s_cbranch_execnz .LBB124_99
.LBB124_67:                             ;   in Loop: Header=BB124_43 Depth=1
	s_or_b64 exec, exec, s[80:81]
	s_and_saveexec_b64 s[80:81], s[46:47]
	s_cbranch_execnz .LBB124_100
.LBB124_68:                             ;   in Loop: Header=BB124_43 Depth=1
	s_or_b64 exec, exec, s[80:81]
	s_and_saveexec_b64 s[80:81], s[48:49]
	s_cbranch_execnz .LBB124_101
.LBB124_69:                             ;   in Loop: Header=BB124_43 Depth=1
	s_or_b64 exec, exec, s[80:81]
	s_and_saveexec_b64 s[80:81], s[50:51]
	s_cbranch_execnz .LBB124_102
.LBB124_70:                             ;   in Loop: Header=BB124_43 Depth=1
	s_or_b64 exec, exec, s[80:81]
	s_and_saveexec_b64 s[80:81], s[52:53]
	s_cbranch_execnz .LBB124_103
.LBB124_71:                             ;   in Loop: Header=BB124_43 Depth=1
	s_or_b64 exec, exec, s[80:81]
	s_and_saveexec_b64 s[80:81], s[54:55]
	s_cbranch_execnz .LBB124_104
.LBB124_72:                             ;   in Loop: Header=BB124_43 Depth=1
	s_or_b64 exec, exec, s[80:81]
	s_and_saveexec_b64 s[80:81], s[56:57]
	s_cbranch_execnz .LBB124_105
.LBB124_73:                             ;   in Loop: Header=BB124_43 Depth=1
	s_or_b64 exec, exec, s[80:81]
	s_and_saveexec_b64 s[80:81], s[58:59]
	s_cbranch_execnz .LBB124_106
.LBB124_74:                             ;   in Loop: Header=BB124_43 Depth=1
	s_or_b64 exec, exec, s[80:81]
	v_ashrrev_i32_e32 v13, 31, v12
	s_and_saveexec_b64 s[80:81], s[64:65]
	s_cbranch_execnz .LBB124_107
.LBB124_75:                             ;   in Loop: Header=BB124_43 Depth=1
	s_or_b64 exec, exec, s[80:81]
	s_and_saveexec_b64 s[64:65], vcc
	s_cbranch_execz .LBB124_42
	s_branch .LBB124_108
.LBB124_76:                             ;   in Loop: Header=BB124_43 Depth=1
	v_readlane_b32 s88, v28, 12
	v_mov_b32_e32 v2, s88
	ds_read_b32 v2, v2
	s_waitcnt lgkmcnt(0)
	v_add_u32_e32 v12, v2, v12
	s_or_b64 exec, exec, s[80:81]
	s_and_saveexec_b64 s[80:81], s[62:63]
	s_cbranch_execz .LBB124_45
.LBB124_77:                             ;   in Loop: Header=BB124_43 Depth=1
	v_readlane_b32 s88, v28, 13
	v_mov_b32_e32 v2, s88
	ds_read_b32 v2, v2
	s_waitcnt lgkmcnt(0)
	v_add_u32_e32 v12, v12, v2
	s_or_b64 exec, exec, s[80:81]
	s_and_saveexec_b64 s[80:81], s[0:1]
	s_cbranch_execz .LBB124_46
.LBB124_78:                             ;   in Loop: Header=BB124_43 Depth=1
	v_readlane_b32 s88, v28, 14
	v_mov_b32_e32 v2, s88
	ds_read_b32 v2, v2
	s_waitcnt lgkmcnt(0)
	v_add_u32_e32 v12, v12, v2
	s_or_b64 exec, exec, s[80:81]
	s_and_saveexec_b64 s[80:81], s[2:3]
	s_cbranch_execz .LBB124_47
.LBB124_79:                             ;   in Loop: Header=BB124_43 Depth=1
	v_readlane_b32 s88, v28, 15
	v_mov_b32_e32 v2, s88
	ds_read_b32 v2, v2
	s_waitcnt lgkmcnt(0)
	v_add_u32_e32 v12, v12, v2
	s_or_b64 exec, exec, s[80:81]
	s_and_saveexec_b64 s[80:81], s[4:5]
	s_cbranch_execz .LBB124_48
.LBB124_80:                             ;   in Loop: Header=BB124_43 Depth=1
	v_readlane_b32 s88, v28, 16
	v_mov_b32_e32 v2, s88
	ds_read_b32 v2, v2
	s_waitcnt lgkmcnt(0)
	v_add_u32_e32 v12, v12, v2
	s_or_b64 exec, exec, s[80:81]
	s_and_saveexec_b64 s[80:81], s[6:7]
	s_cbranch_execz .LBB124_49
.LBB124_81:                             ;   in Loop: Header=BB124_43 Depth=1
	v_readlane_b32 s88, v28, 17
	v_mov_b32_e32 v2, s88
	ds_read_b32 v2, v2
	s_waitcnt lgkmcnt(0)
	v_add_u32_e32 v12, v12, v2
	s_or_b64 exec, exec, s[80:81]
	s_and_saveexec_b64 s[80:81], s[8:9]
	s_cbranch_execz .LBB124_50
.LBB124_82:                             ;   in Loop: Header=BB124_43 Depth=1
	v_readlane_b32 s88, v28, 18
	v_mov_b32_e32 v2, s88
	ds_read_b32 v2, v2
	s_waitcnt lgkmcnt(0)
	v_add_u32_e32 v12, v12, v2
	s_or_b64 exec, exec, s[80:81]
	s_and_saveexec_b64 s[80:81], s[10:11]
	s_cbranch_execz .LBB124_51
.LBB124_83:                             ;   in Loop: Header=BB124_43 Depth=1
	v_readlane_b32 s88, v28, 19
	v_mov_b32_e32 v2, s88
	ds_read_b32 v2, v2
	s_waitcnt lgkmcnt(0)
	v_add_u32_e32 v12, v12, v2
	s_or_b64 exec, exec, s[80:81]
	s_and_saveexec_b64 s[80:81], s[12:13]
	s_cbranch_execz .LBB124_52
.LBB124_84:                             ;   in Loop: Header=BB124_43 Depth=1
	v_readlane_b32 s88, v28, 20
	v_mov_b32_e32 v2, s88
	ds_read_b32 v2, v2
	s_waitcnt lgkmcnt(0)
	v_add_u32_e32 v12, v12, v2
	s_or_b64 exec, exec, s[80:81]
	s_and_saveexec_b64 s[80:81], s[14:15]
	s_cbranch_execz .LBB124_53
.LBB124_85:                             ;   in Loop: Header=BB124_43 Depth=1
	v_readlane_b32 s88, v28, 21
	v_mov_b32_e32 v2, s88
	ds_read_b32 v2, v2
	s_waitcnt lgkmcnt(0)
	v_add_u32_e32 v12, v12, v2
	s_or_b64 exec, exec, s[80:81]
	s_and_saveexec_b64 s[80:81], s[16:17]
	s_cbranch_execz .LBB124_54
.LBB124_86:                             ;   in Loop: Header=BB124_43 Depth=1
	v_mov_b32_e32 v2, s90
	ds_read_b32 v2, v2
	s_waitcnt lgkmcnt(0)
	v_add_u32_e32 v12, v12, v2
	s_or_b64 exec, exec, s[80:81]
	s_and_saveexec_b64 s[80:81], s[18:19]
	s_cbranch_execz .LBB124_55
.LBB124_87:                             ;   in Loop: Header=BB124_43 Depth=1
	v_mov_b32_e32 v2, s91
	ds_read_b32 v2, v2
	s_waitcnt lgkmcnt(0)
	v_add_u32_e32 v12, v12, v2
	s_or_b64 exec, exec, s[80:81]
	s_and_saveexec_b64 s[80:81], s[20:21]
	s_cbranch_execz .LBB124_56
.LBB124_88:                             ;   in Loop: Header=BB124_43 Depth=1
	v_mov_b32_e32 v2, s92
	ds_read_b32 v2, v2
	s_waitcnt lgkmcnt(0)
	v_add_u32_e32 v12, v12, v2
	s_or_b64 exec, exec, s[80:81]
	s_and_saveexec_b64 s[80:81], s[22:23]
	s_cbranch_execz .LBB124_57
.LBB124_89:                             ;   in Loop: Header=BB124_43 Depth=1
	v_mov_b32_e32 v2, s93
	ds_read_b32 v2, v2
	s_waitcnt lgkmcnt(0)
	v_add_u32_e32 v12, v12, v2
	s_or_b64 exec, exec, s[80:81]
	s_and_saveexec_b64 s[80:81], s[24:25]
	s_cbranch_execz .LBB124_58
.LBB124_90:                             ;   in Loop: Header=BB124_43 Depth=1
	v_mov_b32_e32 v2, s94
	ds_read_b32 v2, v2
	s_waitcnt lgkmcnt(0)
	v_add_u32_e32 v12, v12, v2
	s_or_b64 exec, exec, s[80:81]
	s_and_saveexec_b64 s[80:81], s[26:27]
	s_cbranch_execz .LBB124_59
.LBB124_91:                             ;   in Loop: Header=BB124_43 Depth=1
	v_mov_b32_e32 v2, s95
	ds_read_b32 v2, v2
	s_waitcnt lgkmcnt(0)
	v_add_u32_e32 v12, v12, v2
	s_or_b64 exec, exec, s[80:81]
	s_and_saveexec_b64 s[80:81], s[28:29]
	s_cbranch_execz .LBB124_60
.LBB124_92:                             ;   in Loop: Header=BB124_43 Depth=1
	v_mov_b32_e32 v2, s74
	ds_read_b32 v2, v2
	s_waitcnt lgkmcnt(0)
	v_add_u32_e32 v12, v12, v2
	s_or_b64 exec, exec, s[80:81]
	s_and_saveexec_b64 s[80:81], s[30:31]
	s_cbranch_execz .LBB124_61
.LBB124_93:                             ;   in Loop: Header=BB124_43 Depth=1
	v_mov_b32_e32 v2, s75
	ds_read_b32 v2, v2
	s_waitcnt lgkmcnt(0)
	v_add_u32_e32 v12, v12, v2
	s_or_b64 exec, exec, s[80:81]
	s_and_saveexec_b64 s[80:81], s[34:35]
	s_cbranch_execz .LBB124_62
.LBB124_94:                             ;   in Loop: Header=BB124_43 Depth=1
	v_mov_b32_e32 v2, s66
	ds_read_b32 v2, v2
	s_waitcnt lgkmcnt(0)
	v_add_u32_e32 v12, v12, v2
	s_or_b64 exec, exec, s[80:81]
	s_and_saveexec_b64 s[80:81], s[36:37]
	s_cbranch_execz .LBB124_63
.LBB124_95:                             ;   in Loop: Header=BB124_43 Depth=1
	v_mov_b32_e32 v2, s76
	ds_read_b32 v2, v2
	s_waitcnt lgkmcnt(0)
	v_add_u32_e32 v12, v12, v2
	s_or_b64 exec, exec, s[80:81]
	s_and_saveexec_b64 s[80:81], s[38:39]
	s_cbranch_execz .LBB124_64
.LBB124_96:                             ;   in Loop: Header=BB124_43 Depth=1
	v_mov_b32_e32 v2, s77
	ds_read_b32 v2, v2
	s_waitcnt lgkmcnt(0)
	v_add_u32_e32 v12, v12, v2
	s_or_b64 exec, exec, s[80:81]
	s_and_saveexec_b64 s[80:81], s[40:41]
	s_cbranch_execz .LBB124_65
.LBB124_97:                             ;   in Loop: Header=BB124_43 Depth=1
	v_mov_b32_e32 v2, s68
	ds_read_b32 v2, v2
	s_waitcnt lgkmcnt(0)
	v_add_u32_e32 v12, v12, v2
	s_or_b64 exec, exec, s[80:81]
	s_and_saveexec_b64 s[80:81], s[42:43]
	s_cbranch_execz .LBB124_66
.LBB124_98:                             ;   in Loop: Header=BB124_43 Depth=1
	v_mov_b32_e32 v2, s69
	ds_read_b32 v2, v2
	s_waitcnt lgkmcnt(0)
	v_add_u32_e32 v12, v12, v2
	s_or_b64 exec, exec, s[80:81]
	s_and_saveexec_b64 s[80:81], s[44:45]
	s_cbranch_execz .LBB124_67
.LBB124_99:                             ;   in Loop: Header=BB124_43 Depth=1
	v_mov_b32_e32 v2, s70
	ds_read_b32 v2, v2
	s_waitcnt lgkmcnt(0)
	v_add_u32_e32 v12, v12, v2
	s_or_b64 exec, exec, s[80:81]
	s_and_saveexec_b64 s[80:81], s[46:47]
	s_cbranch_execz .LBB124_68
.LBB124_100:                            ;   in Loop: Header=BB124_43 Depth=1
	v_mov_b32_e32 v2, s71
	ds_read_b32 v2, v2
	s_waitcnt lgkmcnt(0)
	v_add_u32_e32 v12, v12, v2
	s_or_b64 exec, exec, s[80:81]
	s_and_saveexec_b64 s[80:81], s[48:49]
	s_cbranch_execz .LBB124_69
.LBB124_101:                            ;   in Loop: Header=BB124_43 Depth=1
	v_mov_b32_e32 v2, s33
	ds_read_b32 v2, v2
	s_waitcnt lgkmcnt(0)
	v_add_u32_e32 v12, v12, v2
	s_or_b64 exec, exec, s[80:81]
	s_and_saveexec_b64 s[80:81], s[50:51]
	s_cbranch_execz .LBB124_70
.LBB124_102:                            ;   in Loop: Header=BB124_43 Depth=1
	v_mov_b32_e32 v2, s67
	ds_read_b32 v2, v2
	s_waitcnt lgkmcnt(0)
	v_add_u32_e32 v12, v12, v2
	s_or_b64 exec, exec, s[80:81]
	s_and_saveexec_b64 s[80:81], s[52:53]
	s_cbranch_execz .LBB124_71
.LBB124_103:                            ;   in Loop: Header=BB124_43 Depth=1
	v_mov_b32_e32 v2, s82
	ds_read_b32 v2, v2
	s_waitcnt lgkmcnt(0)
	v_add_u32_e32 v12, v12, v2
	s_or_b64 exec, exec, s[80:81]
	s_and_saveexec_b64 s[80:81], s[54:55]
	s_cbranch_execz .LBB124_72
.LBB124_104:                            ;   in Loop: Header=BB124_43 Depth=1
	v_mov_b32_e32 v2, s83
	ds_read_b32 v2, v2
	s_waitcnt lgkmcnt(0)
	v_add_u32_e32 v12, v12, v2
	s_or_b64 exec, exec, s[80:81]
	s_and_saveexec_b64 s[80:81], s[56:57]
	s_cbranch_execz .LBB124_73
.LBB124_105:                            ;   in Loop: Header=BB124_43 Depth=1
	v_mov_b32_e32 v2, s84
	ds_read_b32 v2, v2
	s_waitcnt lgkmcnt(0)
	v_add_u32_e32 v12, v12, v2
	s_or_b64 exec, exec, s[80:81]
	s_and_saveexec_b64 s[80:81], s[58:59]
	s_cbranch_execz .LBB124_74
.LBB124_106:                            ;   in Loop: Header=BB124_43 Depth=1
	v_mov_b32_e32 v2, s85
	ds_read_b32 v2, v2
	s_waitcnt lgkmcnt(0)
	v_add_u32_e32 v12, v12, v2
	s_or_b64 exec, exec, s[80:81]
	v_ashrrev_i32_e32 v13, 31, v12
	s_and_saveexec_b64 s[80:81], s[64:65]
	s_cbranch_execz .LBB124_75
.LBB124_107:                            ;   in Loop: Header=BB124_43 Depth=1
	v_add3_u32 v2, v6, -1, v12
	v_lshl_add_u32 v2, v2, 3, 0
	v_add_u32_e32 v16, 0x10000, v2
	ds_write_b64 v2, v[8:9]
	ds_write_b64 v16, v[10:11]
	s_or_b64 exec, exec, s[80:81]
	s_and_saveexec_b64 s[64:65], vcc
	s_cbranch_execz .LBB124_42
.LBB124_108:                            ;   in Loop: Header=BB124_43 Depth=1
	v_mov_b32_e32 v2, s86
	ds_write_b64 v2, v[12:13]
	s_branch .LBB124_42
.LBB124_109:
	s_or_b64 exec, exec, s[78:79]
	v_readlane_b32 s0, v28, 6
	v_readlane_b32 s1, v28, 7
	s_lshl_b64 s[0:1], s[0:1], 3
	v_readlane_b32 s4, v28, 0
	v_readlane_b32 s5, v28, 1
	s_add_u32 s0, s4, s0
	s_addc_u32 s1, s5, s1
	s_load_dwordx4 s[0:3], s[0:1], 0x0
	v_mov_b32_e32 v1, 0
	v_readlane_b32 s6, v28, 2
	v_readlane_b32 s7, v28, 3
	s_waitcnt lgkmcnt(0)
	s_sub_u32 s4, s2, s0
	s_subb_u32 s5, s3, s1
	v_cmp_gt_i64_e32 vcc, s[4:5], v[0:1]
	s_and_saveexec_b64 s[6:7], vcc
	v_readlane_b32 s16, v28, 8
	v_readlane_b32 s20, v28, 4
	;; [unrolled: 1-line block ×6, first 2 shown]
	s_cbranch_execz .LBB124_119
; %bb.110:
	s_sub_u32 s6, s0, s18
	s_subb_u32 s7, s1, 0
	s_and_b32 s8, s4, 7
	s_sub_u32 s0, s0, s2
	s_mov_b32 s16, 0
	s_subb_u32 s1, s1, s3
	s_mov_b32 s9, s16
	s_and_b32 s2, s4, -8
	v_cmp_lt_u64_e64 s[0:1], s[0:1], -7
	s_cmp_lg_u64 s[8:9], 0
	v_cndmask_b32_e64 v2, 0, 1, s[0:1]
	s_mov_b32 s3, s5
	s_mov_b64 s[10:11], 0
	s_cselect_b64 s[12:13], -1, 0
	v_cmp_ne_u32_e64 s[0:1], 1, v2
	s_branch .LBB124_112
.LBB124_111:                            ;   in Loop: Header=BB124_112 Depth=1
	v_readlane_b32 s24, v28, 0
	v_mov_b32_e32 v8, s16
	s_waitcnt lgkmcnt(1)
	v_add_co_u32_e32 v4, vcc, s18, v4
	v_readlane_b32 s26, v28, 2
	v_readlane_b32 s27, v28, 3
	v_addc_co_u32_e32 v5, vcc, v5, v8, vcc
	v_lshlrev_b64 v[6:7], 3, v[6:7]
	s_mov_b64 s[14:15], s[26:27]
	v_mov_b32_e32 v9, s15
	v_add_co_u32_e32 v8, vcc, s14, v6
	v_addc_co_u32_e32 v9, vcc, v9, v7, vcc
	global_store_dwordx2 v[8:9], v[4:5], off
	v_mov_b32_e32 v5, s21
	v_add_co_u32_e32 v4, vcc, s20, v6
	v_addc_co_u32_e32 v5, vcc, v5, v7, vcc
	v_add_co_u32_e32 v0, vcc, 0x400, v0
	v_addc_co_u32_e32 v1, vcc, 0, v1, vcc
	v_cmp_le_i64_e32 vcc, s[4:5], v[0:1]
	s_or_b64 s[10:11], vcc, s[10:11]
	v_readlane_b32 s25, v28, 1
	s_waitcnt lgkmcnt(0)
	global_store_dwordx2 v[4:5], v[2:3], off
	s_andn2_b64 exec, exec, s[10:11]
	s_cbranch_execz .LBB124_119
.LBB124_112:                            ; =>This Loop Header: Depth=1
                                        ;     Child Loop BB124_114 Depth 2
                                        ;     Child Loop BB124_118 Depth 2
	v_lshl_add_u32 v2, v0, 3, 0
	v_add_u32_e32 v3, 0x10000, v2
	ds_read_b64 v[4:5], v2
	ds_read_b64 v[2:3], v3
	s_and_b64 vcc, exec, s[0:1]
	v_pk_mov_b32 v[6:7], s[6:7], s[6:7] op_sel:[0,1]
	s_mov_b64 s[14:15], 0
	s_cbranch_vccnz .LBB124_116
; %bb.113:                              ;   in Loop: Header=BB124_112 Depth=1
	s_mov_b32 s17, 0
	v_pk_mov_b32 v[6:7], s[6:7], s[6:7] op_sel:[0,1]
.LBB124_114:                            ;   Parent Loop BB124_112 Depth=1
                                        ; =>  This Inner Loop Header: Depth=2
	v_mov_b32_e32 v20, s17
	ds_read2_b64 v[8:11], v20 offset1:1
	ds_read2_b64 v[12:15], v20 offset0:2 offset1:3
	ds_read2_b64 v[16:19], v20 offset0:4 offset1:5
	ds_read2_b64 v[20:23], v20 offset0:6 offset1:7
	s_add_u32 s14, s14, 8
	s_waitcnt lgkmcnt(3)
	v_cmp_gt_i64_e32 vcc, v[4:5], v[8:9]
	v_cndmask_b32_e64 v8, 0, 1, vcc
	v_cmp_gt_i64_e32 vcc, v[4:5], v[10:11]
	v_cndmask_b32_e64 v9, 0, 1, vcc
	s_waitcnt lgkmcnt(2)
	v_cmp_gt_i64_e32 vcc, v[4:5], v[12:13]
	v_cndmask_b32_e64 v10, 0, 1, vcc
	v_cmp_gt_i64_e32 vcc, v[4:5], v[14:15]
	v_cndmask_b32_e64 v11, 0, 1, vcc
	;; [unrolled: 5-line block ×4, first 2 shown]
	v_add_co_u32_e32 v6, vcc, v6, v8
	v_addc_co_u32_e32 v7, vcc, 0, v7, vcc
	v_add_co_u32_e32 v6, vcc, v6, v9
	v_addc_co_u32_e32 v7, vcc, 0, v7, vcc
	;; [unrolled: 2-line block ×7, first 2 shown]
	s_addc_u32 s15, s15, 0
	s_add_i32 s17, s17, 64
	v_add_co_u32_e32 v6, vcc, v6, v15
	s_cmp_eq_u64 s[2:3], s[14:15]
	v_addc_co_u32_e32 v7, vcc, 0, v7, vcc
	s_cbranch_scc0 .LBB124_114
; %bb.115:                              ;   in Loop: Header=BB124_112 Depth=1
	s_mov_b64 s[14:15], s[2:3]
.LBB124_116:                            ;   in Loop: Header=BB124_112 Depth=1
	s_andn2_b64 vcc, exec, s[12:13]
	s_cbranch_vccnz .LBB124_111
; %bb.117:                              ;   in Loop: Header=BB124_112 Depth=1
	s_lshl_b32 s14, s14, 3
	s_add_i32 s17, s14, 0
	s_mov_b64 s[14:15], s[8:9]
.LBB124_118:                            ;   Parent Loop BB124_112 Depth=1
                                        ; =>  This Inner Loop Header: Depth=2
	v_mov_b32_e32 v8, s17
	ds_read_b64 v[8:9], v8
	s_add_i32 s17, s17, 8
	s_add_u32 s14, s14, -1
	s_addc_u32 s15, s15, -1
	s_cmp_lg_u64 s[14:15], 0
	s_waitcnt lgkmcnt(0)
	v_cmp_gt_i64_e32 vcc, v[4:5], v[8:9]
	v_cndmask_b32_e64 v8, 0, 1, vcc
	v_add_co_u32_e32 v6, vcc, v6, v8
	v_addc_co_u32_e32 v7, vcc, 0, v7, vcc
	s_cbranch_scc1 .LBB124_118
	s_branch .LBB124_111
.LBB124_119:
	s_endpgm
	.section	.rodata,"a",@progbits
	.p2align	6, 0x0
	.amdhsa_kernel _ZN9rocsparseL26csrgemm_fill_block_per_rowILj1024ELj64ELj8192ELj137ELj32ElldEEvT5_PKS1_S3_NS_24const_host_device_scalarIT6_EEPKT4_S3_PKS5_S9_S3_SB_S6_S9_S3_SB_S9_PS1_PS5_21rocsparse_index_base_SE_SE_SE_bbb
		.amdhsa_group_segment_fixed_size 0
		.amdhsa_private_segment_fixed_size 0
		.amdhsa_kernarg_size 156
		.amdhsa_user_sgpr_count 6
		.amdhsa_user_sgpr_private_segment_buffer 1
		.amdhsa_user_sgpr_dispatch_ptr 0
		.amdhsa_user_sgpr_queue_ptr 0
		.amdhsa_user_sgpr_kernarg_segment_ptr 1
		.amdhsa_user_sgpr_dispatch_id 0
		.amdhsa_user_sgpr_flat_scratch_init 0
		.amdhsa_user_sgpr_kernarg_preload_length 0
		.amdhsa_user_sgpr_kernarg_preload_offset 0
		.amdhsa_user_sgpr_private_segment_size 0
		.amdhsa_uses_dynamic_stack 0
		.amdhsa_system_sgpr_private_segment_wavefront_offset 0
		.amdhsa_system_sgpr_workgroup_id_x 1
		.amdhsa_system_sgpr_workgroup_id_y 0
		.amdhsa_system_sgpr_workgroup_id_z 0
		.amdhsa_system_sgpr_workgroup_info 0
		.amdhsa_system_vgpr_workitem_id 0
		.amdhsa_next_free_vgpr 29
		.amdhsa_next_free_sgpr 96
		.amdhsa_accum_offset 32
		.amdhsa_reserve_vcc 1
		.amdhsa_reserve_flat_scratch 0
		.amdhsa_float_round_mode_32 0
		.amdhsa_float_round_mode_16_64 0
		.amdhsa_float_denorm_mode_32 3
		.amdhsa_float_denorm_mode_16_64 3
		.amdhsa_dx10_clamp 1
		.amdhsa_ieee_mode 1
		.amdhsa_fp16_overflow 0
		.amdhsa_tg_split 0
		.amdhsa_exception_fp_ieee_invalid_op 0
		.amdhsa_exception_fp_denorm_src 0
		.amdhsa_exception_fp_ieee_div_zero 0
		.amdhsa_exception_fp_ieee_overflow 0
		.amdhsa_exception_fp_ieee_underflow 0
		.amdhsa_exception_fp_ieee_inexact 0
		.amdhsa_exception_int_div_zero 0
	.end_amdhsa_kernel
	.section	.text._ZN9rocsparseL26csrgemm_fill_block_per_rowILj1024ELj64ELj8192ELj137ELj32ElldEEvT5_PKS1_S3_NS_24const_host_device_scalarIT6_EEPKT4_S3_PKS5_S9_S3_SB_S6_S9_S3_SB_S9_PS1_PS5_21rocsparse_index_base_SE_SE_SE_bbb,"axG",@progbits,_ZN9rocsparseL26csrgemm_fill_block_per_rowILj1024ELj64ELj8192ELj137ELj32ElldEEvT5_PKS1_S3_NS_24const_host_device_scalarIT6_EEPKT4_S3_PKS5_S9_S3_SB_S6_S9_S3_SB_S9_PS1_PS5_21rocsparse_index_base_SE_SE_SE_bbb,comdat
.Lfunc_end124:
	.size	_ZN9rocsparseL26csrgemm_fill_block_per_rowILj1024ELj64ELj8192ELj137ELj32ElldEEvT5_PKS1_S3_NS_24const_host_device_scalarIT6_EEPKT4_S3_PKS5_S9_S3_SB_S6_S9_S3_SB_S9_PS1_PS5_21rocsparse_index_base_SE_SE_SE_bbb, .Lfunc_end124-_ZN9rocsparseL26csrgemm_fill_block_per_rowILj1024ELj64ELj8192ELj137ELj32ElldEEvT5_PKS1_S3_NS_24const_host_device_scalarIT6_EEPKT4_S3_PKS5_S9_S3_SB_S6_S9_S3_SB_S9_PS1_PS5_21rocsparse_index_base_SE_SE_SE_bbb
                                        ; -- End function
	.section	.AMDGPU.csdata,"",@progbits
; Kernel info:
; codeLenInByte = 4852
; NumSgprs: 100
; NumVgprs: 29
; NumAgprs: 0
; TotalNumVgprs: 29
; ScratchSize: 0
; MemoryBound: 0
; FloatMode: 240
; IeeeMode: 1
; LDSByteSize: 0 bytes/workgroup (compile time only)
; SGPRBlocks: 12
; VGPRBlocks: 3
; NumSGPRsForWavesPerEU: 100
; NumVGPRsForWavesPerEU: 29
; AccumOffset: 32
; Occupancy: 8
; WaveLimiterHint : 1
; COMPUTE_PGM_RSRC2:SCRATCH_EN: 0
; COMPUTE_PGM_RSRC2:USER_SGPR: 6
; COMPUTE_PGM_RSRC2:TRAP_HANDLER: 0
; COMPUTE_PGM_RSRC2:TGID_X_EN: 1
; COMPUTE_PGM_RSRC2:TGID_Y_EN: 0
; COMPUTE_PGM_RSRC2:TGID_Z_EN: 0
; COMPUTE_PGM_RSRC2:TIDIG_COMP_CNT: 0
; COMPUTE_PGM_RSRC3_GFX90A:ACCUM_OFFSET: 7
; COMPUTE_PGM_RSRC3_GFX90A:TG_SPLIT: 0
	.section	.text._ZN9rocsparseL26csrgemm_fill_block_per_rowILj1024ELj64ELj8192ELj137ELj64ElldEEvT5_PKS1_S3_NS_24const_host_device_scalarIT6_EEPKT4_S3_PKS5_S9_S3_SB_S6_S9_S3_SB_S9_PS1_PS5_21rocsparse_index_base_SE_SE_SE_bbb,"axG",@progbits,_ZN9rocsparseL26csrgemm_fill_block_per_rowILj1024ELj64ELj8192ELj137ELj64ElldEEvT5_PKS1_S3_NS_24const_host_device_scalarIT6_EEPKT4_S3_PKS5_S9_S3_SB_S6_S9_S3_SB_S9_PS1_PS5_21rocsparse_index_base_SE_SE_SE_bbb,comdat
	.globl	_ZN9rocsparseL26csrgemm_fill_block_per_rowILj1024ELj64ELj8192ELj137ELj64ElldEEvT5_PKS1_S3_NS_24const_host_device_scalarIT6_EEPKT4_S3_PKS5_S9_S3_SB_S6_S9_S3_SB_S9_PS1_PS5_21rocsparse_index_base_SE_SE_SE_bbb ; -- Begin function _ZN9rocsparseL26csrgemm_fill_block_per_rowILj1024ELj64ELj8192ELj137ELj64ElldEEvT5_PKS1_S3_NS_24const_host_device_scalarIT6_EEPKT4_S3_PKS5_S9_S3_SB_S6_S9_S3_SB_S9_PS1_PS5_21rocsparse_index_base_SE_SE_SE_bbb
	.p2align	8
	.type	_ZN9rocsparseL26csrgemm_fill_block_per_rowILj1024ELj64ELj8192ELj137ELj64ElldEEvT5_PKS1_S3_NS_24const_host_device_scalarIT6_EEPKT4_S3_PKS5_S9_S3_SB_S6_S9_S3_SB_S9_PS1_PS5_21rocsparse_index_base_SE_SE_SE_bbb,@function
_ZN9rocsparseL26csrgemm_fill_block_per_rowILj1024ELj64ELj8192ELj137ELj64ElldEEvT5_PKS1_S3_NS_24const_host_device_scalarIT6_EEPKT4_S3_PKS5_S9_S3_SB_S6_S9_S3_SB_S9_PS1_PS5_21rocsparse_index_base_SE_SE_SE_bbb: ; @_ZN9rocsparseL26csrgemm_fill_block_per_rowILj1024ELj64ELj8192ELj137ELj64ElldEEvT5_PKS1_S3_NS_24const_host_device_scalarIT6_EEPKT4_S3_PKS5_S9_S3_SB_S6_S9_S3_SB_S9_PS1_PS5_21rocsparse_index_base_SE_SE_SE_bbb
; %bb.0:
	s_load_dword s7, s[4:5], 0x98
	s_load_dwordx4 s[0:3], s[4:5], 0x8
	s_load_dwordx2 s[14:15], s[4:5], 0x18
	s_load_dwordx4 s[36:39], s[4:5], 0x88
	s_load_dwordx2 s[10:11], s[4:5], 0x50
	s_waitcnt lgkmcnt(0)
	s_and_b32 s8, 1, s7
	s_bitcmp1_b32 s7, 16
	s_cselect_b64 s[12:13], -1, 0
	s_cmp_eq_u32 s8, 1
	s_cselect_b64 s[8:9], -1, 0
	s_and_b64 s[16:17], s[8:9], exec
	s_cselect_b32 s17, s15, 0
	s_cselect_b32 s16, s14, 0
	s_xor_b64 s[18:19], s[8:9], -1
	s_or_b64 s[18:19], s[18:19], s[12:13]
	s_and_b64 vcc, exec, s[18:19]
	v_pk_mov_b32 v[4:5], s[16:17], s[16:17] op_sel:[0,1]
	s_cbranch_vccnz .LBB125_2
; %bb.1:
	v_pk_mov_b32 v[2:3], s[14:15], s[14:15] op_sel:[0,1]
	flat_load_dwordx2 v[4:5], v[2:3]
.LBB125_2:
	s_bitcmp1_b32 s7, 8
	s_cselect_b64 s[16:17], -1, 0
	s_and_b64 s[14:15], s[16:17], exec
	s_cselect_b32 s15, s11, 0
	s_cselect_b32 s14, s10, 0
	s_xor_b64 s[18:19], s[16:17], -1
	s_or_b64 s[12:13], s[18:19], s[12:13]
	s_and_b64 vcc, exec, s[12:13]
	v_pk_mov_b32 v[2:3], s[14:15], s[14:15] op_sel:[0,1]
	s_cbranch_vccnz .LBB125_4
; %bb.3:
	v_pk_mov_b32 v[2:3], s[10:11], s[10:11] op_sel:[0,1]
	flat_load_dwordx2 v[2:3], v[2:3]
.LBB125_4:
	s_load_dwordx2 s[34:35], s[4:5], 0x0
	s_mov_b32 s21, 0
	v_lshl_add_u32 v1, v0, 3, 0
	s_mov_b32 s20, s21
	v_add_u32_e32 v12, 0x10000, v1
	s_waitcnt lgkmcnt(0)
	v_pk_mov_b32 v[6:7], s[34:35], s[34:35] op_sel:[0,1]
	v_pk_mov_b32 v[10:11], s[34:35], s[34:35] op_sel:[0,1]
	;; [unrolled: 1-line block ×3, first 2 shown]
	ds_write2st64_b64 v1, v[6:7], v[10:11] offset1:16
	ds_write2st64_b64 v12, v[8:9], v[8:9] offset1:16
	ds_write2st64_b64 v1, v[6:7], v[10:11] offset0:32 offset1:48
	ds_write2st64_b64 v12, v[8:9], v[8:9] offset0:32 offset1:48
	ds_write2st64_b64 v1, v[6:7], v[10:11] offset0:64 offset1:80
	ds_write2st64_b64 v12, v[8:9], v[8:9] offset0:64 offset1:80
	ds_write2st64_b64 v1, v[6:7], v[10:11] offset0:96 offset1:112
	ds_write2st64_b64 v12, v[8:9], v[8:9] offset0:96 offset1:112
	s_waitcnt lgkmcnt(0)
	s_barrier
	s_load_dwordx2 s[0:1], s[0:1], 0x0
	s_mov_b32 s7, s21
	v_lshrrev_b32_e32 v19, 6, v0
	s_waitcnt lgkmcnt(0)
	s_lshl_b64 s[0:1], s[0:1], 3
	s_add_u32 s2, s2, s0
	s_addc_u32 s3, s3, s1
	s_lshl_b64 s[0:1], s[6:7], 3
	s_add_u32 s0, s2, s0
	s_addc_u32 s1, s3, s1
	s_load_dwordx2 s[44:45], s[0:1], 0x0
	s_andn2_b64 vcc, exec, s[8:9]
	s_cbranch_vccnz .LBB125_24
; %bb.5:
	s_load_dwordx2 s[0:1], s[4:5], 0x20
	s_waitcnt lgkmcnt(0)
	s_lshl_b64 s[2:3], s[44:45], 3
	v_subrev_co_u32_e32 v6, vcc, s36, v19
	s_add_u32 s0, s0, s2
	s_addc_u32 s1, s1, s3
	s_load_dwordx4 s[8:11], s[0:1], 0x0
	v_subb_co_u32_e64 v7, s[0:1], 0, 0, vcc
	s_waitcnt lgkmcnt(0)
	s_sub_u32 s0, s10, s36
	v_mov_b32_e32 v8, s9
	v_add_co_u32_e32 v6, vcc, s8, v6
	s_subb_u32 s1, s11, 0
	v_addc_co_u32_e32 v7, vcc, v8, v7, vcc
	v_cmp_gt_i64_e32 vcc, s[0:1], v[6:7]
	s_and_saveexec_b64 s[2:3], vcc
	s_cbranch_execz .LBB125_23
; %bb.6:
	s_load_dwordx2 s[6:7], s[4:5], 0x48
	s_load_dwordx8 s[8:15], s[4:5], 0x28
	v_and_b32_e32 v8, 63, v0
	v_subrev_co_u32_e32 v22, vcc, s37, v8
	s_mov_b32 s20, 0
	v_subb_co_u32_e64 v23, s[18:19], 0, 0, vcc
	s_mov_b32 s33, s36
	s_mov_b32 s42, s37
	s_mov_b64 s[18:19], 0
	s_waitcnt lgkmcnt(0)
	v_mov_b32_e32 v24, s9
	v_mov_b32_e32 v25, s21
	;; [unrolled: 1-line block ×4, first 2 shown]
	s_movk_i32 s9, 0x89
	s_branch .LBB125_8
.LBB125_7:                              ;   in Loop: Header=BB125_8 Depth=1
	s_or_b64 exec, exec, s[20:21]
	v_add_co_u32_e32 v6, vcc, 16, v6
	v_addc_co_u32_e32 v7, vcc, 0, v7, vcc
	v_cmp_le_i64_e32 vcc, s[0:1], v[6:7]
	s_or_b64 s[18:19], vcc, s[18:19]
	s_andn2_b64 exec, exec, s[18:19]
	s_cbranch_execz .LBB125_23
.LBB125_8:                              ; =>This Loop Header: Depth=1
                                        ;     Child Loop BB125_11 Depth 2
                                        ;       Child Loop BB125_13 Depth 3
	v_lshlrev_b64 v[12:13], 3, v[6:7]
	v_add_co_u32_e32 v8, vcc, s8, v12
	v_addc_co_u32_e32 v9, vcc, v24, v13, vcc
	global_load_dwordx2 v[8:9], v[8:9], off
	s_waitcnt vmcnt(0)
	v_subrev_co_u32_e32 v8, vcc, s33, v8
	v_subb_co_u32_e32 v9, vcc, v9, v25, vcc
	v_lshlrev_b64 v[8:9], 3, v[8:9]
	v_add_co_u32_e32 v8, vcc, s12, v8
	v_addc_co_u32_e32 v9, vcc, v26, v9, vcc
	global_load_dwordx4 v[14:17], v[8:9], off
	s_waitcnt vmcnt(0)
	v_subrev_co_u32_e32 v8, vcc, s42, v16
	v_subb_co_u32_e32 v9, vcc, v17, v27, vcc
	v_add_co_u32_e32 v10, vcc, v14, v22
	v_addc_co_u32_e32 v11, vcc, v15, v23, vcc
	v_cmp_lt_i64_e32 vcc, v[10:11], v[8:9]
	s_and_saveexec_b64 s[20:21], vcc
	s_cbranch_execz .LBB125_7
; %bb.9:                                ;   in Loop: Header=BB125_8 Depth=1
	v_mov_b32_e32 v14, s11
	v_add_co_u32_e32 v12, vcc, s10, v12
	v_addc_co_u32_e32 v13, vcc, v14, v13, vcc
	global_load_dwordx2 v[12:13], v[12:13], off
	s_mov_b64 s[22:23], 0
	s_waitcnt vmcnt(0)
	v_mul_f64 v[12:13], v[4:5], v[12:13]
	s_branch .LBB125_11
.LBB125_10:                             ;   in Loop: Header=BB125_11 Depth=2
	s_or_b64 exec, exec, s[24:25]
	v_add_co_u32_e32 v10, vcc, 64, v10
	v_addc_co_u32_e32 v11, vcc, 0, v11, vcc
	v_cmp_ge_i64_e32 vcc, v[10:11], v[8:9]
	s_or_b64 s[22:23], vcc, s[22:23]
	s_andn2_b64 exec, exec, s[22:23]
	s_cbranch_execz .LBB125_7
.LBB125_11:                             ;   Parent Loop BB125_8 Depth=1
                                        ; =>  This Loop Header: Depth=2
                                        ;       Child Loop BB125_13 Depth 3
	v_lshlrev_b64 v[14:15], 3, v[10:11]
	v_mov_b32_e32 v17, s15
	v_add_co_u32_e32 v16, vcc, s14, v14
	v_addc_co_u32_e32 v17, vcc, v17, v15, vcc
	global_load_dwordx2 v[16:17], v[16:17], off
	v_mov_b32_e32 v18, s7
	v_add_co_u32_e32 v14, vcc, s6, v14
	v_addc_co_u32_e32 v15, vcc, v18, v15, vcc
	global_load_dwordx2 v[20:21], v[14:15], off
	s_mov_b64 s[24:25], 0
	s_waitcnt vmcnt(1)
	v_subrev_co_u32_e32 v14, vcc, s42, v16
	v_mul_lo_u32 v18, v14, s9
	v_subb_co_u32_e32 v15, vcc, v17, v27, vcc
	v_and_b32_e32 v18, 0x1fff, v18
	s_waitcnt vmcnt(0)
	v_mul_f64 v[16:17], v[12:13], v[20:21]
	s_branch .LBB125_13
.LBB125_12:                             ;   in Loop: Header=BB125_13 Depth=3
	s_or_b64 exec, exec, s[26:27]
	s_xor_b64 s[26:27], s[28:29], -1
	s_and_b64 s[26:27], exec, s[26:27]
	s_or_b64 s[24:25], s[26:27], s[24:25]
	s_andn2_b64 exec, exec, s[24:25]
	s_cbranch_execz .LBB125_10
.LBB125_13:                             ;   Parent Loop BB125_8 Depth=1
                                        ;     Parent Loop BB125_11 Depth=2
                                        ; =>    This Inner Loop Header: Depth=3
	v_lshl_add_u32 v28, v18, 3, 0
	ds_read_b64 v[20:21], v28
                                        ; implicit-def: $sgpr28_sgpr29
	s_waitcnt lgkmcnt(0)
	v_cmp_ne_u64_e32 vcc, v[20:21], v[14:15]
	s_and_saveexec_b64 s[26:27], vcc
	s_xor_b64 s[26:27], exec, s[26:27]
	s_cbranch_execz .LBB125_21
; %bb.14:                               ;   in Loop: Header=BB125_13 Depth=3
	v_cmp_ne_u64_e32 vcc, s[34:35], v[20:21]
                                        ; implicit-def: $sgpr28_sgpr29
	s_and_saveexec_b64 s[30:31], vcc
	s_xor_b64 s[30:31], exec, s[30:31]
; %bb.15:                               ;   in Loop: Header=BB125_13 Depth=3
	v_add_u32_e32 v18, 1, v18
	v_and_b32_e32 v18, 0x1fff, v18
	s_mov_b64 s[28:29], -1
                                        ; implicit-def: $vgpr28
; %bb.16:                               ;   in Loop: Header=BB125_13 Depth=3
	s_andn2_saveexec_b64 s[30:31], s[30:31]
	s_cbranch_execz .LBB125_20
; %bb.17:                               ;   in Loop: Header=BB125_13 Depth=3
	v_pk_mov_b32 v[20:21], s[34:35], s[34:35] op_sel:[0,1]
	ds_cmpst_rtn_b64 v[20:21], v28, v[20:21], v[14:15]
	s_mov_b64 s[36:37], -1
	s_waitcnt lgkmcnt(0)
	v_cmp_eq_u64_e32 vcc, s[34:35], v[20:21]
	s_and_saveexec_b64 s[40:41], vcc
	s_cbranch_execz .LBB125_19
; %bb.18:                               ;   in Loop: Header=BB125_13 Depth=3
	v_add_u32_e32 v20, 0x10000, v28
	ds_add_f64 v20, v[16:17]
	s_xor_b64 s[36:37], exec, -1
.LBB125_19:                             ;   in Loop: Header=BB125_13 Depth=3
	s_or_b64 exec, exec, s[40:41]
	s_andn2_b64 s[28:29], s[28:29], exec
	s_and_b64 s[36:37], s[36:37], exec
	s_or_b64 s[28:29], s[28:29], s[36:37]
.LBB125_20:                             ;   in Loop: Header=BB125_13 Depth=3
	s_or_b64 exec, exec, s[30:31]
	s_and_b64 s[28:29], s[28:29], exec
                                        ; implicit-def: $vgpr28
.LBB125_21:                             ;   in Loop: Header=BB125_13 Depth=3
	s_andn2_saveexec_b64 s[26:27], s[26:27]
	s_cbranch_execz .LBB125_12
; %bb.22:                               ;   in Loop: Header=BB125_13 Depth=3
	v_add_u32_e32 v20, 0x10000, v28
	ds_add_f64 v20, v[16:17]
	s_andn2_b64 s[28:29], s[28:29], exec
	s_branch .LBB125_12
.LBB125_23:
	s_or_b64 exec, exec, s[2:3]
.LBB125_24:
	s_load_dwordx2 s[36:37], s[4:5], 0x80
	s_load_dwordx4 s[40:43], s[4:5], 0x70
	s_andn2_b64 vcc, exec, s[16:17]
	s_cbranch_vccnz .LBB125_41
; %bb.25:
	s_load_dwordx2 s[0:1], s[4:5], 0x58
	s_waitcnt lgkmcnt(0)
	s_lshl_b64 s[2:3], s[44:45], 3
	s_waitcnt vmcnt(0)
	v_subrev_co_u32_e32 v4, vcc, s39, v0
	v_subb_co_u32_e64 v5, s[6:7], 0, 0, vcc
	s_add_u32 s0, s0, s2
	s_addc_u32 s1, s1, s3
	s_load_dwordx4 s[0:3], s[0:1], 0x0
	s_mov_b32 s10, 0
	s_waitcnt lgkmcnt(0)
	s_sub_u32 s6, s2, s39
	v_mov_b32_e32 v6, s1
	v_add_co_u32_e32 v4, vcc, s0, v4
	s_subb_u32 s7, s3, 0
	v_addc_co_u32_e32 v5, vcc, v6, v5, vcc
	v_cmp_gt_i64_e32 vcc, s[6:7], v[4:5]
	s_and_saveexec_b64 s[8:9], vcc
	s_cbranch_execz .LBB125_40
; %bb.26:
	s_load_dwordx4 s[0:3], s[4:5], 0x60
	s_mov_b32 s22, s39
	s_mov_b64 s[4:5], 0
	v_mov_b32_e32 v11, s10
	s_waitcnt lgkmcnt(0)
	v_mov_b32_e32 v14, s1
	v_mov_b32_e32 v15, s3
	s_movk_i32 s1, 0x89
	s_branch .LBB125_28
.LBB125_27:                             ;   in Loop: Header=BB125_28 Depth=1
	s_or_b64 exec, exec, s[10:11]
	v_add_co_u32_e32 v4, vcc, 0x400, v4
	v_addc_co_u32_e32 v5, vcc, 0, v5, vcc
	v_cmp_le_i64_e32 vcc, s[6:7], v[4:5]
	s_or_b64 s[4:5], vcc, s[4:5]
	s_andn2_b64 exec, exec, s[4:5]
	s_cbranch_execz .LBB125_40
.LBB125_28:                             ; =>This Loop Header: Depth=1
                                        ;     Child Loop BB125_30 Depth 2
	v_lshlrev_b64 v[6:7], 3, v[4:5]
	v_add_co_u32_e32 v8, vcc, s0, v6
	v_addc_co_u32_e32 v9, vcc, v14, v7, vcc
	global_load_dwordx2 v[8:9], v[8:9], off
	v_add_co_u32_e32 v6, vcc, s2, v6
	v_addc_co_u32_e32 v7, vcc, v15, v7, vcc
	global_load_dwordx2 v[12:13], v[6:7], off
	s_mov_b64 s[10:11], 0
	s_waitcnt vmcnt(1)
	v_subrev_co_u32_e32 v6, vcc, s22, v8
	v_mul_lo_u32 v10, v6, s1
	v_subb_co_u32_e32 v7, vcc, v9, v11, vcc
	s_waitcnt vmcnt(0)
	v_mul_f64 v[8:9], v[2:3], v[12:13]
	v_and_b32_e32 v10, 0x1fff, v10
	s_branch .LBB125_30
.LBB125_29:                             ;   in Loop: Header=BB125_30 Depth=2
	s_or_b64 exec, exec, s[12:13]
	s_xor_b64 s[12:13], s[14:15], -1
	s_and_b64 s[12:13], exec, s[12:13]
	s_or_b64 s[10:11], s[12:13], s[10:11]
	s_andn2_b64 exec, exec, s[10:11]
	s_cbranch_execz .LBB125_27
.LBB125_30:                             ;   Parent Loop BB125_28 Depth=1
                                        ; =>  This Inner Loop Header: Depth=2
	v_lshl_add_u32 v16, v10, 3, 0
	ds_read_b64 v[12:13], v16
                                        ; implicit-def: $sgpr14_sgpr15
	s_waitcnt lgkmcnt(0)
	v_cmp_ne_u64_e32 vcc, v[12:13], v[6:7]
	s_and_saveexec_b64 s[12:13], vcc
	s_xor_b64 s[12:13], exec, s[12:13]
	s_cbranch_execz .LBB125_38
; %bb.31:                               ;   in Loop: Header=BB125_30 Depth=2
	v_cmp_ne_u64_e32 vcc, s[34:35], v[12:13]
                                        ; implicit-def: $sgpr14_sgpr15
	s_and_saveexec_b64 s[16:17], vcc
	s_xor_b64 s[16:17], exec, s[16:17]
; %bb.32:                               ;   in Loop: Header=BB125_30 Depth=2
	v_add_u32_e32 v10, 1, v10
	v_and_b32_e32 v10, 0x1fff, v10
	s_mov_b64 s[14:15], -1
                                        ; implicit-def: $vgpr16
; %bb.33:                               ;   in Loop: Header=BB125_30 Depth=2
	s_andn2_saveexec_b64 s[16:17], s[16:17]
	s_cbranch_execz .LBB125_37
; %bb.34:                               ;   in Loop: Header=BB125_30 Depth=2
	v_pk_mov_b32 v[12:13], s[34:35], s[34:35] op_sel:[0,1]
	ds_cmpst_rtn_b64 v[12:13], v16, v[12:13], v[6:7]
	s_mov_b64 s[18:19], -1
	s_waitcnt lgkmcnt(0)
	v_cmp_eq_u64_e32 vcc, s[34:35], v[12:13]
	s_and_saveexec_b64 s[20:21], vcc
	s_cbranch_execz .LBB125_36
; %bb.35:                               ;   in Loop: Header=BB125_30 Depth=2
	v_add_u32_e32 v12, 0x10000, v16
	ds_add_f64 v12, v[8:9]
	s_xor_b64 s[18:19], exec, -1
.LBB125_36:                             ;   in Loop: Header=BB125_30 Depth=2
	s_or_b64 exec, exec, s[20:21]
	s_andn2_b64 s[14:15], s[14:15], exec
	s_and_b64 s[18:19], s[18:19], exec
	s_or_b64 s[14:15], s[14:15], s[18:19]
.LBB125_37:                             ;   in Loop: Header=BB125_30 Depth=2
	s_or_b64 exec, exec, s[16:17]
	s_and_b64 s[14:15], s[14:15], exec
                                        ; implicit-def: $vgpr16
.LBB125_38:                             ;   in Loop: Header=BB125_30 Depth=2
	s_andn2_saveexec_b64 s[12:13], s[12:13]
	s_cbranch_execz .LBB125_29
; %bb.39:                               ;   in Loop: Header=BB125_30 Depth=2
	v_add_u32_e32 v12, 0x10000, v16
	ds_add_f64 v12, v[8:9]
	s_andn2_b64 s[14:15], s[14:15], exec
	s_branch .LBB125_29
.LBB125_40:
	s_or_b64 exec, exec, s[8:9]
.LBB125_41:
	s_waitcnt vmcnt(0)
	v_mbcnt_lo_u32_b32 v2, -1, 0
	v_mbcnt_hi_u32_b32 v2, -1, v2
	v_sub_u32_e32 v2, 63, v2
	s_add_i32 s33, 0, 0x20000
	s_movk_i32 s0, 0x3ff
	s_movk_i32 s2, 0x7f
	;; [unrolled: 1-line block ×15, first 2 shown]
	s_add_i32 s63, 0, 0x20078
	v_mov_b32_e32 v3, 0
	v_lshrrev_b64 v[4:5], v2, -1
	v_lshl_add_u32 v14, v19, 3, s33
	v_cmp_eq_u32_e32 vcc, s0, v0
	v_cmp_lt_u32_e64 s[0:1], 63, v0
	v_cmp_lt_u32_e64 s[2:3], s2, v0
	v_cmp_lt_u32_e64 s[4:5], s4, v0
	v_cmp_lt_u32_e64 s[6:7], s6, v0
	v_cmp_lt_u32_e64 s[8:9], s8, v0
	v_cmp_lt_u32_e64 s[10:11], s10, v0
	v_cmp_lt_u32_e64 s[12:13], s12, v0
	v_cmp_lt_u32_e64 s[14:15], s14, v0
	v_cmp_lt_u32_e64 s[16:17], s16, v0
	v_cmp_lt_u32_e64 s[18:19], s18, v0
	v_cmp_lt_u32_e64 s[20:21], s20, v0
	v_cmp_lt_u32_e64 s[22:23], s22, v0
	v_cmp_lt_u32_e64 s[24:25], s24, v0
	v_cmp_lt_u32_e64 s[26:27], s26, v0
	v_cmp_lt_u32_e64 s[28:29], s28, v0
	v_or_b32_e32 v15, 0xfffffc00, v0
	s_mov_b64 s[46:47], 0
	v_pk_mov_b32 v[6:7], 0, 0
	s_add_i32 s39, 0, 0x20008
	s_add_i32 s50, 0, 0x20010
	;; [unrolled: 1-line block ×14, first 2 shown]
	v_mov_b32_e32 v16, s63
	s_movk_i32 s64, 0x1bff
	s_waitcnt lgkmcnt(0)
	s_barrier
	s_branch .LBB125_43
.LBB125_42:                             ;   in Loop: Header=BB125_43 Depth=1
	s_or_b64 exec, exec, s[30:31]
	s_waitcnt lgkmcnt(0)
	s_barrier
	ds_read_b64 v[8:9], v16
	v_add_u32_e32 v15, 0x400, v15
	v_add_u32_e32 v1, 0x2000, v1
	s_waitcnt lgkmcnt(0)
	v_add_co_u32_e64 v6, s[30:31], v8, v6
	v_addc_co_u32_e64 v7, s[30:31], v9, v7, s[30:31]
	v_cmp_lt_u32_e64 s[30:31], s64, v15
	s_or_b64 s[46:47], s[30:31], s[46:47]
	s_andn2_b64 exec, exec, s[46:47]
	s_cbranch_execz .LBB125_77
.LBB125_43:                             ; =>This Inner Loop Header: Depth=1
	ds_read_b64 v[8:9], v1
	v_add_u32_e32 v2, 0x10000, v1
	ds_read_b64 v[10:11], v2
	s_waitcnt lgkmcnt(0)
	s_barrier
	v_cmp_gt_i64_e64 s[30:31], s[34:35], v[8:9]
	v_and_b32_e32 v13, s30, v4
	s_bcnt1_i32_b64 s48, s[30:31]
	v_and_b32_e32 v12, s31, v5
	v_bcnt_u32_b32 v13, v13, 0
	v_mov_b32_e32 v2, s48
	v_bcnt_u32_b32 v12, v12, v13
	ds_write_b64 v14, v[2:3]
	s_waitcnt lgkmcnt(0)
	s_barrier
	s_and_saveexec_b64 s[48:49], s[0:1]
	s_cbranch_execnz .LBB125_60
; %bb.44:                               ;   in Loop: Header=BB125_43 Depth=1
	s_or_b64 exec, exec, s[48:49]
	s_and_saveexec_b64 s[48:49], s[2:3]
	s_cbranch_execnz .LBB125_61
.LBB125_45:                             ;   in Loop: Header=BB125_43 Depth=1
	s_or_b64 exec, exec, s[48:49]
	s_and_saveexec_b64 s[48:49], s[4:5]
	s_cbranch_execnz .LBB125_62
.LBB125_46:                             ;   in Loop: Header=BB125_43 Depth=1
	s_or_b64 exec, exec, s[48:49]
	s_and_saveexec_b64 s[48:49], s[6:7]
	s_cbranch_execnz .LBB125_63
.LBB125_47:                             ;   in Loop: Header=BB125_43 Depth=1
	s_or_b64 exec, exec, s[48:49]
	s_and_saveexec_b64 s[48:49], s[8:9]
	s_cbranch_execnz .LBB125_64
.LBB125_48:                             ;   in Loop: Header=BB125_43 Depth=1
	s_or_b64 exec, exec, s[48:49]
	s_and_saveexec_b64 s[48:49], s[10:11]
	s_cbranch_execnz .LBB125_65
.LBB125_49:                             ;   in Loop: Header=BB125_43 Depth=1
	s_or_b64 exec, exec, s[48:49]
	s_and_saveexec_b64 s[48:49], s[12:13]
	s_cbranch_execnz .LBB125_66
.LBB125_50:                             ;   in Loop: Header=BB125_43 Depth=1
	s_or_b64 exec, exec, s[48:49]
	s_and_saveexec_b64 s[48:49], s[14:15]
	s_cbranch_execnz .LBB125_67
.LBB125_51:                             ;   in Loop: Header=BB125_43 Depth=1
	s_or_b64 exec, exec, s[48:49]
	s_and_saveexec_b64 s[48:49], s[16:17]
	s_cbranch_execnz .LBB125_68
.LBB125_52:                             ;   in Loop: Header=BB125_43 Depth=1
	s_or_b64 exec, exec, s[48:49]
	s_and_saveexec_b64 s[48:49], s[18:19]
	s_cbranch_execnz .LBB125_69
.LBB125_53:                             ;   in Loop: Header=BB125_43 Depth=1
	s_or_b64 exec, exec, s[48:49]
	s_and_saveexec_b64 s[48:49], s[20:21]
	s_cbranch_execnz .LBB125_70
.LBB125_54:                             ;   in Loop: Header=BB125_43 Depth=1
	s_or_b64 exec, exec, s[48:49]
	s_and_saveexec_b64 s[48:49], s[22:23]
	s_cbranch_execnz .LBB125_71
.LBB125_55:                             ;   in Loop: Header=BB125_43 Depth=1
	s_or_b64 exec, exec, s[48:49]
	s_and_saveexec_b64 s[48:49], s[24:25]
	s_cbranch_execnz .LBB125_72
.LBB125_56:                             ;   in Loop: Header=BB125_43 Depth=1
	s_or_b64 exec, exec, s[48:49]
	s_and_saveexec_b64 s[48:49], s[26:27]
	s_cbranch_execnz .LBB125_73
.LBB125_57:                             ;   in Loop: Header=BB125_43 Depth=1
	s_or_b64 exec, exec, s[48:49]
	s_and_saveexec_b64 s[48:49], s[28:29]
	s_cbranch_execnz .LBB125_74
.LBB125_58:                             ;   in Loop: Header=BB125_43 Depth=1
	s_or_b64 exec, exec, s[48:49]
	v_ashrrev_i32_e32 v13, 31, v12
	s_and_saveexec_b64 s[48:49], s[30:31]
	s_cbranch_execnz .LBB125_75
.LBB125_59:                             ;   in Loop: Header=BB125_43 Depth=1
	s_or_b64 exec, exec, s[48:49]
	s_and_saveexec_b64 s[30:31], vcc
	s_cbranch_execz .LBB125_42
	s_branch .LBB125_76
.LBB125_60:                             ;   in Loop: Header=BB125_43 Depth=1
	v_mov_b32_e32 v2, s33
	ds_read_b32 v2, v2
	s_waitcnt lgkmcnt(0)
	v_add_u32_e32 v12, v2, v12
	s_or_b64 exec, exec, s[48:49]
	s_and_saveexec_b64 s[48:49], s[2:3]
	s_cbranch_execz .LBB125_45
.LBB125_61:                             ;   in Loop: Header=BB125_43 Depth=1
	v_mov_b32_e32 v2, s39
	ds_read_b32 v2, v2
	s_waitcnt lgkmcnt(0)
	v_add_u32_e32 v12, v12, v2
	s_or_b64 exec, exec, s[48:49]
	s_and_saveexec_b64 s[48:49], s[4:5]
	s_cbranch_execz .LBB125_46
.LBB125_62:                             ;   in Loop: Header=BB125_43 Depth=1
	v_mov_b32_e32 v2, s50
	ds_read_b32 v2, v2
	s_waitcnt lgkmcnt(0)
	v_add_u32_e32 v12, v12, v2
	s_or_b64 exec, exec, s[48:49]
	s_and_saveexec_b64 s[48:49], s[6:7]
	s_cbranch_execz .LBB125_47
.LBB125_63:                             ;   in Loop: Header=BB125_43 Depth=1
	v_mov_b32_e32 v2, s51
	ds_read_b32 v2, v2
	s_waitcnt lgkmcnt(0)
	v_add_u32_e32 v12, v12, v2
	s_or_b64 exec, exec, s[48:49]
	s_and_saveexec_b64 s[48:49], s[8:9]
	s_cbranch_execz .LBB125_48
.LBB125_64:                             ;   in Loop: Header=BB125_43 Depth=1
	v_mov_b32_e32 v2, s52
	ds_read_b32 v2, v2
	s_waitcnt lgkmcnt(0)
	v_add_u32_e32 v12, v12, v2
	s_or_b64 exec, exec, s[48:49]
	s_and_saveexec_b64 s[48:49], s[10:11]
	s_cbranch_execz .LBB125_49
.LBB125_65:                             ;   in Loop: Header=BB125_43 Depth=1
	v_mov_b32_e32 v2, s53
	ds_read_b32 v2, v2
	s_waitcnt lgkmcnt(0)
	v_add_u32_e32 v12, v12, v2
	s_or_b64 exec, exec, s[48:49]
	s_and_saveexec_b64 s[48:49], s[12:13]
	s_cbranch_execz .LBB125_50
.LBB125_66:                             ;   in Loop: Header=BB125_43 Depth=1
	v_mov_b32_e32 v2, s54
	ds_read_b32 v2, v2
	s_waitcnt lgkmcnt(0)
	v_add_u32_e32 v12, v12, v2
	s_or_b64 exec, exec, s[48:49]
	s_and_saveexec_b64 s[48:49], s[14:15]
	s_cbranch_execz .LBB125_51
.LBB125_67:                             ;   in Loop: Header=BB125_43 Depth=1
	v_mov_b32_e32 v2, s55
	ds_read_b32 v2, v2
	s_waitcnt lgkmcnt(0)
	v_add_u32_e32 v12, v12, v2
	s_or_b64 exec, exec, s[48:49]
	s_and_saveexec_b64 s[48:49], s[16:17]
	s_cbranch_execz .LBB125_52
.LBB125_68:                             ;   in Loop: Header=BB125_43 Depth=1
	v_mov_b32_e32 v2, s56
	ds_read_b32 v2, v2
	s_waitcnt lgkmcnt(0)
	v_add_u32_e32 v12, v12, v2
	s_or_b64 exec, exec, s[48:49]
	s_and_saveexec_b64 s[48:49], s[18:19]
	s_cbranch_execz .LBB125_53
.LBB125_69:                             ;   in Loop: Header=BB125_43 Depth=1
	v_mov_b32_e32 v2, s57
	ds_read_b32 v2, v2
	s_waitcnt lgkmcnt(0)
	v_add_u32_e32 v12, v12, v2
	s_or_b64 exec, exec, s[48:49]
	s_and_saveexec_b64 s[48:49], s[20:21]
	s_cbranch_execz .LBB125_54
.LBB125_70:                             ;   in Loop: Header=BB125_43 Depth=1
	v_mov_b32_e32 v2, s58
	ds_read_b32 v2, v2
	s_waitcnt lgkmcnt(0)
	v_add_u32_e32 v12, v12, v2
	s_or_b64 exec, exec, s[48:49]
	s_and_saveexec_b64 s[48:49], s[22:23]
	s_cbranch_execz .LBB125_55
.LBB125_71:                             ;   in Loop: Header=BB125_43 Depth=1
	v_mov_b32_e32 v2, s59
	ds_read_b32 v2, v2
	s_waitcnt lgkmcnt(0)
	v_add_u32_e32 v12, v12, v2
	s_or_b64 exec, exec, s[48:49]
	s_and_saveexec_b64 s[48:49], s[24:25]
	s_cbranch_execz .LBB125_56
.LBB125_72:                             ;   in Loop: Header=BB125_43 Depth=1
	v_mov_b32_e32 v2, s60
	ds_read_b32 v2, v2
	s_waitcnt lgkmcnt(0)
	v_add_u32_e32 v12, v12, v2
	s_or_b64 exec, exec, s[48:49]
	s_and_saveexec_b64 s[48:49], s[26:27]
	s_cbranch_execz .LBB125_57
.LBB125_73:                             ;   in Loop: Header=BB125_43 Depth=1
	v_mov_b32_e32 v2, s61
	ds_read_b32 v2, v2
	s_waitcnt lgkmcnt(0)
	v_add_u32_e32 v12, v12, v2
	s_or_b64 exec, exec, s[48:49]
	s_and_saveexec_b64 s[48:49], s[28:29]
	s_cbranch_execz .LBB125_58
.LBB125_74:                             ;   in Loop: Header=BB125_43 Depth=1
	v_mov_b32_e32 v2, s62
	ds_read_b32 v2, v2
	s_waitcnt lgkmcnt(0)
	v_add_u32_e32 v12, v12, v2
	s_or_b64 exec, exec, s[48:49]
	v_ashrrev_i32_e32 v13, 31, v12
	s_and_saveexec_b64 s[48:49], s[30:31]
	s_cbranch_execz .LBB125_59
.LBB125_75:                             ;   in Loop: Header=BB125_43 Depth=1
	v_add3_u32 v2, v6, -1, v12
	v_lshl_add_u32 v2, v2, 3, 0
	v_add_u32_e32 v17, 0x10000, v2
	ds_write_b64 v2, v[8:9]
	ds_write_b64 v17, v[10:11]
	s_or_b64 exec, exec, s[48:49]
	s_and_saveexec_b64 s[30:31], vcc
	s_cbranch_execz .LBB125_42
.LBB125_76:                             ;   in Loop: Header=BB125_43 Depth=1
	v_mov_b32_e32 v2, s63
	ds_write_b64 v2, v[12:13]
	s_branch .LBB125_42
.LBB125_77:
	s_or_b64 exec, exec, s[46:47]
	s_lshl_b64 s[0:1], s[44:45], 3
	s_add_u32 s0, s40, s0
	s_addc_u32 s1, s41, s1
	s_load_dwordx4 s[0:3], s[0:1], 0x0
	v_mov_b32_e32 v1, 0
	s_waitcnt lgkmcnt(0)
	s_sub_u32 s4, s2, s0
	s_subb_u32 s5, s3, s1
	v_cmp_gt_i64_e32 vcc, s[4:5], v[0:1]
	s_and_saveexec_b64 s[6:7], vcc
	s_cbranch_execz .LBB125_87
; %bb.78:
	s_sub_u32 s6, s0, s38
	s_subb_u32 s7, s1, 0
	s_and_b32 s8, s4, 7
	s_sub_u32 s0, s0, s2
	s_mov_b32 s16, 0
	s_subb_u32 s1, s1, s3
	s_mov_b32 s9, s16
	s_and_b32 s2, s4, -8
	v_cmp_lt_u64_e64 s[0:1], s[0:1], -7
	s_cmp_lg_u64 s[8:9], 0
	v_cndmask_b32_e64 v2, 0, 1, s[0:1]
	s_mov_b32 s3, s5
	s_mov_b64 s[10:11], 0
	s_cselect_b64 s[12:13], -1, 0
	v_cmp_ne_u32_e64 s[0:1], 1, v2
	s_branch .LBB125_80
.LBB125_79:                             ;   in Loop: Header=BB125_80 Depth=1
	v_mov_b32_e32 v8, s16
	s_waitcnt lgkmcnt(1)
	v_add_co_u32_e32 v4, vcc, s38, v4
	v_addc_co_u32_e32 v5, vcc, v5, v8, vcc
	v_lshlrev_b64 v[6:7], 3, v[6:7]
	v_mov_b32_e32 v9, s43
	v_add_co_u32_e32 v8, vcc, s42, v6
	v_addc_co_u32_e32 v9, vcc, v9, v7, vcc
	global_store_dwordx2 v[8:9], v[4:5], off
	v_mov_b32_e32 v5, s37
	v_add_co_u32_e32 v4, vcc, s36, v6
	v_addc_co_u32_e32 v5, vcc, v5, v7, vcc
	v_add_co_u32_e32 v0, vcc, 0x400, v0
	v_addc_co_u32_e32 v1, vcc, 0, v1, vcc
	v_cmp_le_i64_e32 vcc, s[4:5], v[0:1]
	s_or_b64 s[10:11], vcc, s[10:11]
	s_waitcnt lgkmcnt(0)
	global_store_dwordx2 v[4:5], v[2:3], off
	s_andn2_b64 exec, exec, s[10:11]
	s_cbranch_execz .LBB125_87
.LBB125_80:                             ; =>This Loop Header: Depth=1
                                        ;     Child Loop BB125_82 Depth 2
                                        ;     Child Loop BB125_86 Depth 2
	v_lshl_add_u32 v2, v0, 3, 0
	v_add_u32_e32 v3, 0x10000, v2
	ds_read_b64 v[4:5], v2
	ds_read_b64 v[2:3], v3
	s_and_b64 vcc, exec, s[0:1]
	v_pk_mov_b32 v[6:7], s[6:7], s[6:7] op_sel:[0,1]
	s_mov_b64 s[14:15], 0
	s_cbranch_vccnz .LBB125_84
; %bb.81:                               ;   in Loop: Header=BB125_80 Depth=1
	s_mov_b32 s17, 0
	v_pk_mov_b32 v[6:7], s[6:7], s[6:7] op_sel:[0,1]
.LBB125_82:                             ;   Parent Loop BB125_80 Depth=1
                                        ; =>  This Inner Loop Header: Depth=2
	v_mov_b32_e32 v20, s17
	ds_read2_b64 v[8:11], v20 offset1:1
	ds_read2_b64 v[12:15], v20 offset0:2 offset1:3
	ds_read2_b64 v[16:19], v20 offset0:4 offset1:5
	;; [unrolled: 1-line block ×3, first 2 shown]
	s_add_u32 s14, s14, 8
	s_waitcnt lgkmcnt(3)
	v_cmp_gt_i64_e32 vcc, v[4:5], v[8:9]
	v_cndmask_b32_e64 v8, 0, 1, vcc
	v_cmp_gt_i64_e32 vcc, v[4:5], v[10:11]
	v_cndmask_b32_e64 v9, 0, 1, vcc
	s_waitcnt lgkmcnt(2)
	v_cmp_gt_i64_e32 vcc, v[4:5], v[12:13]
	v_cndmask_b32_e64 v10, 0, 1, vcc
	v_cmp_gt_i64_e32 vcc, v[4:5], v[14:15]
	v_cndmask_b32_e64 v11, 0, 1, vcc
	;; [unrolled: 5-line block ×4, first 2 shown]
	v_add_co_u32_e32 v6, vcc, v6, v8
	v_addc_co_u32_e32 v7, vcc, 0, v7, vcc
	v_add_co_u32_e32 v6, vcc, v6, v9
	v_addc_co_u32_e32 v7, vcc, 0, v7, vcc
	;; [unrolled: 2-line block ×7, first 2 shown]
	s_addc_u32 s15, s15, 0
	s_add_i32 s17, s17, 64
	v_add_co_u32_e32 v6, vcc, v6, v15
	s_cmp_eq_u64 s[2:3], s[14:15]
	v_addc_co_u32_e32 v7, vcc, 0, v7, vcc
	s_cbranch_scc0 .LBB125_82
; %bb.83:                               ;   in Loop: Header=BB125_80 Depth=1
	s_mov_b64 s[14:15], s[2:3]
.LBB125_84:                             ;   in Loop: Header=BB125_80 Depth=1
	s_andn2_b64 vcc, exec, s[12:13]
	s_cbranch_vccnz .LBB125_79
; %bb.85:                               ;   in Loop: Header=BB125_80 Depth=1
	s_lshl_b32 s14, s14, 3
	s_add_i32 s17, s14, 0
	s_mov_b64 s[14:15], s[8:9]
.LBB125_86:                             ;   Parent Loop BB125_80 Depth=1
                                        ; =>  This Inner Loop Header: Depth=2
	v_mov_b32_e32 v8, s17
	ds_read_b64 v[8:9], v8
	s_add_i32 s17, s17, 8
	s_add_u32 s14, s14, -1
	s_addc_u32 s15, s15, -1
	s_cmp_lg_u64 s[14:15], 0
	s_waitcnt lgkmcnt(0)
	v_cmp_gt_i64_e32 vcc, v[4:5], v[8:9]
	v_cndmask_b32_e64 v8, 0, 1, vcc
	v_add_co_u32_e32 v6, vcc, v6, v8
	v_addc_co_u32_e32 v7, vcc, 0, v7, vcc
	s_cbranch_scc1 .LBB125_86
	s_branch .LBB125_79
.LBB125_87:
	s_endpgm
	.section	.rodata,"a",@progbits
	.p2align	6, 0x0
	.amdhsa_kernel _ZN9rocsparseL26csrgemm_fill_block_per_rowILj1024ELj64ELj8192ELj137ELj64ElldEEvT5_PKS1_S3_NS_24const_host_device_scalarIT6_EEPKT4_S3_PKS5_S9_S3_SB_S6_S9_S3_SB_S9_PS1_PS5_21rocsparse_index_base_SE_SE_SE_bbb
		.amdhsa_group_segment_fixed_size 0
		.amdhsa_private_segment_fixed_size 0
		.amdhsa_kernarg_size 156
		.amdhsa_user_sgpr_count 6
		.amdhsa_user_sgpr_private_segment_buffer 1
		.amdhsa_user_sgpr_dispatch_ptr 0
		.amdhsa_user_sgpr_queue_ptr 0
		.amdhsa_user_sgpr_kernarg_segment_ptr 1
		.amdhsa_user_sgpr_dispatch_id 0
		.amdhsa_user_sgpr_flat_scratch_init 0
		.amdhsa_user_sgpr_kernarg_preload_length 0
		.amdhsa_user_sgpr_kernarg_preload_offset 0
		.amdhsa_user_sgpr_private_segment_size 0
		.amdhsa_uses_dynamic_stack 0
		.amdhsa_system_sgpr_private_segment_wavefront_offset 0
		.amdhsa_system_sgpr_workgroup_id_x 1
		.amdhsa_system_sgpr_workgroup_id_y 0
		.amdhsa_system_sgpr_workgroup_id_z 0
		.amdhsa_system_sgpr_workgroup_info 0
		.amdhsa_system_vgpr_workitem_id 0
		.amdhsa_next_free_vgpr 29
		.amdhsa_next_free_sgpr 65
		.amdhsa_accum_offset 32
		.amdhsa_reserve_vcc 1
		.amdhsa_reserve_flat_scratch 0
		.amdhsa_float_round_mode_32 0
		.amdhsa_float_round_mode_16_64 0
		.amdhsa_float_denorm_mode_32 3
		.amdhsa_float_denorm_mode_16_64 3
		.amdhsa_dx10_clamp 1
		.amdhsa_ieee_mode 1
		.amdhsa_fp16_overflow 0
		.amdhsa_tg_split 0
		.amdhsa_exception_fp_ieee_invalid_op 0
		.amdhsa_exception_fp_denorm_src 0
		.amdhsa_exception_fp_ieee_div_zero 0
		.amdhsa_exception_fp_ieee_overflow 0
		.amdhsa_exception_fp_ieee_underflow 0
		.amdhsa_exception_fp_ieee_inexact 0
		.amdhsa_exception_int_div_zero 0
	.end_amdhsa_kernel
	.section	.text._ZN9rocsparseL26csrgemm_fill_block_per_rowILj1024ELj64ELj8192ELj137ELj64ElldEEvT5_PKS1_S3_NS_24const_host_device_scalarIT6_EEPKT4_S3_PKS5_S9_S3_SB_S6_S9_S3_SB_S9_PS1_PS5_21rocsparse_index_base_SE_SE_SE_bbb,"axG",@progbits,_ZN9rocsparseL26csrgemm_fill_block_per_rowILj1024ELj64ELj8192ELj137ELj64ElldEEvT5_PKS1_S3_NS_24const_host_device_scalarIT6_EEPKT4_S3_PKS5_S9_S3_SB_S6_S9_S3_SB_S9_PS1_PS5_21rocsparse_index_base_SE_SE_SE_bbb,comdat
.Lfunc_end125:
	.size	_ZN9rocsparseL26csrgemm_fill_block_per_rowILj1024ELj64ELj8192ELj137ELj64ElldEEvT5_PKS1_S3_NS_24const_host_device_scalarIT6_EEPKT4_S3_PKS5_S9_S3_SB_S6_S9_S3_SB_S9_PS1_PS5_21rocsparse_index_base_SE_SE_SE_bbb, .Lfunc_end125-_ZN9rocsparseL26csrgemm_fill_block_per_rowILj1024ELj64ELj8192ELj137ELj64ElldEEvT5_PKS1_S3_NS_24const_host_device_scalarIT6_EEPKT4_S3_PKS5_S9_S3_SB_S6_S9_S3_SB_S9_PS1_PS5_21rocsparse_index_base_SE_SE_SE_bbb
                                        ; -- End function
	.section	.AMDGPU.csdata,"",@progbits
; Kernel info:
; codeLenInByte = 3432
; NumSgprs: 69
; NumVgprs: 29
; NumAgprs: 0
; TotalNumVgprs: 29
; ScratchSize: 0
; MemoryBound: 0
; FloatMode: 240
; IeeeMode: 1
; LDSByteSize: 0 bytes/workgroup (compile time only)
; SGPRBlocks: 8
; VGPRBlocks: 3
; NumSGPRsForWavesPerEU: 69
; NumVGPRsForWavesPerEU: 29
; AccumOffset: 32
; Occupancy: 8
; WaveLimiterHint : 1
; COMPUTE_PGM_RSRC2:SCRATCH_EN: 0
; COMPUTE_PGM_RSRC2:USER_SGPR: 6
; COMPUTE_PGM_RSRC2:TRAP_HANDLER: 0
; COMPUTE_PGM_RSRC2:TGID_X_EN: 1
; COMPUTE_PGM_RSRC2:TGID_Y_EN: 0
; COMPUTE_PGM_RSRC2:TGID_Z_EN: 0
; COMPUTE_PGM_RSRC2:TIDIG_COMP_CNT: 0
; COMPUTE_PGM_RSRC3_GFX90A:ACCUM_OFFSET: 7
; COMPUTE_PGM_RSRC3_GFX90A:TG_SPLIT: 0
	.section	.text._ZN9rocsparseL26csrgemm_fill_block_per_rowILj1024ELj64ELj16384ELj137ELj32ElldEEvT5_PKS1_S3_NS_24const_host_device_scalarIT6_EEPKT4_S3_PKS5_S9_S3_SB_S6_S9_S3_SB_S9_PS1_PS5_21rocsparse_index_base_SE_SE_SE_bbb,"axG",@progbits,_ZN9rocsparseL26csrgemm_fill_block_per_rowILj1024ELj64ELj16384ELj137ELj32ElldEEvT5_PKS1_S3_NS_24const_host_device_scalarIT6_EEPKT4_S3_PKS5_S9_S3_SB_S6_S9_S3_SB_S9_PS1_PS5_21rocsparse_index_base_SE_SE_SE_bbb,comdat
	.globl	_ZN9rocsparseL26csrgemm_fill_block_per_rowILj1024ELj64ELj16384ELj137ELj32ElldEEvT5_PKS1_S3_NS_24const_host_device_scalarIT6_EEPKT4_S3_PKS5_S9_S3_SB_S6_S9_S3_SB_S9_PS1_PS5_21rocsparse_index_base_SE_SE_SE_bbb ; -- Begin function _ZN9rocsparseL26csrgemm_fill_block_per_rowILj1024ELj64ELj16384ELj137ELj32ElldEEvT5_PKS1_S3_NS_24const_host_device_scalarIT6_EEPKT4_S3_PKS5_S9_S3_SB_S6_S9_S3_SB_S9_PS1_PS5_21rocsparse_index_base_SE_SE_SE_bbb
	.p2align	8
	.type	_ZN9rocsparseL26csrgemm_fill_block_per_rowILj1024ELj64ELj16384ELj137ELj32ElldEEvT5_PKS1_S3_NS_24const_host_device_scalarIT6_EEPKT4_S3_PKS5_S9_S3_SB_S6_S9_S3_SB_S9_PS1_PS5_21rocsparse_index_base_SE_SE_SE_bbb,@function
_ZN9rocsparseL26csrgemm_fill_block_per_rowILj1024ELj64ELj16384ELj137ELj32ElldEEvT5_PKS1_S3_NS_24const_host_device_scalarIT6_EEPKT4_S3_PKS5_S9_S3_SB_S6_S9_S3_SB_S9_PS1_PS5_21rocsparse_index_base_SE_SE_SE_bbb: ; @_ZN9rocsparseL26csrgemm_fill_block_per_rowILj1024ELj64ELj16384ELj137ELj32ElldEEvT5_PKS1_S3_NS_24const_host_device_scalarIT6_EEPKT4_S3_PKS5_S9_S3_SB_S6_S9_S3_SB_S9_PS1_PS5_21rocsparse_index_base_SE_SE_SE_bbb
; %bb.0:
	s_load_dword s7, s[4:5], 0x98
	s_load_dwordx4 s[40:43], s[4:5], 0x88
	s_load_dwordx2 s[0:1], s[4:5], 0x18
	s_load_dwordx2 s[24:25], s[4:5], 0x50
	s_waitcnt lgkmcnt(0)
	s_and_b32 s2, 1, s7
	s_bitcmp1_b32 s7, 16
	s_cselect_b64 s[26:27], -1, 0
	s_cmp_eq_u32 s2, 1
	s_cselect_b64 s[22:23], -1, 0
	s_and_b64 s[2:3], s[22:23], exec
	s_cselect_b32 s3, s1, 0
	s_cselect_b32 s2, s0, 0
	s_xor_b64 s[8:9], s[22:23], -1
	s_or_b64 s[8:9], s[8:9], s[26:27]
	s_and_b64 vcc, exec, s[8:9]
	v_pk_mov_b32 v[4:5], s[2:3], s[2:3] op_sel:[0,1]
	s_cbranch_vccnz .LBB126_2
; %bb.1:
	v_pk_mov_b32 v[2:3], s[0:1], s[0:1] op_sel:[0,1]
	flat_load_dwordx2 v[4:5], v[2:3]
.LBB126_2:
	s_load_dwordx4 s[0:3], s[4:5], 0x78
                                        ; implicit-def: $vgpr29 : SGPR spill to VGPR lane
	s_bitcmp1_b32 s7, 8
	s_cselect_b64 s[20:21], -1, 0
	s_and_b64 s[28:29], s[20:21], exec
	s_cselect_b32 s29, s25, 0
	s_waitcnt lgkmcnt(0)
	v_writelane_b32 v29, s0, 0
	v_writelane_b32 v29, s1, 1
	;; [unrolled: 1-line block ×4, first 2 shown]
	s_load_dwordx8 s[44:51], s[4:5], 0x58
	s_load_dwordx4 s[0:3], s[4:5], 0x40
	s_load_dwordx4 s[16:19], s[4:5], 0x8
	s_load_dwordx8 s[8:15], s[4:5], 0x20
	s_cselect_b32 s28, s24, 0
	s_xor_b64 s[30:31], s[20:21], -1
	s_or_b64 s[26:27], s[30:31], s[26:27]
	s_and_b64 vcc, exec, s[26:27]
	v_pk_mov_b32 v[2:3], s[28:29], s[28:29] op_sel:[0,1]
	s_cbranch_vccnz .LBB126_4
; %bb.3:
	v_pk_mov_b32 v[2:3], s[24:25], s[24:25] op_sel:[0,1]
	flat_load_dwordx2 v[2:3], v[2:3]
.LBB126_4:
	s_load_dwordx2 s[76:77], s[4:5], 0x0
	v_or_b32_e32 v1, 0xfffffc00, v0
	v_mov_b32_e32 v6, 0
	v_lshl_add_u32 v19, v0, 3, 0
	s_mov_b64 s[4:5], 0
	s_waitcnt lgkmcnt(0)
	v_pk_mov_b32 v[8:9], s[76:77], s[76:77] op_sel:[0,1]
	v_mov_b32_e32 v7, v6
	s_movk_i32 s7, 0x3bff
	v_mov_b32_e32 v10, v19
	v_mov_b32_e32 v11, v1
.LBB126_5:                              ; =>This Inner Loop Header: Depth=1
	v_add_u32_e32 v11, 0x400, v11
	v_cmp_lt_u32_e32 vcc, s7, v11
	ds_write_b64 v10, v[8:9]
	v_add_u32_e32 v12, 0x20000, v10
	v_add_u32_e32 v10, 0x2000, v10
	s_or_b64 s[4:5], vcc, s[4:5]
	ds_write_b64 v12, v[6:7]
	s_andn2_b64 exec, exec, s[4:5]
	s_cbranch_execnz .LBB126_5
; %bb.6:
	s_or_b64 exec, exec, s[4:5]
	s_waitcnt lgkmcnt(0)
	s_barrier
	s_load_dwordx2 s[4:5], s[16:17], 0x0
	s_mov_b32 s7, 0
	s_waitcnt lgkmcnt(0)
	s_lshl_b64 s[4:5], s[4:5], 3
	s_add_u32 s16, s18, s4
	s_addc_u32 s17, s19, s5
	s_lshl_b64 s[4:5], s[6:7], 3
	s_add_u32 s4, s16, s4
	s_addc_u32 s5, s17, s5
	s_load_dwordx2 s[52:53], s[4:5], 0x0
	s_and_b64 vcc, exec, s[22:23]
	s_cbranch_vccz .LBB126_26
; %bb.7:
	s_waitcnt lgkmcnt(0)
	s_lshl_b64 s[4:5], s[52:53], 3
	s_add_u32 s4, s8, s4
	s_addc_u32 s5, s9, s5
	s_load_dwordx4 s[16:19], s[4:5], 0x0
	v_lshrrev_b32_e32 v6, 6, v0
	v_subrev_co_u32_e32 v6, vcc, s40, v6
	v_subb_co_u32_e64 v7, s[8:9], 0, 0, vcc
	s_waitcnt lgkmcnt(0)
	s_sub_u32 s4, s18, s40
	v_mov_b32_e32 v8, s17
	v_add_co_u32_e32 v6, vcc, s16, v6
	s_subb_u32 s5, s19, 0
	v_addc_co_u32_e32 v7, vcc, v8, v7, vcc
	v_cmp_gt_i64_e32 vcc, s[4:5], v[6:7]
	s_and_saveexec_b64 s[8:9], vcc
	s_cbranch_execz .LBB126_25
; %bb.8:
	v_and_b32_e32 v8, 63, v0
	v_subrev_co_u32_e32 v22, vcc, s41, v8
	s_mov_b32 s6, 0
	v_subb_co_u32_e64 v23, s[16:17], 0, 0, vcc
	s_mov_b32 s33, s40
	s_mov_b32 s36, s41
	s_mov_b64 s[16:17], 0
	v_mov_b32_e32 v24, s11
	v_mov_b32_e32 v25, s7
	;; [unrolled: 1-line block ×4, first 2 shown]
	s_movk_i32 s11, 0x89
	s_branch .LBB126_10
.LBB126_9:                              ;   in Loop: Header=BB126_10 Depth=1
	s_or_b64 exec, exec, s[6:7]
	v_add_co_u32_e32 v6, vcc, 16, v6
	v_addc_co_u32_e32 v7, vcc, 0, v7, vcc
	v_cmp_le_i64_e32 vcc, s[4:5], v[6:7]
	s_or_b64 s[16:17], vcc, s[16:17]
	s_andn2_b64 exec, exec, s[16:17]
	s_cbranch_execz .LBB126_25
.LBB126_10:                             ; =>This Loop Header: Depth=1
                                        ;     Child Loop BB126_13 Depth 2
                                        ;       Child Loop BB126_15 Depth 3
	v_lshlrev_b64 v[12:13], 3, v[6:7]
	v_add_co_u32_e32 v8, vcc, s10, v12
	v_addc_co_u32_e32 v9, vcc, v24, v13, vcc
	global_load_dwordx2 v[8:9], v[8:9], off
	s_waitcnt vmcnt(0)
	v_subrev_co_u32_e32 v8, vcc, s33, v8
	v_subb_co_u32_e32 v9, vcc, v9, v25, vcc
	v_lshlrev_b64 v[8:9], 3, v[8:9]
	v_add_co_u32_e32 v8, vcc, s14, v8
	v_addc_co_u32_e32 v9, vcc, v26, v9, vcc
	global_load_dwordx4 v[14:17], v[8:9], off
	s_waitcnt vmcnt(0)
	v_subrev_co_u32_e32 v8, vcc, s36, v16
	v_subb_co_u32_e32 v9, vcc, v17, v27, vcc
	v_add_co_u32_e32 v10, vcc, v14, v22
	v_addc_co_u32_e32 v11, vcc, v15, v23, vcc
	v_cmp_lt_i64_e32 vcc, v[10:11], v[8:9]
	s_and_saveexec_b64 s[6:7], vcc
	s_cbranch_execz .LBB126_9
; %bb.11:                               ;   in Loop: Header=BB126_10 Depth=1
	v_mov_b32_e32 v14, s13
	v_add_co_u32_e32 v12, vcc, s12, v12
	v_addc_co_u32_e32 v13, vcc, v14, v13, vcc
	global_load_dwordx2 v[12:13], v[12:13], off
	s_mov_b64 s[18:19], 0
	s_waitcnt vmcnt(0)
	v_mul_f64 v[12:13], v[4:5], v[12:13]
	s_branch .LBB126_13
.LBB126_12:                             ;   in Loop: Header=BB126_13 Depth=2
	s_or_b64 exec, exec, s[22:23]
	v_add_co_u32_e32 v10, vcc, 64, v10
	v_addc_co_u32_e32 v11, vcc, 0, v11, vcc
	v_cmp_ge_i64_e32 vcc, v[10:11], v[8:9]
	s_or_b64 s[18:19], vcc, s[18:19]
	s_andn2_b64 exec, exec, s[18:19]
	s_cbranch_execz .LBB126_9
.LBB126_13:                             ;   Parent Loop BB126_10 Depth=1
                                        ; =>  This Loop Header: Depth=2
                                        ;       Child Loop BB126_15 Depth 3
	v_lshlrev_b64 v[14:15], 3, v[10:11]
	v_mov_b32_e32 v17, s1
	v_add_co_u32_e32 v16, vcc, s0, v14
	v_addc_co_u32_e32 v17, vcc, v17, v15, vcc
	global_load_dwordx2 v[16:17], v[16:17], off
	v_mov_b32_e32 v18, s3
	v_add_co_u32_e32 v14, vcc, s2, v14
	v_addc_co_u32_e32 v15, vcc, v18, v15, vcc
	global_load_dwordx2 v[20:21], v[14:15], off
	s_mov_b64 s[22:23], 0
	s_waitcnt vmcnt(1)
	v_subrev_co_u32_e32 v14, vcc, s36, v16
	v_mul_lo_u32 v18, v14, s11
	v_subb_co_u32_e32 v15, vcc, v17, v27, vcc
	v_and_b32_e32 v18, 0x3fff, v18
	s_waitcnt vmcnt(0)
	v_mul_f64 v[16:17], v[12:13], v[20:21]
	s_branch .LBB126_15
.LBB126_14:                             ;   in Loop: Header=BB126_15 Depth=3
	s_or_b64 exec, exec, s[24:25]
	s_xor_b64 s[24:25], s[26:27], -1
	s_and_b64 s[24:25], exec, s[24:25]
	s_or_b64 s[22:23], s[24:25], s[22:23]
	s_andn2_b64 exec, exec, s[22:23]
	s_cbranch_execz .LBB126_12
.LBB126_15:                             ;   Parent Loop BB126_10 Depth=1
                                        ;     Parent Loop BB126_13 Depth=2
                                        ; =>    This Inner Loop Header: Depth=3
	v_lshl_add_u32 v28, v18, 3, 0
	ds_read_b64 v[20:21], v28
                                        ; implicit-def: $sgpr26_sgpr27
	s_waitcnt lgkmcnt(0)
	v_cmp_ne_u64_e32 vcc, v[20:21], v[14:15]
	s_and_saveexec_b64 s[24:25], vcc
	s_xor_b64 s[24:25], exec, s[24:25]
	s_cbranch_execz .LBB126_23
; %bb.16:                               ;   in Loop: Header=BB126_15 Depth=3
	v_cmp_ne_u64_e32 vcc, s[76:77], v[20:21]
                                        ; implicit-def: $sgpr26_sgpr27
	s_and_saveexec_b64 s[28:29], vcc
	s_xor_b64 s[28:29], exec, s[28:29]
; %bb.17:                               ;   in Loop: Header=BB126_15 Depth=3
	v_add_u32_e32 v18, 1, v18
	v_and_b32_e32 v18, 0x3fff, v18
	s_mov_b64 s[26:27], -1
                                        ; implicit-def: $vgpr28
; %bb.18:                               ;   in Loop: Header=BB126_15 Depth=3
	s_andn2_saveexec_b64 s[28:29], s[28:29]
	s_cbranch_execz .LBB126_22
; %bb.19:                               ;   in Loop: Header=BB126_15 Depth=3
	v_pk_mov_b32 v[20:21], s[76:77], s[76:77] op_sel:[0,1]
	ds_cmpst_rtn_b64 v[20:21], v28, v[20:21], v[14:15]
	s_mov_b64 s[30:31], -1
	s_waitcnt lgkmcnt(0)
	v_cmp_eq_u64_e32 vcc, s[76:77], v[20:21]
	s_and_saveexec_b64 s[34:35], vcc
	s_cbranch_execz .LBB126_21
; %bb.20:                               ;   in Loop: Header=BB126_15 Depth=3
	v_add_u32_e32 v20, 0x20000, v28
	ds_add_f64 v20, v[16:17]
	s_xor_b64 s[30:31], exec, -1
.LBB126_21:                             ;   in Loop: Header=BB126_15 Depth=3
	s_or_b64 exec, exec, s[34:35]
	s_andn2_b64 s[26:27], s[26:27], exec
	s_and_b64 s[30:31], s[30:31], exec
	s_or_b64 s[26:27], s[26:27], s[30:31]
.LBB126_22:                             ;   in Loop: Header=BB126_15 Depth=3
	s_or_b64 exec, exec, s[28:29]
	s_and_b64 s[26:27], s[26:27], exec
                                        ; implicit-def: $vgpr28
.LBB126_23:                             ;   in Loop: Header=BB126_15 Depth=3
	s_andn2_saveexec_b64 s[24:25], s[24:25]
	s_cbranch_execz .LBB126_14
; %bb.24:                               ;   in Loop: Header=BB126_15 Depth=3
	v_add_u32_e32 v20, 0x20000, v28
	ds_add_f64 v20, v[16:17]
	s_andn2_b64 s[26:27], s[26:27], exec
	s_branch .LBB126_14
.LBB126_25:
	s_or_b64 exec, exec, s[8:9]
.LBB126_26:
	s_andn2_b64 vcc, exec, s[20:21]
	s_cbranch_vccnz .LBB126_43
; %bb.27:
	s_waitcnt lgkmcnt(0)
	s_lshl_b64 s[0:1], s[52:53], 3
	s_add_u32 s0, s44, s0
	s_addc_u32 s1, s45, s1
	s_load_dwordx4 s[8:11], s[0:1], 0x0
	s_waitcnt vmcnt(0)
	v_subrev_co_u32_e32 v4, vcc, s43, v0
	v_subb_co_u32_e64 v5, s[2:3], 0, 0, vcc
	s_waitcnt lgkmcnt(0)
	s_sub_u32 s0, s10, s43
	v_mov_b32_e32 v6, s9
	v_add_co_u32_e32 v4, vcc, s8, v4
	s_subb_u32 s1, s11, 0
	v_addc_co_u32_e32 v5, vcc, v6, v5, vcc
	s_mov_b32 s6, 0
	v_cmp_gt_i64_e32 vcc, s[0:1], v[4:5]
	s_and_saveexec_b64 s[2:3], vcc
	s_cbranch_execz .LBB126_42
; %bb.28:
	s_mov_b32 s18, s43
	s_mov_b64 s[4:5], 0
	v_mov_b32_e32 v11, s47
	v_mov_b32_e32 v14, s6
	v_mov_b32_e32 v15, s49
	s_movk_i32 s19, 0x89
	s_branch .LBB126_30
.LBB126_29:                             ;   in Loop: Header=BB126_30 Depth=1
	s_or_b64 exec, exec, s[6:7]
	v_add_co_u32_e32 v4, vcc, 0x400, v4
	v_addc_co_u32_e32 v5, vcc, 0, v5, vcc
	v_cmp_le_i64_e32 vcc, s[0:1], v[4:5]
	s_or_b64 s[4:5], vcc, s[4:5]
	s_andn2_b64 exec, exec, s[4:5]
	s_cbranch_execz .LBB126_42
.LBB126_30:                             ; =>This Loop Header: Depth=1
                                        ;     Child Loop BB126_32 Depth 2
	v_lshlrev_b64 v[6:7], 3, v[4:5]
	v_add_co_u32_e32 v8, vcc, s46, v6
	v_addc_co_u32_e32 v9, vcc, v11, v7, vcc
	global_load_dwordx2 v[8:9], v[8:9], off
	v_add_co_u32_e32 v6, vcc, s48, v6
	v_addc_co_u32_e32 v7, vcc, v15, v7, vcc
	global_load_dwordx2 v[12:13], v[6:7], off
	s_mov_b64 s[6:7], 0
	s_waitcnt vmcnt(1)
	v_subrev_co_u32_e32 v6, vcc, s18, v8
	v_mul_lo_u32 v10, v6, s19
	v_subb_co_u32_e32 v7, vcc, v9, v14, vcc
	s_waitcnt vmcnt(0)
	v_mul_f64 v[8:9], v[2:3], v[12:13]
	v_and_b32_e32 v10, 0x3fff, v10
	s_branch .LBB126_32
.LBB126_31:                             ;   in Loop: Header=BB126_32 Depth=2
	s_or_b64 exec, exec, s[8:9]
	s_xor_b64 s[8:9], s[10:11], -1
	s_and_b64 s[8:9], exec, s[8:9]
	s_or_b64 s[6:7], s[8:9], s[6:7]
	s_andn2_b64 exec, exec, s[6:7]
	s_cbranch_execz .LBB126_29
.LBB126_32:                             ;   Parent Loop BB126_30 Depth=1
                                        ; =>  This Inner Loop Header: Depth=2
	v_lshl_add_u32 v16, v10, 3, 0
	ds_read_b64 v[12:13], v16
                                        ; implicit-def: $sgpr10_sgpr11
	s_waitcnt lgkmcnt(0)
	v_cmp_ne_u64_e32 vcc, v[12:13], v[6:7]
	s_and_saveexec_b64 s[8:9], vcc
	s_xor_b64 s[8:9], exec, s[8:9]
	s_cbranch_execz .LBB126_40
; %bb.33:                               ;   in Loop: Header=BB126_32 Depth=2
	v_cmp_ne_u64_e32 vcc, s[76:77], v[12:13]
                                        ; implicit-def: $sgpr10_sgpr11
	s_and_saveexec_b64 s[12:13], vcc
	s_xor_b64 s[12:13], exec, s[12:13]
; %bb.34:                               ;   in Loop: Header=BB126_32 Depth=2
	v_add_u32_e32 v10, 1, v10
	v_and_b32_e32 v10, 0x3fff, v10
	s_mov_b64 s[10:11], -1
                                        ; implicit-def: $vgpr16
; %bb.35:                               ;   in Loop: Header=BB126_32 Depth=2
	s_andn2_saveexec_b64 s[12:13], s[12:13]
	s_cbranch_execz .LBB126_39
; %bb.36:                               ;   in Loop: Header=BB126_32 Depth=2
	v_pk_mov_b32 v[12:13], s[76:77], s[76:77] op_sel:[0,1]
	ds_cmpst_rtn_b64 v[12:13], v16, v[12:13], v[6:7]
	s_mov_b64 s[14:15], -1
	s_waitcnt lgkmcnt(0)
	v_cmp_eq_u64_e32 vcc, s[76:77], v[12:13]
	s_and_saveexec_b64 s[16:17], vcc
	s_cbranch_execz .LBB126_38
; %bb.37:                               ;   in Loop: Header=BB126_32 Depth=2
	v_add_u32_e32 v12, 0x20000, v16
	ds_add_f64 v12, v[8:9]
	s_xor_b64 s[14:15], exec, -1
.LBB126_38:                             ;   in Loop: Header=BB126_32 Depth=2
	s_or_b64 exec, exec, s[16:17]
	s_andn2_b64 s[10:11], s[10:11], exec
	s_and_b64 s[14:15], s[14:15], exec
	s_or_b64 s[10:11], s[10:11], s[14:15]
.LBB126_39:                             ;   in Loop: Header=BB126_32 Depth=2
	s_or_b64 exec, exec, s[12:13]
	s_and_b64 s[10:11], s[10:11], exec
                                        ; implicit-def: $vgpr16
.LBB126_40:                             ;   in Loop: Header=BB126_32 Depth=2
	s_andn2_saveexec_b64 s[8:9], s[8:9]
	s_cbranch_execz .LBB126_31
; %bb.41:                               ;   in Loop: Header=BB126_32 Depth=2
	v_add_u32_e32 v12, 0x20000, v16
	ds_add_f64 v12, v[8:9]
	s_andn2_b64 s[10:11], s[10:11], exec
	s_branch .LBB126_31
.LBB126_42:
	s_or_b64 exec, exec, s[2:3]
.LBB126_43:
	s_waitcnt lgkmcnt(0)
	v_writelane_b32 v29, s52, 4
	v_writelane_b32 v29, s53, 5
	;; [unrolled: 1-line block ×10, first 2 shown]
	s_movk_i32 s33, 0x25f
	v_writelane_b32 v29, s40, 14
	v_cmp_lt_u32_e64 s[34:35], s33, v0
	s_movk_i32 s33, 0x27f
	v_writelane_b32 v29, s41, 15
	v_cmp_lt_u32_e64 s[36:37], s33, v0
	;; [unrolled: 3-line block ×4, first 2 shown]
	s_movk_i32 s33, 0x2df
	v_cmp_lt_u32_e64 s[42:43], s33, v0
	s_movk_i32 s33, 0x2ff
	v_cmp_lt_u32_e64 s[44:45], s33, v0
	;; [unrolled: 2-line block ×7, first 2 shown]
	s_movk_i32 s33, 0x3bf
	s_add_i32 s0, 0, 0x40000
	v_cmp_lt_u32_e64 s[56:57], s33, v0
	s_movk_i32 s33, 0x3df
	v_writelane_b32 v29, s0, 18
	v_cmp_lt_u32_e64 s[58:59], s33, v0
	s_add_i32 s33, 0, 0x40008
	v_writelane_b32 v29, s33, 19
	s_add_i32 s33, 0, 0x40010
	s_waitcnt vmcnt(0)
	v_mbcnt_lo_u32_b32 v2, -1, 0
	v_writelane_b32 v29, s33, 20
	s_add_i32 s33, 0, 0x40018
	v_mbcnt_hi_u32_b32 v2, -1, v2
	v_writelane_b32 v29, s33, 21
	s_add_i32 s33, 0, 0x40020
	v_sub_u32_e32 v2, 63, v2
	v_writelane_b32 v29, s33, 22
	s_add_i32 s33, 0, 0x40028
	v_lshrrev_b64 v[4:5], v2, -1
	v_lshrrev_b32_e32 v2, 2, v0
	v_writelane_b32 v29, s33, 23
	s_add_i32 s33, 0, 0x40030
	v_and_b32_e32 v2, 0xf8, v2
	v_writelane_b32 v29, s33, 24
	s_add_i32 s33, 0, 0x40038
	v_add_u32_e32 v14, s0, v2
	s_movk_i32 s0, 0x3ff
	v_writelane_b32 v29, s33, 25
	s_add_i32 s33, 0, 0x40040
	v_cmp_eq_u32_e32 vcc, s0, v0
	s_movk_i32 s0, 0x5f
	s_movk_i32 s2, 0x7f
	;; [unrolled: 1-line block ×16, first 2 shown]
	v_writelane_b32 v29, s33, 26
	s_add_i32 s33, 0, 0x40048
	v_mov_b32_e32 v3, 0
	v_cmp_lt_u32_e64 s[0:1], s0, v0
	v_cmp_lt_u32_e64 s[2:3], s2, v0
	;; [unrolled: 1-line block ×16, first 2 shown]
	v_pk_mov_b32 v[6:7], 0, 0
	v_writelane_b32 v29, s33, 27
	s_add_i32 s90, 0, 0x40050
	s_add_i32 s91, 0, 0x40058
	;; [unrolled: 1-line block ×22, first 2 shown]
	s_movk_i32 s87, 0x3bff
	v_cmp_lt_u32_e64 s[60:61], 31, v0
	v_cmp_lt_u32_e64 s[62:63], 63, v0
	s_mov_b64 s[68:69], 0
	s_barrier
	s_branch .LBB126_45
.LBB126_44:                             ;   in Loop: Header=BB126_45 Depth=1
	s_or_b64 exec, exec, s[64:65]
	v_mov_b32_e32 v2, s86
	s_waitcnt lgkmcnt(0)
	s_barrier
	ds_read_b64 v[8:9], v2
	v_add_u32_e32 v1, 0x400, v1
	v_add_u32_e32 v19, 0x2000, v19
	s_waitcnt lgkmcnt(0)
	v_add_co_u32_e64 v6, s[64:65], v8, v6
	v_addc_co_u32_e64 v7, s[64:65], v9, v7, s[64:65]
	v_cmp_lt_u32_e64 s[64:65], s87, v1
	s_or_b64 s[68:69], s[64:65], s[68:69]
	s_andn2_b64 exec, exec, s[68:69]
	s_cbranch_execz .LBB126_111
.LBB126_45:                             ; =>This Inner Loop Header: Depth=1
	ds_read_b64 v[8:9], v19
	v_add_u32_e32 v2, 0x20000, v19
	ds_read_b64 v[10:11], v2
	s_waitcnt lgkmcnt(0)
	s_barrier
	v_cmp_gt_i64_e64 s[64:65], s[76:77], v[8:9]
	v_and_b32_e32 v13, s64, v4
	s_bcnt1_i32_b64 s80, s[64:65]
	v_and_b32_e32 v12, s65, v5
	v_bcnt_u32_b32 v13, v13, 0
	v_mov_b32_e32 v2, s80
	v_bcnt_u32_b32 v12, v12, v13
	ds_write_b64 v14, v[2:3]
	s_waitcnt lgkmcnt(0)
	s_barrier
	s_and_saveexec_b64 s[80:81], s[60:61]
	s_cbranch_execnz .LBB126_78
; %bb.46:                               ;   in Loop: Header=BB126_45 Depth=1
	s_or_b64 exec, exec, s[80:81]
	s_and_saveexec_b64 s[80:81], s[62:63]
	s_cbranch_execnz .LBB126_79
.LBB126_47:                             ;   in Loop: Header=BB126_45 Depth=1
	s_or_b64 exec, exec, s[80:81]
	s_and_saveexec_b64 s[80:81], s[0:1]
	s_cbranch_execnz .LBB126_80
.LBB126_48:                             ;   in Loop: Header=BB126_45 Depth=1
	s_or_b64 exec, exec, s[80:81]
	s_and_saveexec_b64 s[80:81], s[2:3]
	s_cbranch_execnz .LBB126_81
.LBB126_49:                             ;   in Loop: Header=BB126_45 Depth=1
	s_or_b64 exec, exec, s[80:81]
	s_and_saveexec_b64 s[80:81], s[4:5]
	s_cbranch_execnz .LBB126_82
.LBB126_50:                             ;   in Loop: Header=BB126_45 Depth=1
	s_or_b64 exec, exec, s[80:81]
	s_and_saveexec_b64 s[80:81], s[6:7]
	s_cbranch_execnz .LBB126_83
.LBB126_51:                             ;   in Loop: Header=BB126_45 Depth=1
	s_or_b64 exec, exec, s[80:81]
	s_and_saveexec_b64 s[80:81], s[8:9]
	s_cbranch_execnz .LBB126_84
.LBB126_52:                             ;   in Loop: Header=BB126_45 Depth=1
	s_or_b64 exec, exec, s[80:81]
	s_and_saveexec_b64 s[80:81], s[10:11]
	s_cbranch_execnz .LBB126_85
.LBB126_53:                             ;   in Loop: Header=BB126_45 Depth=1
	s_or_b64 exec, exec, s[80:81]
	s_and_saveexec_b64 s[80:81], s[12:13]
	s_cbranch_execnz .LBB126_86
.LBB126_54:                             ;   in Loop: Header=BB126_45 Depth=1
	s_or_b64 exec, exec, s[80:81]
	s_and_saveexec_b64 s[80:81], s[14:15]
	s_cbranch_execnz .LBB126_87
.LBB126_55:                             ;   in Loop: Header=BB126_45 Depth=1
	s_or_b64 exec, exec, s[80:81]
	s_and_saveexec_b64 s[80:81], s[16:17]
	s_cbranch_execnz .LBB126_88
.LBB126_56:                             ;   in Loop: Header=BB126_45 Depth=1
	s_or_b64 exec, exec, s[80:81]
	s_and_saveexec_b64 s[80:81], s[18:19]
	s_cbranch_execnz .LBB126_89
.LBB126_57:                             ;   in Loop: Header=BB126_45 Depth=1
	s_or_b64 exec, exec, s[80:81]
	s_and_saveexec_b64 s[80:81], s[20:21]
	s_cbranch_execnz .LBB126_90
.LBB126_58:                             ;   in Loop: Header=BB126_45 Depth=1
	s_or_b64 exec, exec, s[80:81]
	s_and_saveexec_b64 s[80:81], s[22:23]
	s_cbranch_execnz .LBB126_91
.LBB126_59:                             ;   in Loop: Header=BB126_45 Depth=1
	s_or_b64 exec, exec, s[80:81]
	s_and_saveexec_b64 s[80:81], s[24:25]
	s_cbranch_execnz .LBB126_92
.LBB126_60:                             ;   in Loop: Header=BB126_45 Depth=1
	s_or_b64 exec, exec, s[80:81]
	s_and_saveexec_b64 s[80:81], s[26:27]
	s_cbranch_execnz .LBB126_93
.LBB126_61:                             ;   in Loop: Header=BB126_45 Depth=1
	s_or_b64 exec, exec, s[80:81]
	s_and_saveexec_b64 s[80:81], s[28:29]
	s_cbranch_execnz .LBB126_94
.LBB126_62:                             ;   in Loop: Header=BB126_45 Depth=1
	s_or_b64 exec, exec, s[80:81]
	s_and_saveexec_b64 s[80:81], s[30:31]
	s_cbranch_execnz .LBB126_95
.LBB126_63:                             ;   in Loop: Header=BB126_45 Depth=1
	s_or_b64 exec, exec, s[80:81]
	s_and_saveexec_b64 s[80:81], s[34:35]
	s_cbranch_execnz .LBB126_96
.LBB126_64:                             ;   in Loop: Header=BB126_45 Depth=1
	s_or_b64 exec, exec, s[80:81]
	s_and_saveexec_b64 s[80:81], s[36:37]
	s_cbranch_execnz .LBB126_97
.LBB126_65:                             ;   in Loop: Header=BB126_45 Depth=1
	s_or_b64 exec, exec, s[80:81]
	s_and_saveexec_b64 s[80:81], s[38:39]
	s_cbranch_execnz .LBB126_98
.LBB126_66:                             ;   in Loop: Header=BB126_45 Depth=1
	s_or_b64 exec, exec, s[80:81]
	s_and_saveexec_b64 s[80:81], s[40:41]
	s_cbranch_execnz .LBB126_99
.LBB126_67:                             ;   in Loop: Header=BB126_45 Depth=1
	s_or_b64 exec, exec, s[80:81]
	s_and_saveexec_b64 s[80:81], s[42:43]
	s_cbranch_execnz .LBB126_100
.LBB126_68:                             ;   in Loop: Header=BB126_45 Depth=1
	s_or_b64 exec, exec, s[80:81]
	s_and_saveexec_b64 s[80:81], s[44:45]
	s_cbranch_execnz .LBB126_101
.LBB126_69:                             ;   in Loop: Header=BB126_45 Depth=1
	s_or_b64 exec, exec, s[80:81]
	s_and_saveexec_b64 s[80:81], s[46:47]
	s_cbranch_execnz .LBB126_102
.LBB126_70:                             ;   in Loop: Header=BB126_45 Depth=1
	s_or_b64 exec, exec, s[80:81]
	s_and_saveexec_b64 s[80:81], s[48:49]
	s_cbranch_execnz .LBB126_103
.LBB126_71:                             ;   in Loop: Header=BB126_45 Depth=1
	s_or_b64 exec, exec, s[80:81]
	s_and_saveexec_b64 s[80:81], s[50:51]
	s_cbranch_execnz .LBB126_104
.LBB126_72:                             ;   in Loop: Header=BB126_45 Depth=1
	s_or_b64 exec, exec, s[80:81]
	s_and_saveexec_b64 s[80:81], s[52:53]
	s_cbranch_execnz .LBB126_105
.LBB126_73:                             ;   in Loop: Header=BB126_45 Depth=1
	s_or_b64 exec, exec, s[80:81]
	s_and_saveexec_b64 s[80:81], s[54:55]
	s_cbranch_execnz .LBB126_106
.LBB126_74:                             ;   in Loop: Header=BB126_45 Depth=1
	s_or_b64 exec, exec, s[80:81]
	s_and_saveexec_b64 s[80:81], s[56:57]
	s_cbranch_execnz .LBB126_107
.LBB126_75:                             ;   in Loop: Header=BB126_45 Depth=1
	s_or_b64 exec, exec, s[80:81]
	s_and_saveexec_b64 s[80:81], s[58:59]
	s_cbranch_execnz .LBB126_108
.LBB126_76:                             ;   in Loop: Header=BB126_45 Depth=1
	s_or_b64 exec, exec, s[80:81]
	v_ashrrev_i32_e32 v13, 31, v12
	s_and_saveexec_b64 s[80:81], s[64:65]
	s_cbranch_execnz .LBB126_109
.LBB126_77:                             ;   in Loop: Header=BB126_45 Depth=1
	s_or_b64 exec, exec, s[80:81]
	s_and_saveexec_b64 s[64:65], vcc
	s_cbranch_execz .LBB126_44
	s_branch .LBB126_110
.LBB126_78:                             ;   in Loop: Header=BB126_45 Depth=1
	v_readlane_b32 s88, v29, 18
	v_mov_b32_e32 v2, s88
	ds_read_b32 v2, v2
	s_waitcnt lgkmcnt(0)
	v_add_u32_e32 v12, v2, v12
	s_or_b64 exec, exec, s[80:81]
	s_and_saveexec_b64 s[80:81], s[62:63]
	s_cbranch_execz .LBB126_47
.LBB126_79:                             ;   in Loop: Header=BB126_45 Depth=1
	v_readlane_b32 s88, v29, 19
	v_mov_b32_e32 v2, s88
	ds_read_b32 v2, v2
	s_waitcnt lgkmcnt(0)
	v_add_u32_e32 v12, v12, v2
	s_or_b64 exec, exec, s[80:81]
	s_and_saveexec_b64 s[80:81], s[0:1]
	s_cbranch_execz .LBB126_48
.LBB126_80:                             ;   in Loop: Header=BB126_45 Depth=1
	v_readlane_b32 s88, v29, 20
	v_mov_b32_e32 v2, s88
	ds_read_b32 v2, v2
	s_waitcnt lgkmcnt(0)
	v_add_u32_e32 v12, v12, v2
	s_or_b64 exec, exec, s[80:81]
	s_and_saveexec_b64 s[80:81], s[2:3]
	s_cbranch_execz .LBB126_49
.LBB126_81:                             ;   in Loop: Header=BB126_45 Depth=1
	v_readlane_b32 s88, v29, 21
	v_mov_b32_e32 v2, s88
	ds_read_b32 v2, v2
	s_waitcnt lgkmcnt(0)
	v_add_u32_e32 v12, v12, v2
	s_or_b64 exec, exec, s[80:81]
	s_and_saveexec_b64 s[80:81], s[4:5]
	s_cbranch_execz .LBB126_50
.LBB126_82:                             ;   in Loop: Header=BB126_45 Depth=1
	v_readlane_b32 s88, v29, 22
	v_mov_b32_e32 v2, s88
	ds_read_b32 v2, v2
	s_waitcnt lgkmcnt(0)
	v_add_u32_e32 v12, v12, v2
	s_or_b64 exec, exec, s[80:81]
	s_and_saveexec_b64 s[80:81], s[6:7]
	s_cbranch_execz .LBB126_51
.LBB126_83:                             ;   in Loop: Header=BB126_45 Depth=1
	v_readlane_b32 s88, v29, 23
	v_mov_b32_e32 v2, s88
	ds_read_b32 v2, v2
	s_waitcnt lgkmcnt(0)
	v_add_u32_e32 v12, v12, v2
	s_or_b64 exec, exec, s[80:81]
	s_and_saveexec_b64 s[80:81], s[8:9]
	s_cbranch_execz .LBB126_52
.LBB126_84:                             ;   in Loop: Header=BB126_45 Depth=1
	v_readlane_b32 s88, v29, 24
	v_mov_b32_e32 v2, s88
	ds_read_b32 v2, v2
	s_waitcnt lgkmcnt(0)
	v_add_u32_e32 v12, v12, v2
	s_or_b64 exec, exec, s[80:81]
	s_and_saveexec_b64 s[80:81], s[10:11]
	s_cbranch_execz .LBB126_53
.LBB126_85:                             ;   in Loop: Header=BB126_45 Depth=1
	v_readlane_b32 s88, v29, 25
	v_mov_b32_e32 v2, s88
	ds_read_b32 v2, v2
	s_waitcnt lgkmcnt(0)
	v_add_u32_e32 v12, v12, v2
	s_or_b64 exec, exec, s[80:81]
	s_and_saveexec_b64 s[80:81], s[12:13]
	s_cbranch_execz .LBB126_54
.LBB126_86:                             ;   in Loop: Header=BB126_45 Depth=1
	v_readlane_b32 s88, v29, 26
	v_mov_b32_e32 v2, s88
	ds_read_b32 v2, v2
	s_waitcnt lgkmcnt(0)
	v_add_u32_e32 v12, v12, v2
	s_or_b64 exec, exec, s[80:81]
	s_and_saveexec_b64 s[80:81], s[14:15]
	s_cbranch_execz .LBB126_55
.LBB126_87:                             ;   in Loop: Header=BB126_45 Depth=1
	v_readlane_b32 s88, v29, 27
	v_mov_b32_e32 v2, s88
	ds_read_b32 v2, v2
	s_waitcnt lgkmcnt(0)
	v_add_u32_e32 v12, v12, v2
	s_or_b64 exec, exec, s[80:81]
	s_and_saveexec_b64 s[80:81], s[16:17]
	s_cbranch_execz .LBB126_56
.LBB126_88:                             ;   in Loop: Header=BB126_45 Depth=1
	v_mov_b32_e32 v2, s90
	ds_read_b32 v2, v2
	s_waitcnt lgkmcnt(0)
	v_add_u32_e32 v12, v12, v2
	s_or_b64 exec, exec, s[80:81]
	s_and_saveexec_b64 s[80:81], s[18:19]
	s_cbranch_execz .LBB126_57
.LBB126_89:                             ;   in Loop: Header=BB126_45 Depth=1
	v_mov_b32_e32 v2, s91
	ds_read_b32 v2, v2
	s_waitcnt lgkmcnt(0)
	v_add_u32_e32 v12, v12, v2
	s_or_b64 exec, exec, s[80:81]
	s_and_saveexec_b64 s[80:81], s[20:21]
	s_cbranch_execz .LBB126_58
.LBB126_90:                             ;   in Loop: Header=BB126_45 Depth=1
	v_mov_b32_e32 v2, s92
	ds_read_b32 v2, v2
	s_waitcnt lgkmcnt(0)
	v_add_u32_e32 v12, v12, v2
	s_or_b64 exec, exec, s[80:81]
	s_and_saveexec_b64 s[80:81], s[22:23]
	s_cbranch_execz .LBB126_59
.LBB126_91:                             ;   in Loop: Header=BB126_45 Depth=1
	v_mov_b32_e32 v2, s93
	ds_read_b32 v2, v2
	s_waitcnt lgkmcnt(0)
	v_add_u32_e32 v12, v12, v2
	s_or_b64 exec, exec, s[80:81]
	s_and_saveexec_b64 s[80:81], s[24:25]
	s_cbranch_execz .LBB126_60
.LBB126_92:                             ;   in Loop: Header=BB126_45 Depth=1
	v_mov_b32_e32 v2, s94
	ds_read_b32 v2, v2
	s_waitcnt lgkmcnt(0)
	v_add_u32_e32 v12, v12, v2
	s_or_b64 exec, exec, s[80:81]
	s_and_saveexec_b64 s[80:81], s[26:27]
	s_cbranch_execz .LBB126_61
.LBB126_93:                             ;   in Loop: Header=BB126_45 Depth=1
	v_mov_b32_e32 v2, s95
	ds_read_b32 v2, v2
	s_waitcnt lgkmcnt(0)
	v_add_u32_e32 v12, v12, v2
	s_or_b64 exec, exec, s[80:81]
	s_and_saveexec_b64 s[80:81], s[28:29]
	s_cbranch_execz .LBB126_62
.LBB126_94:                             ;   in Loop: Header=BB126_45 Depth=1
	v_mov_b32_e32 v2, s78
	ds_read_b32 v2, v2
	s_waitcnt lgkmcnt(0)
	v_add_u32_e32 v12, v12, v2
	s_or_b64 exec, exec, s[80:81]
	s_and_saveexec_b64 s[80:81], s[30:31]
	s_cbranch_execz .LBB126_63
.LBB126_95:                             ;   in Loop: Header=BB126_45 Depth=1
	v_mov_b32_e32 v2, s79
	ds_read_b32 v2, v2
	s_waitcnt lgkmcnt(0)
	v_add_u32_e32 v12, v12, v2
	s_or_b64 exec, exec, s[80:81]
	s_and_saveexec_b64 s[80:81], s[34:35]
	s_cbranch_execz .LBB126_64
.LBB126_96:                             ;   in Loop: Header=BB126_45 Depth=1
	v_mov_b32_e32 v2, s70
	ds_read_b32 v2, v2
	s_waitcnt lgkmcnt(0)
	v_add_u32_e32 v12, v12, v2
	s_or_b64 exec, exec, s[80:81]
	s_and_saveexec_b64 s[80:81], s[36:37]
	s_cbranch_execz .LBB126_65
.LBB126_97:                             ;   in Loop: Header=BB126_45 Depth=1
	v_mov_b32_e32 v2, s66
	ds_read_b32 v2, v2
	s_waitcnt lgkmcnt(0)
	v_add_u32_e32 v12, v12, v2
	s_or_b64 exec, exec, s[80:81]
	s_and_saveexec_b64 s[80:81], s[38:39]
	s_cbranch_execz .LBB126_66
.LBB126_98:                             ;   in Loop: Header=BB126_45 Depth=1
	v_mov_b32_e32 v2, s67
	ds_read_b32 v2, v2
	s_waitcnt lgkmcnt(0)
	v_add_u32_e32 v12, v12, v2
	s_or_b64 exec, exec, s[80:81]
	s_and_saveexec_b64 s[80:81], s[40:41]
	s_cbranch_execz .LBB126_67
.LBB126_99:                             ;   in Loop: Header=BB126_45 Depth=1
	v_mov_b32_e32 v2, s72
	ds_read_b32 v2, v2
	s_waitcnt lgkmcnt(0)
	v_add_u32_e32 v12, v12, v2
	s_or_b64 exec, exec, s[80:81]
	s_and_saveexec_b64 s[80:81], s[42:43]
	s_cbranch_execz .LBB126_68
.LBB126_100:                            ;   in Loop: Header=BB126_45 Depth=1
	v_mov_b32_e32 v2, s73
	ds_read_b32 v2, v2
	s_waitcnt lgkmcnt(0)
	v_add_u32_e32 v12, v12, v2
	s_or_b64 exec, exec, s[80:81]
	s_and_saveexec_b64 s[80:81], s[44:45]
	s_cbranch_execz .LBB126_69
.LBB126_101:                            ;   in Loop: Header=BB126_45 Depth=1
	v_mov_b32_e32 v2, s74
	ds_read_b32 v2, v2
	s_waitcnt lgkmcnt(0)
	v_add_u32_e32 v12, v12, v2
	s_or_b64 exec, exec, s[80:81]
	s_and_saveexec_b64 s[80:81], s[46:47]
	s_cbranch_execz .LBB126_70
.LBB126_102:                            ;   in Loop: Header=BB126_45 Depth=1
	v_mov_b32_e32 v2, s75
	ds_read_b32 v2, v2
	s_waitcnt lgkmcnt(0)
	v_add_u32_e32 v12, v12, v2
	s_or_b64 exec, exec, s[80:81]
	s_and_saveexec_b64 s[80:81], s[48:49]
	s_cbranch_execz .LBB126_71
.LBB126_103:                            ;   in Loop: Header=BB126_45 Depth=1
	v_mov_b32_e32 v2, s33
	ds_read_b32 v2, v2
	s_waitcnt lgkmcnt(0)
	v_add_u32_e32 v12, v12, v2
	s_or_b64 exec, exec, s[80:81]
	s_and_saveexec_b64 s[80:81], s[50:51]
	s_cbranch_execz .LBB126_72
.LBB126_104:                            ;   in Loop: Header=BB126_45 Depth=1
	v_mov_b32_e32 v2, s71
	ds_read_b32 v2, v2
	s_waitcnt lgkmcnt(0)
	v_add_u32_e32 v12, v12, v2
	s_or_b64 exec, exec, s[80:81]
	s_and_saveexec_b64 s[80:81], s[52:53]
	s_cbranch_execz .LBB126_73
.LBB126_105:                            ;   in Loop: Header=BB126_45 Depth=1
	v_mov_b32_e32 v2, s82
	ds_read_b32 v2, v2
	s_waitcnt lgkmcnt(0)
	v_add_u32_e32 v12, v12, v2
	s_or_b64 exec, exec, s[80:81]
	s_and_saveexec_b64 s[80:81], s[54:55]
	s_cbranch_execz .LBB126_74
.LBB126_106:                            ;   in Loop: Header=BB126_45 Depth=1
	v_mov_b32_e32 v2, s83
	ds_read_b32 v2, v2
	s_waitcnt lgkmcnt(0)
	v_add_u32_e32 v12, v12, v2
	s_or_b64 exec, exec, s[80:81]
	s_and_saveexec_b64 s[80:81], s[56:57]
	s_cbranch_execz .LBB126_75
.LBB126_107:                            ;   in Loop: Header=BB126_45 Depth=1
	v_mov_b32_e32 v2, s84
	ds_read_b32 v2, v2
	s_waitcnt lgkmcnt(0)
	v_add_u32_e32 v12, v12, v2
	s_or_b64 exec, exec, s[80:81]
	s_and_saveexec_b64 s[80:81], s[58:59]
	s_cbranch_execz .LBB126_76
.LBB126_108:                            ;   in Loop: Header=BB126_45 Depth=1
	v_mov_b32_e32 v2, s85
	ds_read_b32 v2, v2
	s_waitcnt lgkmcnt(0)
	v_add_u32_e32 v12, v12, v2
	s_or_b64 exec, exec, s[80:81]
	v_ashrrev_i32_e32 v13, 31, v12
	s_and_saveexec_b64 s[80:81], s[64:65]
	s_cbranch_execz .LBB126_77
.LBB126_109:                            ;   in Loop: Header=BB126_45 Depth=1
	v_add3_u32 v2, v6, -1, v12
	v_lshl_add_u32 v2, v2, 3, 0
	v_add_u32_e32 v15, 0x20000, v2
	ds_write_b64 v2, v[8:9]
	ds_write_b64 v15, v[10:11]
	s_or_b64 exec, exec, s[80:81]
	s_and_saveexec_b64 s[64:65], vcc
	s_cbranch_execz .LBB126_44
.LBB126_110:                            ;   in Loop: Header=BB126_45 Depth=1
	v_mov_b32_e32 v2, s86
	ds_write_b64 v2, v[12:13]
	s_branch .LBB126_44
.LBB126_111:
	s_or_b64 exec, exec, s[68:69]
	v_readlane_b32 s0, v29, 4
	v_readlane_b32 s4, v29, 6
	;; [unrolled: 1-line block ×7, first 2 shown]
	s_lshl_b64 s[0:1], s[0:1], 3
	s_mov_b64 s[6:7], s[10:11]
	s_add_u32 s0, s6, s0
	s_addc_u32 s1, s7, s1
	s_load_dwordx4 s[0:3], s[0:1], 0x0
	v_readlane_b32 s5, v29, 7
	v_mov_b32_e32 v1, 0
	v_readlane_b32 s8, v29, 10
	v_readlane_b32 s9, v29, 11
	s_waitcnt lgkmcnt(0)
	s_sub_u32 s4, s2, s0
	s_subb_u32 s5, s3, s1
	v_cmp_gt_i64_e32 vcc, s[4:5], v[0:1]
	s_and_saveexec_b64 s[6:7], vcc
	v_readlane_b32 s16, v29, 14
	v_readlane_b32 s18, v29, 16
	;; [unrolled: 1-line block ×4, first 2 shown]
	s_cbranch_execz .LBB126_121
; %bb.112:
	s_sub_u32 s6, s0, s18
	s_subb_u32 s7, s1, 0
	s_and_b32 s8, s4, 7
	s_sub_u32 s0, s0, s2
	s_mov_b32 s16, 0
	s_subb_u32 s1, s1, s3
	s_mov_b32 s9, s16
	s_and_b32 s2, s4, -8
	v_cmp_lt_u64_e64 s[0:1], s[0:1], -7
	s_cmp_lg_u64 s[8:9], 0
	v_cndmask_b32_e64 v2, 0, 1, s[0:1]
	s_mov_b32 s3, s5
	s_mov_b64 s[10:11], 0
	s_cselect_b64 s[12:13], -1, 0
	v_cmp_ne_u32_e64 s[0:1], 1, v2
	s_branch .LBB126_114
.LBB126_113:                            ;   in Loop: Header=BB126_114 Depth=1
	v_mov_b32_e32 v8, s16
	s_waitcnt lgkmcnt(1)
	v_add_co_u32_e32 v4, vcc, s18, v4
	v_readlane_b32 s20, v29, 0
	v_addc_co_u32_e32 v5, vcc, v5, v8, vcc
	v_lshlrev_b64 v[6:7], 3, v[6:7]
	v_readlane_b32 s21, v29, 1
	v_mov_b32_e32 v9, s21
	v_add_co_u32_e32 v8, vcc, s20, v6
	v_readlane_b32 s22, v29, 2
	v_readlane_b32 s23, v29, 3
	v_addc_co_u32_e32 v9, vcc, v9, v7, vcc
	global_store_dwordx2 v[8:9], v[4:5], off
	v_mov_b32_e32 v5, s23
	v_add_co_u32_e32 v4, vcc, s22, v6
	v_addc_co_u32_e32 v5, vcc, v5, v7, vcc
	v_add_co_u32_e32 v0, vcc, 0x400, v0
	v_addc_co_u32_e32 v1, vcc, 0, v1, vcc
	v_cmp_le_i64_e32 vcc, s[4:5], v[0:1]
	s_or_b64 s[10:11], vcc, s[10:11]
	s_waitcnt lgkmcnt(0)
	global_store_dwordx2 v[4:5], v[2:3], off
	s_andn2_b64 exec, exec, s[10:11]
	s_cbranch_execz .LBB126_121
.LBB126_114:                            ; =>This Loop Header: Depth=1
                                        ;     Child Loop BB126_116 Depth 2
                                        ;     Child Loop BB126_120 Depth 2
	v_lshl_add_u32 v2, v0, 3, 0
	v_add_u32_e32 v3, 0x20000, v2
	ds_read_b64 v[4:5], v2
	ds_read_b64 v[2:3], v3
	s_and_b64 vcc, exec, s[0:1]
	v_pk_mov_b32 v[6:7], s[6:7], s[6:7] op_sel:[0,1]
	s_mov_b64 s[14:15], 0
	s_cbranch_vccnz .LBB126_118
; %bb.115:                              ;   in Loop: Header=BB126_114 Depth=1
	s_mov_b32 s17, 0
	v_pk_mov_b32 v[6:7], s[6:7], s[6:7] op_sel:[0,1]
.LBB126_116:                            ;   Parent Loop BB126_114 Depth=1
                                        ; =>  This Inner Loop Header: Depth=2
	v_mov_b32_e32 v20, s17
	ds_read2_b64 v[8:11], v20 offset1:1
	ds_read2_b64 v[12:15], v20 offset0:2 offset1:3
	ds_read2_b64 v[16:19], v20 offset0:4 offset1:5
	;; [unrolled: 1-line block ×3, first 2 shown]
	s_add_u32 s14, s14, 8
	s_waitcnt lgkmcnt(3)
	v_cmp_gt_i64_e32 vcc, v[4:5], v[8:9]
	v_cndmask_b32_e64 v8, 0, 1, vcc
	v_cmp_gt_i64_e32 vcc, v[4:5], v[10:11]
	v_cndmask_b32_e64 v9, 0, 1, vcc
	s_waitcnt lgkmcnt(2)
	v_cmp_gt_i64_e32 vcc, v[4:5], v[12:13]
	v_cndmask_b32_e64 v10, 0, 1, vcc
	v_cmp_gt_i64_e32 vcc, v[4:5], v[14:15]
	v_cndmask_b32_e64 v11, 0, 1, vcc
	;; [unrolled: 5-line block ×4, first 2 shown]
	v_add_co_u32_e32 v6, vcc, v6, v8
	v_addc_co_u32_e32 v7, vcc, 0, v7, vcc
	v_add_co_u32_e32 v6, vcc, v6, v9
	v_addc_co_u32_e32 v7, vcc, 0, v7, vcc
	;; [unrolled: 2-line block ×7, first 2 shown]
	s_addc_u32 s15, s15, 0
	s_add_i32 s17, s17, 64
	v_add_co_u32_e32 v6, vcc, v6, v15
	s_cmp_eq_u64 s[2:3], s[14:15]
	v_addc_co_u32_e32 v7, vcc, 0, v7, vcc
	s_cbranch_scc0 .LBB126_116
; %bb.117:                              ;   in Loop: Header=BB126_114 Depth=1
	s_mov_b64 s[14:15], s[2:3]
.LBB126_118:                            ;   in Loop: Header=BB126_114 Depth=1
	s_andn2_b64 vcc, exec, s[12:13]
	s_cbranch_vccnz .LBB126_113
; %bb.119:                              ;   in Loop: Header=BB126_114 Depth=1
	s_lshl_b32 s14, s14, 3
	s_add_i32 s17, s14, 0
	s_mov_b64 s[14:15], s[8:9]
.LBB126_120:                            ;   Parent Loop BB126_114 Depth=1
                                        ; =>  This Inner Loop Header: Depth=2
	v_mov_b32_e32 v8, s17
	ds_read_b64 v[8:9], v8
	s_add_i32 s17, s17, 8
	s_add_u32 s14, s14, -1
	s_addc_u32 s15, s15, -1
	s_cmp_lg_u64 s[14:15], 0
	s_waitcnt lgkmcnt(0)
	v_cmp_gt_i64_e32 vcc, v[4:5], v[8:9]
	v_cndmask_b32_e64 v8, 0, 1, vcc
	v_add_co_u32_e32 v6, vcc, v6, v8
	v_addc_co_u32_e32 v7, vcc, 0, v7, vcc
	s_cbranch_scc1 .LBB126_120
	s_branch .LBB126_113
.LBB126_121:
	s_endpgm
	.section	.rodata,"a",@progbits
	.p2align	6, 0x0
	.amdhsa_kernel _ZN9rocsparseL26csrgemm_fill_block_per_rowILj1024ELj64ELj16384ELj137ELj32ElldEEvT5_PKS1_S3_NS_24const_host_device_scalarIT6_EEPKT4_S3_PKS5_S9_S3_SB_S6_S9_S3_SB_S9_PS1_PS5_21rocsparse_index_base_SE_SE_SE_bbb
		.amdhsa_group_segment_fixed_size 0
		.amdhsa_private_segment_fixed_size 0
		.amdhsa_kernarg_size 156
		.amdhsa_user_sgpr_count 6
		.amdhsa_user_sgpr_private_segment_buffer 1
		.amdhsa_user_sgpr_dispatch_ptr 0
		.amdhsa_user_sgpr_queue_ptr 0
		.amdhsa_user_sgpr_kernarg_segment_ptr 1
		.amdhsa_user_sgpr_dispatch_id 0
		.amdhsa_user_sgpr_flat_scratch_init 0
		.amdhsa_user_sgpr_kernarg_preload_length 0
		.amdhsa_user_sgpr_kernarg_preload_offset 0
		.amdhsa_user_sgpr_private_segment_size 0
		.amdhsa_uses_dynamic_stack 0
		.amdhsa_system_sgpr_private_segment_wavefront_offset 0
		.amdhsa_system_sgpr_workgroup_id_x 1
		.amdhsa_system_sgpr_workgroup_id_y 0
		.amdhsa_system_sgpr_workgroup_id_z 0
		.amdhsa_system_sgpr_workgroup_info 0
		.amdhsa_system_vgpr_workitem_id 0
		.amdhsa_next_free_vgpr 30
		.amdhsa_next_free_sgpr 96
		.amdhsa_accum_offset 32
		.amdhsa_reserve_vcc 1
		.amdhsa_reserve_flat_scratch 0
		.amdhsa_float_round_mode_32 0
		.amdhsa_float_round_mode_16_64 0
		.amdhsa_float_denorm_mode_32 3
		.amdhsa_float_denorm_mode_16_64 3
		.amdhsa_dx10_clamp 1
		.amdhsa_ieee_mode 1
		.amdhsa_fp16_overflow 0
		.amdhsa_tg_split 0
		.amdhsa_exception_fp_ieee_invalid_op 0
		.amdhsa_exception_fp_denorm_src 0
		.amdhsa_exception_fp_ieee_div_zero 0
		.amdhsa_exception_fp_ieee_overflow 0
		.amdhsa_exception_fp_ieee_underflow 0
		.amdhsa_exception_fp_ieee_inexact 0
		.amdhsa_exception_int_div_zero 0
	.end_amdhsa_kernel
	.section	.text._ZN9rocsparseL26csrgemm_fill_block_per_rowILj1024ELj64ELj16384ELj137ELj32ElldEEvT5_PKS1_S3_NS_24const_host_device_scalarIT6_EEPKT4_S3_PKS5_S9_S3_SB_S6_S9_S3_SB_S9_PS1_PS5_21rocsparse_index_base_SE_SE_SE_bbb,"axG",@progbits,_ZN9rocsparseL26csrgemm_fill_block_per_rowILj1024ELj64ELj16384ELj137ELj32ElldEEvT5_PKS1_S3_NS_24const_host_device_scalarIT6_EEPKT4_S3_PKS5_S9_S3_SB_S6_S9_S3_SB_S9_PS1_PS5_21rocsparse_index_base_SE_SE_SE_bbb,comdat
.Lfunc_end126:
	.size	_ZN9rocsparseL26csrgemm_fill_block_per_rowILj1024ELj64ELj16384ELj137ELj32ElldEEvT5_PKS1_S3_NS_24const_host_device_scalarIT6_EEPKT4_S3_PKS5_S9_S3_SB_S6_S9_S3_SB_S9_PS1_PS5_21rocsparse_index_base_SE_SE_SE_bbb, .Lfunc_end126-_ZN9rocsparseL26csrgemm_fill_block_per_rowILj1024ELj64ELj16384ELj137ELj32ElldEEvT5_PKS1_S3_NS_24const_host_device_scalarIT6_EEPKT4_S3_PKS5_S9_S3_SB_S6_S9_S3_SB_S9_PS1_PS5_21rocsparse_index_base_SE_SE_SE_bbb
                                        ; -- End function
	.section	.AMDGPU.csdata,"",@progbits
; Kernel info:
; codeLenInByte = 4872
; NumSgprs: 100
; NumVgprs: 30
; NumAgprs: 0
; TotalNumVgprs: 30
; ScratchSize: 0
; MemoryBound: 0
; FloatMode: 240
; IeeeMode: 1
; LDSByteSize: 0 bytes/workgroup (compile time only)
; SGPRBlocks: 12
; VGPRBlocks: 3
; NumSGPRsForWavesPerEU: 100
; NumVGPRsForWavesPerEU: 30
; AccumOffset: 32
; Occupancy: 8
; WaveLimiterHint : 1
; COMPUTE_PGM_RSRC2:SCRATCH_EN: 0
; COMPUTE_PGM_RSRC2:USER_SGPR: 6
; COMPUTE_PGM_RSRC2:TRAP_HANDLER: 0
; COMPUTE_PGM_RSRC2:TGID_X_EN: 1
; COMPUTE_PGM_RSRC2:TGID_Y_EN: 0
; COMPUTE_PGM_RSRC2:TGID_Z_EN: 0
; COMPUTE_PGM_RSRC2:TIDIG_COMP_CNT: 0
; COMPUTE_PGM_RSRC3_GFX90A:ACCUM_OFFSET: 7
; COMPUTE_PGM_RSRC3_GFX90A:TG_SPLIT: 0
	.section	.text._ZN9rocsparseL26csrgemm_fill_block_per_rowILj1024ELj64ELj16384ELj137ELj64ElldEEvT5_PKS1_S3_NS_24const_host_device_scalarIT6_EEPKT4_S3_PKS5_S9_S3_SB_S6_S9_S3_SB_S9_PS1_PS5_21rocsparse_index_base_SE_SE_SE_bbb,"axG",@progbits,_ZN9rocsparseL26csrgemm_fill_block_per_rowILj1024ELj64ELj16384ELj137ELj64ElldEEvT5_PKS1_S3_NS_24const_host_device_scalarIT6_EEPKT4_S3_PKS5_S9_S3_SB_S6_S9_S3_SB_S9_PS1_PS5_21rocsparse_index_base_SE_SE_SE_bbb,comdat
	.globl	_ZN9rocsparseL26csrgemm_fill_block_per_rowILj1024ELj64ELj16384ELj137ELj64ElldEEvT5_PKS1_S3_NS_24const_host_device_scalarIT6_EEPKT4_S3_PKS5_S9_S3_SB_S6_S9_S3_SB_S9_PS1_PS5_21rocsparse_index_base_SE_SE_SE_bbb ; -- Begin function _ZN9rocsparseL26csrgemm_fill_block_per_rowILj1024ELj64ELj16384ELj137ELj64ElldEEvT5_PKS1_S3_NS_24const_host_device_scalarIT6_EEPKT4_S3_PKS5_S9_S3_SB_S6_S9_S3_SB_S9_PS1_PS5_21rocsparse_index_base_SE_SE_SE_bbb
	.p2align	8
	.type	_ZN9rocsparseL26csrgemm_fill_block_per_rowILj1024ELj64ELj16384ELj137ELj64ElldEEvT5_PKS1_S3_NS_24const_host_device_scalarIT6_EEPKT4_S3_PKS5_S9_S3_SB_S6_S9_S3_SB_S9_PS1_PS5_21rocsparse_index_base_SE_SE_SE_bbb,@function
_ZN9rocsparseL26csrgemm_fill_block_per_rowILj1024ELj64ELj16384ELj137ELj64ElldEEvT5_PKS1_S3_NS_24const_host_device_scalarIT6_EEPKT4_S3_PKS5_S9_S3_SB_S6_S9_S3_SB_S9_PS1_PS5_21rocsparse_index_base_SE_SE_SE_bbb: ; @_ZN9rocsparseL26csrgemm_fill_block_per_rowILj1024ELj64ELj16384ELj137ELj64ElldEEvT5_PKS1_S3_NS_24const_host_device_scalarIT6_EEPKT4_S3_PKS5_S9_S3_SB_S6_S9_S3_SB_S9_PS1_PS5_21rocsparse_index_base_SE_SE_SE_bbb
; %bb.0:
	s_load_dword s7, s[4:5], 0x98
	s_load_dwordx4 s[44:47], s[4:5], 0x88
	s_load_dwordx2 s[0:1], s[4:5], 0x18
	s_load_dwordx2 s[24:25], s[4:5], 0x50
	s_waitcnt lgkmcnt(0)
	s_and_b32 s2, 1, s7
	s_bitcmp1_b32 s7, 16
	s_cselect_b64 s[26:27], -1, 0
	s_cmp_eq_u32 s2, 1
	s_cselect_b64 s[22:23], -1, 0
	s_and_b64 s[2:3], s[22:23], exec
	s_cselect_b32 s3, s1, 0
	s_cselect_b32 s2, s0, 0
	s_xor_b64 s[8:9], s[22:23], -1
	s_or_b64 s[8:9], s[8:9], s[26:27]
	s_and_b64 vcc, exec, s[8:9]
	v_pk_mov_b32 v[4:5], s[2:3], s[2:3] op_sel:[0,1]
	s_cbranch_vccnz .LBB127_2
; %bb.1:
	v_pk_mov_b32 v[2:3], s[0:1], s[0:1] op_sel:[0,1]
	flat_load_dwordx2 v[4:5], v[2:3]
.LBB127_2:
	s_load_dwordx4 s[48:51], s[4:5], 0x78
	s_load_dwordx8 s[36:43], s[4:5], 0x58
	s_load_dwordx4 s[0:3], s[4:5], 0x40
	s_load_dwordx4 s[16:19], s[4:5], 0x8
	s_load_dwordx8 s[8:15], s[4:5], 0x20
	s_bitcmp1_b32 s7, 8
	s_cselect_b64 s[20:21], -1, 0
	s_and_b64 s[28:29], s[20:21], exec
	s_cselect_b32 s29, s25, 0
	s_cselect_b32 s28, s24, 0
	s_xor_b64 s[30:31], s[20:21], -1
	s_or_b64 s[26:27], s[30:31], s[26:27]
	s_and_b64 vcc, exec, s[26:27]
	v_pk_mov_b32 v[2:3], s[28:29], s[28:29] op_sel:[0,1]
	s_cbranch_vccnz .LBB127_4
; %bb.3:
	v_pk_mov_b32 v[2:3], s[24:25], s[24:25] op_sel:[0,1]
	flat_load_dwordx2 v[2:3], v[2:3]
.LBB127_4:
	s_load_dwordx2 s[34:35], s[4:5], 0x0
	v_or_b32_e32 v1, 0xfffffc00, v0
	v_mov_b32_e32 v6, 0
	v_lshl_add_u32 v19, v0, 3, 0
	s_mov_b64 s[4:5], 0
	s_waitcnt lgkmcnt(0)
	v_pk_mov_b32 v[8:9], s[34:35], s[34:35] op_sel:[0,1]
	v_mov_b32_e32 v7, v6
	s_movk_i32 s7, 0x3bff
	v_mov_b32_e32 v10, v19
	v_mov_b32_e32 v11, v1
.LBB127_5:                              ; =>This Inner Loop Header: Depth=1
	v_add_u32_e32 v11, 0x400, v11
	v_cmp_lt_u32_e32 vcc, s7, v11
	ds_write_b64 v10, v[8:9]
	v_add_u32_e32 v12, 0x20000, v10
	v_add_u32_e32 v10, 0x2000, v10
	s_or_b64 s[4:5], vcc, s[4:5]
	ds_write_b64 v12, v[6:7]
	s_andn2_b64 exec, exec, s[4:5]
	s_cbranch_execnz .LBB127_5
; %bb.6:
	s_or_b64 exec, exec, s[4:5]
	s_waitcnt lgkmcnt(0)
	s_barrier
	s_load_dwordx2 s[4:5], s[16:17], 0x0
	s_mov_b32 s7, 0
	v_lshrrev_b32_e32 v22, 6, v0
	s_waitcnt lgkmcnt(0)
	s_lshl_b64 s[4:5], s[4:5], 3
	s_add_u32 s16, s18, s4
	s_addc_u32 s17, s19, s5
	s_lshl_b64 s[4:5], s[6:7], 3
	s_add_u32 s4, s16, s4
	s_addc_u32 s5, s17, s5
	s_load_dwordx2 s[52:53], s[4:5], 0x0
	s_and_b64 vcc, exec, s[22:23]
	s_cbranch_vccz .LBB127_26
; %bb.7:
	s_waitcnt lgkmcnt(0)
	s_lshl_b64 s[4:5], s[52:53], 3
	s_add_u32 s4, s8, s4
	s_addc_u32 s5, s9, s5
	s_load_dwordx4 s[16:19], s[4:5], 0x0
	v_subrev_co_u32_e32 v6, vcc, s44, v22
	v_subb_co_u32_e64 v7, s[8:9], 0, 0, vcc
	s_waitcnt lgkmcnt(0)
	s_sub_u32 s4, s18, s44
	v_mov_b32_e32 v8, s17
	v_add_co_u32_e32 v6, vcc, s16, v6
	s_subb_u32 s5, s19, 0
	v_addc_co_u32_e32 v7, vcc, v8, v7, vcc
	v_cmp_gt_i64_e32 vcc, s[4:5], v[6:7]
	s_and_saveexec_b64 s[8:9], vcc
	s_cbranch_execz .LBB127_25
; %bb.8:
	v_and_b32_e32 v8, 63, v0
	v_subrev_co_u32_e32 v23, vcc, s45, v8
	s_mov_b32 s6, 0
	v_subb_co_u32_e64 v24, s[16:17], 0, 0, vcc
	s_mov_b32 s33, s44
	s_mov_b32 s54, s45
	s_mov_b64 s[16:17], 0
	v_mov_b32_e32 v25, s11
	v_mov_b32_e32 v26, s7
	;; [unrolled: 1-line block ×4, first 2 shown]
	s_movk_i32 s11, 0x89
	s_branch .LBB127_10
.LBB127_9:                              ;   in Loop: Header=BB127_10 Depth=1
	s_or_b64 exec, exec, s[6:7]
	v_add_co_u32_e32 v6, vcc, 16, v6
	v_addc_co_u32_e32 v7, vcc, 0, v7, vcc
	v_cmp_le_i64_e32 vcc, s[4:5], v[6:7]
	s_or_b64 s[16:17], vcc, s[16:17]
	s_andn2_b64 exec, exec, s[16:17]
	s_cbranch_execz .LBB127_25
.LBB127_10:                             ; =>This Loop Header: Depth=1
                                        ;     Child Loop BB127_13 Depth 2
                                        ;       Child Loop BB127_15 Depth 3
	v_lshlrev_b64 v[12:13], 3, v[6:7]
	v_add_co_u32_e32 v8, vcc, s10, v12
	v_addc_co_u32_e32 v9, vcc, v25, v13, vcc
	global_load_dwordx2 v[8:9], v[8:9], off
	s_waitcnt vmcnt(0)
	v_subrev_co_u32_e32 v8, vcc, s33, v8
	v_subb_co_u32_e32 v9, vcc, v9, v26, vcc
	v_lshlrev_b64 v[8:9], 3, v[8:9]
	v_add_co_u32_e32 v8, vcc, s14, v8
	v_addc_co_u32_e32 v9, vcc, v27, v9, vcc
	global_load_dwordx4 v[14:17], v[8:9], off
	s_waitcnt vmcnt(0)
	v_subrev_co_u32_e32 v8, vcc, s54, v16
	v_subb_co_u32_e32 v9, vcc, v17, v28, vcc
	v_add_co_u32_e32 v10, vcc, v14, v23
	v_addc_co_u32_e32 v11, vcc, v15, v24, vcc
	v_cmp_lt_i64_e32 vcc, v[10:11], v[8:9]
	s_and_saveexec_b64 s[6:7], vcc
	s_cbranch_execz .LBB127_9
; %bb.11:                               ;   in Loop: Header=BB127_10 Depth=1
	v_mov_b32_e32 v14, s13
	v_add_co_u32_e32 v12, vcc, s12, v12
	v_addc_co_u32_e32 v13, vcc, v14, v13, vcc
	global_load_dwordx2 v[12:13], v[12:13], off
	s_mov_b64 s[18:19], 0
	s_waitcnt vmcnt(0)
	v_mul_f64 v[12:13], v[4:5], v[12:13]
	s_branch .LBB127_13
.LBB127_12:                             ;   in Loop: Header=BB127_13 Depth=2
	s_or_b64 exec, exec, s[22:23]
	v_add_co_u32_e32 v10, vcc, 64, v10
	v_addc_co_u32_e32 v11, vcc, 0, v11, vcc
	v_cmp_ge_i64_e32 vcc, v[10:11], v[8:9]
	s_or_b64 s[18:19], vcc, s[18:19]
	s_andn2_b64 exec, exec, s[18:19]
	s_cbranch_execz .LBB127_9
.LBB127_13:                             ;   Parent Loop BB127_10 Depth=1
                                        ; =>  This Loop Header: Depth=2
                                        ;       Child Loop BB127_15 Depth 3
	v_lshlrev_b64 v[14:15], 3, v[10:11]
	v_mov_b32_e32 v17, s1
	v_add_co_u32_e32 v16, vcc, s0, v14
	v_addc_co_u32_e32 v17, vcc, v17, v15, vcc
	global_load_dwordx2 v[16:17], v[16:17], off
	v_mov_b32_e32 v18, s3
	v_add_co_u32_e32 v14, vcc, s2, v14
	v_addc_co_u32_e32 v15, vcc, v18, v15, vcc
	global_load_dwordx2 v[20:21], v[14:15], off
	s_mov_b64 s[22:23], 0
	s_waitcnt vmcnt(1)
	v_subrev_co_u32_e32 v14, vcc, s54, v16
	v_mul_lo_u32 v18, v14, s11
	v_subb_co_u32_e32 v15, vcc, v17, v28, vcc
	v_and_b32_e32 v18, 0x3fff, v18
	s_waitcnt vmcnt(0)
	v_mul_f64 v[16:17], v[12:13], v[20:21]
	s_branch .LBB127_15
.LBB127_14:                             ;   in Loop: Header=BB127_15 Depth=3
	s_or_b64 exec, exec, s[24:25]
	s_xor_b64 s[24:25], s[26:27], -1
	s_and_b64 s[24:25], exec, s[24:25]
	s_or_b64 s[22:23], s[24:25], s[22:23]
	s_andn2_b64 exec, exec, s[22:23]
	s_cbranch_execz .LBB127_12
.LBB127_15:                             ;   Parent Loop BB127_10 Depth=1
                                        ;     Parent Loop BB127_13 Depth=2
                                        ; =>    This Inner Loop Header: Depth=3
	v_lshl_add_u32 v29, v18, 3, 0
	ds_read_b64 v[20:21], v29
                                        ; implicit-def: $sgpr26_sgpr27
	s_waitcnt lgkmcnt(0)
	v_cmp_ne_u64_e32 vcc, v[20:21], v[14:15]
	s_and_saveexec_b64 s[24:25], vcc
	s_xor_b64 s[24:25], exec, s[24:25]
	s_cbranch_execz .LBB127_23
; %bb.16:                               ;   in Loop: Header=BB127_15 Depth=3
	v_cmp_ne_u64_e32 vcc, s[34:35], v[20:21]
                                        ; implicit-def: $sgpr26_sgpr27
	s_and_saveexec_b64 s[28:29], vcc
	s_xor_b64 s[28:29], exec, s[28:29]
; %bb.17:                               ;   in Loop: Header=BB127_15 Depth=3
	v_add_u32_e32 v18, 1, v18
	v_and_b32_e32 v18, 0x3fff, v18
	s_mov_b64 s[26:27], -1
                                        ; implicit-def: $vgpr29
; %bb.18:                               ;   in Loop: Header=BB127_15 Depth=3
	s_andn2_saveexec_b64 s[28:29], s[28:29]
	s_cbranch_execz .LBB127_22
; %bb.19:                               ;   in Loop: Header=BB127_15 Depth=3
	v_pk_mov_b32 v[20:21], s[34:35], s[34:35] op_sel:[0,1]
	ds_cmpst_rtn_b64 v[20:21], v29, v[20:21], v[14:15]
	s_mov_b64 s[30:31], -1
	s_waitcnt lgkmcnt(0)
	v_cmp_eq_u64_e32 vcc, s[34:35], v[20:21]
	s_and_saveexec_b64 s[44:45], vcc
	s_cbranch_execz .LBB127_21
; %bb.20:                               ;   in Loop: Header=BB127_15 Depth=3
	v_add_u32_e32 v20, 0x20000, v29
	ds_add_f64 v20, v[16:17]
	s_xor_b64 s[30:31], exec, -1
.LBB127_21:                             ;   in Loop: Header=BB127_15 Depth=3
	s_or_b64 exec, exec, s[44:45]
	s_andn2_b64 s[26:27], s[26:27], exec
	s_and_b64 s[30:31], s[30:31], exec
	s_or_b64 s[26:27], s[26:27], s[30:31]
.LBB127_22:                             ;   in Loop: Header=BB127_15 Depth=3
	s_or_b64 exec, exec, s[28:29]
	s_and_b64 s[26:27], s[26:27], exec
                                        ; implicit-def: $vgpr29
.LBB127_23:                             ;   in Loop: Header=BB127_15 Depth=3
	s_andn2_saveexec_b64 s[24:25], s[24:25]
	s_cbranch_execz .LBB127_14
; %bb.24:                               ;   in Loop: Header=BB127_15 Depth=3
	v_add_u32_e32 v20, 0x20000, v29
	ds_add_f64 v20, v[16:17]
	s_andn2_b64 s[26:27], s[26:27], exec
	s_branch .LBB127_14
.LBB127_25:
	s_or_b64 exec, exec, s[8:9]
.LBB127_26:
	s_andn2_b64 vcc, exec, s[20:21]
	s_cbranch_vccnz .LBB127_43
; %bb.27:
	s_waitcnt lgkmcnt(0)
	s_lshl_b64 s[0:1], s[52:53], 3
	s_add_u32 s0, s36, s0
	s_addc_u32 s1, s37, s1
	s_load_dwordx4 s[8:11], s[0:1], 0x0
	s_waitcnt vmcnt(0)
	v_subrev_co_u32_e32 v4, vcc, s47, v0
	v_subb_co_u32_e64 v5, s[2:3], 0, 0, vcc
	s_waitcnt lgkmcnt(0)
	s_sub_u32 s0, s10, s47
	v_mov_b32_e32 v6, s9
	v_add_co_u32_e32 v4, vcc, s8, v4
	s_subb_u32 s1, s11, 0
	v_addc_co_u32_e32 v5, vcc, v6, v5, vcc
	s_mov_b32 s6, 0
	v_cmp_gt_i64_e32 vcc, s[0:1], v[4:5]
	s_and_saveexec_b64 s[2:3], vcc
	s_cbranch_execz .LBB127_42
; %bb.28:
	s_mov_b32 s18, s47
	s_mov_b64 s[4:5], 0
	v_mov_b32_e32 v11, s39
	v_mov_b32_e32 v14, s6
	;; [unrolled: 1-line block ×3, first 2 shown]
	s_movk_i32 s19, 0x89
	s_branch .LBB127_30
.LBB127_29:                             ;   in Loop: Header=BB127_30 Depth=1
	s_or_b64 exec, exec, s[6:7]
	v_add_co_u32_e32 v4, vcc, 0x400, v4
	v_addc_co_u32_e32 v5, vcc, 0, v5, vcc
	v_cmp_le_i64_e32 vcc, s[0:1], v[4:5]
	s_or_b64 s[4:5], vcc, s[4:5]
	s_andn2_b64 exec, exec, s[4:5]
	s_cbranch_execz .LBB127_42
.LBB127_30:                             ; =>This Loop Header: Depth=1
                                        ;     Child Loop BB127_32 Depth 2
	v_lshlrev_b64 v[6:7], 3, v[4:5]
	v_add_co_u32_e32 v8, vcc, s38, v6
	v_addc_co_u32_e32 v9, vcc, v11, v7, vcc
	global_load_dwordx2 v[8:9], v[8:9], off
	v_add_co_u32_e32 v6, vcc, s40, v6
	v_addc_co_u32_e32 v7, vcc, v15, v7, vcc
	global_load_dwordx2 v[12:13], v[6:7], off
	s_mov_b64 s[6:7], 0
	s_waitcnt vmcnt(1)
	v_subrev_co_u32_e32 v6, vcc, s18, v8
	v_mul_lo_u32 v10, v6, s19
	v_subb_co_u32_e32 v7, vcc, v9, v14, vcc
	s_waitcnt vmcnt(0)
	v_mul_f64 v[8:9], v[2:3], v[12:13]
	v_and_b32_e32 v10, 0x3fff, v10
	s_branch .LBB127_32
.LBB127_31:                             ;   in Loop: Header=BB127_32 Depth=2
	s_or_b64 exec, exec, s[8:9]
	s_xor_b64 s[8:9], s[10:11], -1
	s_and_b64 s[8:9], exec, s[8:9]
	s_or_b64 s[6:7], s[8:9], s[6:7]
	s_andn2_b64 exec, exec, s[6:7]
	s_cbranch_execz .LBB127_29
.LBB127_32:                             ;   Parent Loop BB127_30 Depth=1
                                        ; =>  This Inner Loop Header: Depth=2
	v_lshl_add_u32 v16, v10, 3, 0
	ds_read_b64 v[12:13], v16
                                        ; implicit-def: $sgpr10_sgpr11
	s_waitcnt lgkmcnt(0)
	v_cmp_ne_u64_e32 vcc, v[12:13], v[6:7]
	s_and_saveexec_b64 s[8:9], vcc
	s_xor_b64 s[8:9], exec, s[8:9]
	s_cbranch_execz .LBB127_40
; %bb.33:                               ;   in Loop: Header=BB127_32 Depth=2
	v_cmp_ne_u64_e32 vcc, s[34:35], v[12:13]
                                        ; implicit-def: $sgpr10_sgpr11
	s_and_saveexec_b64 s[12:13], vcc
	s_xor_b64 s[12:13], exec, s[12:13]
; %bb.34:                               ;   in Loop: Header=BB127_32 Depth=2
	v_add_u32_e32 v10, 1, v10
	v_and_b32_e32 v10, 0x3fff, v10
	s_mov_b64 s[10:11], -1
                                        ; implicit-def: $vgpr16
; %bb.35:                               ;   in Loop: Header=BB127_32 Depth=2
	s_andn2_saveexec_b64 s[12:13], s[12:13]
	s_cbranch_execz .LBB127_39
; %bb.36:                               ;   in Loop: Header=BB127_32 Depth=2
	v_pk_mov_b32 v[12:13], s[34:35], s[34:35] op_sel:[0,1]
	ds_cmpst_rtn_b64 v[12:13], v16, v[12:13], v[6:7]
	s_mov_b64 s[14:15], -1
	s_waitcnt lgkmcnt(0)
	v_cmp_eq_u64_e32 vcc, s[34:35], v[12:13]
	s_and_saveexec_b64 s[16:17], vcc
	s_cbranch_execz .LBB127_38
; %bb.37:                               ;   in Loop: Header=BB127_32 Depth=2
	v_add_u32_e32 v12, 0x20000, v16
	ds_add_f64 v12, v[8:9]
	s_xor_b64 s[14:15], exec, -1
.LBB127_38:                             ;   in Loop: Header=BB127_32 Depth=2
	s_or_b64 exec, exec, s[16:17]
	s_andn2_b64 s[10:11], s[10:11], exec
	s_and_b64 s[14:15], s[14:15], exec
	s_or_b64 s[10:11], s[10:11], s[14:15]
.LBB127_39:                             ;   in Loop: Header=BB127_32 Depth=2
	s_or_b64 exec, exec, s[12:13]
	s_and_b64 s[10:11], s[10:11], exec
                                        ; implicit-def: $vgpr16
.LBB127_40:                             ;   in Loop: Header=BB127_32 Depth=2
	s_andn2_saveexec_b64 s[8:9], s[8:9]
	s_cbranch_execz .LBB127_31
; %bb.41:                               ;   in Loop: Header=BB127_32 Depth=2
	v_add_u32_e32 v12, 0x20000, v16
	ds_add_f64 v12, v[8:9]
	s_andn2_b64 s[10:11], s[10:11], exec
	s_branch .LBB127_31
.LBB127_42:
	s_or_b64 exec, exec, s[2:3]
.LBB127_43:
	s_waitcnt vmcnt(0)
	v_mbcnt_lo_u32_b32 v2, -1, 0
	v_mbcnt_hi_u32_b32 v2, -1, v2
	v_sub_u32_e32 v2, 63, v2
	s_add_i32 s33, 0, 0x40000
	s_movk_i32 s0, 0x3ff
	s_movk_i32 s2, 0x7f
	;; [unrolled: 1-line block ×15, first 2 shown]
	s_add_i32 s63, 0, 0x40078
	v_mov_b32_e32 v3, 0
	v_lshrrev_b64 v[4:5], v2, -1
	v_lshl_add_u32 v14, v22, 3, s33
	v_cmp_eq_u32_e32 vcc, s0, v0
	v_cmp_lt_u32_e64 s[0:1], 63, v0
	v_cmp_lt_u32_e64 s[2:3], s2, v0
	;; [unrolled: 1-line block ×15, first 2 shown]
	s_mov_b64 s[36:37], 0
	v_pk_mov_b32 v[6:7], 0, 0
	s_add_i32 s40, 0, 0x40008
	s_add_i32 s41, 0, 0x40010
	s_add_i32 s44, 0, 0x40018
	s_add_i32 s45, 0, 0x40020
	s_add_i32 s47, 0, 0x40028
	s_add_i32 s54, 0, 0x40030
	s_add_i32 s55, 0, 0x40038
	s_add_i32 s56, 0, 0x40040
	s_add_i32 s57, 0, 0x40048
	s_add_i32 s58, 0, 0x40050
	s_add_i32 s59, 0, 0x40058
	s_add_i32 s60, 0, 0x40060
	s_add_i32 s61, 0, 0x40068
	s_add_i32 s62, 0, 0x40070
	v_mov_b32_e32 v15, s63
	s_movk_i32 s64, 0x3bff
	s_waitcnt lgkmcnt(0)
	s_barrier
	s_branch .LBB127_45
.LBB127_44:                             ;   in Loop: Header=BB127_45 Depth=1
	s_or_b64 exec, exec, s[30:31]
	s_waitcnt lgkmcnt(0)
	s_barrier
	ds_read_b64 v[8:9], v15
	v_add_u32_e32 v1, 0x400, v1
	v_add_u32_e32 v19, 0x2000, v19
	s_waitcnt lgkmcnt(0)
	v_add_co_u32_e64 v6, s[30:31], v8, v6
	v_addc_co_u32_e64 v7, s[30:31], v9, v7, s[30:31]
	v_cmp_lt_u32_e64 s[30:31], s64, v1
	s_or_b64 s[36:37], s[30:31], s[36:37]
	s_andn2_b64 exec, exec, s[36:37]
	s_cbranch_execz .LBB127_79
.LBB127_45:                             ; =>This Inner Loop Header: Depth=1
	ds_read_b64 v[8:9], v19
	v_add_u32_e32 v2, 0x20000, v19
	ds_read_b64 v[10:11], v2
	s_waitcnt lgkmcnt(0)
	s_barrier
	v_cmp_gt_i64_e64 s[30:31], s[34:35], v[8:9]
	v_and_b32_e32 v13, s30, v4
	s_bcnt1_i32_b64 s38, s[30:31]
	v_and_b32_e32 v12, s31, v5
	v_bcnt_u32_b32 v13, v13, 0
	v_mov_b32_e32 v2, s38
	v_bcnt_u32_b32 v12, v12, v13
	ds_write_b64 v14, v[2:3]
	s_waitcnt lgkmcnt(0)
	s_barrier
	s_and_saveexec_b64 s[38:39], s[0:1]
	s_cbranch_execnz .LBB127_62
; %bb.46:                               ;   in Loop: Header=BB127_45 Depth=1
	s_or_b64 exec, exec, s[38:39]
	s_and_saveexec_b64 s[38:39], s[2:3]
	s_cbranch_execnz .LBB127_63
.LBB127_47:                             ;   in Loop: Header=BB127_45 Depth=1
	s_or_b64 exec, exec, s[38:39]
	s_and_saveexec_b64 s[38:39], s[4:5]
	s_cbranch_execnz .LBB127_64
.LBB127_48:                             ;   in Loop: Header=BB127_45 Depth=1
	s_or_b64 exec, exec, s[38:39]
	s_and_saveexec_b64 s[38:39], s[6:7]
	s_cbranch_execnz .LBB127_65
.LBB127_49:                             ;   in Loop: Header=BB127_45 Depth=1
	s_or_b64 exec, exec, s[38:39]
	s_and_saveexec_b64 s[38:39], s[8:9]
	s_cbranch_execnz .LBB127_66
.LBB127_50:                             ;   in Loop: Header=BB127_45 Depth=1
	s_or_b64 exec, exec, s[38:39]
	s_and_saveexec_b64 s[38:39], s[10:11]
	s_cbranch_execnz .LBB127_67
.LBB127_51:                             ;   in Loop: Header=BB127_45 Depth=1
	s_or_b64 exec, exec, s[38:39]
	s_and_saveexec_b64 s[38:39], s[12:13]
	s_cbranch_execnz .LBB127_68
.LBB127_52:                             ;   in Loop: Header=BB127_45 Depth=1
	s_or_b64 exec, exec, s[38:39]
	s_and_saveexec_b64 s[38:39], s[14:15]
	s_cbranch_execnz .LBB127_69
.LBB127_53:                             ;   in Loop: Header=BB127_45 Depth=1
	s_or_b64 exec, exec, s[38:39]
	s_and_saveexec_b64 s[38:39], s[16:17]
	s_cbranch_execnz .LBB127_70
.LBB127_54:                             ;   in Loop: Header=BB127_45 Depth=1
	s_or_b64 exec, exec, s[38:39]
	s_and_saveexec_b64 s[38:39], s[18:19]
	s_cbranch_execnz .LBB127_71
.LBB127_55:                             ;   in Loop: Header=BB127_45 Depth=1
	s_or_b64 exec, exec, s[38:39]
	s_and_saveexec_b64 s[38:39], s[20:21]
	s_cbranch_execnz .LBB127_72
.LBB127_56:                             ;   in Loop: Header=BB127_45 Depth=1
	s_or_b64 exec, exec, s[38:39]
	s_and_saveexec_b64 s[38:39], s[22:23]
	s_cbranch_execnz .LBB127_73
.LBB127_57:                             ;   in Loop: Header=BB127_45 Depth=1
	s_or_b64 exec, exec, s[38:39]
	s_and_saveexec_b64 s[38:39], s[24:25]
	s_cbranch_execnz .LBB127_74
.LBB127_58:                             ;   in Loop: Header=BB127_45 Depth=1
	s_or_b64 exec, exec, s[38:39]
	s_and_saveexec_b64 s[38:39], s[26:27]
	s_cbranch_execnz .LBB127_75
.LBB127_59:                             ;   in Loop: Header=BB127_45 Depth=1
	s_or_b64 exec, exec, s[38:39]
	s_and_saveexec_b64 s[38:39], s[28:29]
	s_cbranch_execnz .LBB127_76
.LBB127_60:                             ;   in Loop: Header=BB127_45 Depth=1
	s_or_b64 exec, exec, s[38:39]
	v_ashrrev_i32_e32 v13, 31, v12
	s_and_saveexec_b64 s[38:39], s[30:31]
	s_cbranch_execnz .LBB127_77
.LBB127_61:                             ;   in Loop: Header=BB127_45 Depth=1
	s_or_b64 exec, exec, s[38:39]
	s_and_saveexec_b64 s[30:31], vcc
	s_cbranch_execz .LBB127_44
	s_branch .LBB127_78
.LBB127_62:                             ;   in Loop: Header=BB127_45 Depth=1
	v_mov_b32_e32 v2, s33
	ds_read_b32 v2, v2
	s_waitcnt lgkmcnt(0)
	v_add_u32_e32 v12, v2, v12
	s_or_b64 exec, exec, s[38:39]
	s_and_saveexec_b64 s[38:39], s[2:3]
	s_cbranch_execz .LBB127_47
.LBB127_63:                             ;   in Loop: Header=BB127_45 Depth=1
	v_mov_b32_e32 v2, s40
	ds_read_b32 v2, v2
	s_waitcnt lgkmcnt(0)
	v_add_u32_e32 v12, v12, v2
	s_or_b64 exec, exec, s[38:39]
	s_and_saveexec_b64 s[38:39], s[4:5]
	s_cbranch_execz .LBB127_48
.LBB127_64:                             ;   in Loop: Header=BB127_45 Depth=1
	v_mov_b32_e32 v2, s41
	ds_read_b32 v2, v2
	s_waitcnt lgkmcnt(0)
	v_add_u32_e32 v12, v12, v2
	s_or_b64 exec, exec, s[38:39]
	s_and_saveexec_b64 s[38:39], s[6:7]
	s_cbranch_execz .LBB127_49
.LBB127_65:                             ;   in Loop: Header=BB127_45 Depth=1
	v_mov_b32_e32 v2, s44
	ds_read_b32 v2, v2
	s_waitcnt lgkmcnt(0)
	v_add_u32_e32 v12, v12, v2
	s_or_b64 exec, exec, s[38:39]
	s_and_saveexec_b64 s[38:39], s[8:9]
	s_cbranch_execz .LBB127_50
.LBB127_66:                             ;   in Loop: Header=BB127_45 Depth=1
	v_mov_b32_e32 v2, s45
	ds_read_b32 v2, v2
	s_waitcnt lgkmcnt(0)
	v_add_u32_e32 v12, v12, v2
	s_or_b64 exec, exec, s[38:39]
	s_and_saveexec_b64 s[38:39], s[10:11]
	s_cbranch_execz .LBB127_51
.LBB127_67:                             ;   in Loop: Header=BB127_45 Depth=1
	v_mov_b32_e32 v2, s47
	ds_read_b32 v2, v2
	s_waitcnt lgkmcnt(0)
	v_add_u32_e32 v12, v12, v2
	s_or_b64 exec, exec, s[38:39]
	s_and_saveexec_b64 s[38:39], s[12:13]
	s_cbranch_execz .LBB127_52
.LBB127_68:                             ;   in Loop: Header=BB127_45 Depth=1
	v_mov_b32_e32 v2, s54
	ds_read_b32 v2, v2
	s_waitcnt lgkmcnt(0)
	v_add_u32_e32 v12, v12, v2
	s_or_b64 exec, exec, s[38:39]
	s_and_saveexec_b64 s[38:39], s[14:15]
	s_cbranch_execz .LBB127_53
.LBB127_69:                             ;   in Loop: Header=BB127_45 Depth=1
	v_mov_b32_e32 v2, s55
	ds_read_b32 v2, v2
	s_waitcnt lgkmcnt(0)
	v_add_u32_e32 v12, v12, v2
	s_or_b64 exec, exec, s[38:39]
	s_and_saveexec_b64 s[38:39], s[16:17]
	s_cbranch_execz .LBB127_54
.LBB127_70:                             ;   in Loop: Header=BB127_45 Depth=1
	v_mov_b32_e32 v2, s56
	ds_read_b32 v2, v2
	s_waitcnt lgkmcnt(0)
	v_add_u32_e32 v12, v12, v2
	s_or_b64 exec, exec, s[38:39]
	s_and_saveexec_b64 s[38:39], s[18:19]
	s_cbranch_execz .LBB127_55
.LBB127_71:                             ;   in Loop: Header=BB127_45 Depth=1
	v_mov_b32_e32 v2, s57
	ds_read_b32 v2, v2
	s_waitcnt lgkmcnt(0)
	v_add_u32_e32 v12, v12, v2
	s_or_b64 exec, exec, s[38:39]
	s_and_saveexec_b64 s[38:39], s[20:21]
	s_cbranch_execz .LBB127_56
.LBB127_72:                             ;   in Loop: Header=BB127_45 Depth=1
	v_mov_b32_e32 v2, s58
	ds_read_b32 v2, v2
	s_waitcnt lgkmcnt(0)
	v_add_u32_e32 v12, v12, v2
	s_or_b64 exec, exec, s[38:39]
	s_and_saveexec_b64 s[38:39], s[22:23]
	s_cbranch_execz .LBB127_57
.LBB127_73:                             ;   in Loop: Header=BB127_45 Depth=1
	v_mov_b32_e32 v2, s59
	ds_read_b32 v2, v2
	s_waitcnt lgkmcnt(0)
	v_add_u32_e32 v12, v12, v2
	s_or_b64 exec, exec, s[38:39]
	s_and_saveexec_b64 s[38:39], s[24:25]
	s_cbranch_execz .LBB127_58
.LBB127_74:                             ;   in Loop: Header=BB127_45 Depth=1
	v_mov_b32_e32 v2, s60
	ds_read_b32 v2, v2
	s_waitcnt lgkmcnt(0)
	v_add_u32_e32 v12, v12, v2
	s_or_b64 exec, exec, s[38:39]
	s_and_saveexec_b64 s[38:39], s[26:27]
	s_cbranch_execz .LBB127_59
.LBB127_75:                             ;   in Loop: Header=BB127_45 Depth=1
	v_mov_b32_e32 v2, s61
	ds_read_b32 v2, v2
	s_waitcnt lgkmcnt(0)
	v_add_u32_e32 v12, v12, v2
	s_or_b64 exec, exec, s[38:39]
	s_and_saveexec_b64 s[38:39], s[28:29]
	s_cbranch_execz .LBB127_60
.LBB127_76:                             ;   in Loop: Header=BB127_45 Depth=1
	v_mov_b32_e32 v2, s62
	ds_read_b32 v2, v2
	s_waitcnt lgkmcnt(0)
	v_add_u32_e32 v12, v12, v2
	s_or_b64 exec, exec, s[38:39]
	v_ashrrev_i32_e32 v13, 31, v12
	s_and_saveexec_b64 s[38:39], s[30:31]
	s_cbranch_execz .LBB127_61
.LBB127_77:                             ;   in Loop: Header=BB127_45 Depth=1
	v_add3_u32 v2, v6, -1, v12
	v_lshl_add_u32 v2, v2, 3, 0
	v_add_u32_e32 v16, 0x20000, v2
	ds_write_b64 v2, v[8:9]
	ds_write_b64 v16, v[10:11]
	s_or_b64 exec, exec, s[38:39]
	s_and_saveexec_b64 s[30:31], vcc
	s_cbranch_execz .LBB127_44
.LBB127_78:                             ;   in Loop: Header=BB127_45 Depth=1
	v_mov_b32_e32 v2, s63
	ds_write_b64 v2, v[12:13]
	s_branch .LBB127_44
.LBB127_79:
	s_or_b64 exec, exec, s[36:37]
	s_lshl_b64 s[0:1], s[52:53], 3
	s_add_u32 s0, s42, s0
	s_addc_u32 s1, s43, s1
	s_load_dwordx4 s[0:3], s[0:1], 0x0
	v_mov_b32_e32 v1, 0
	s_waitcnt lgkmcnt(0)
	s_sub_u32 s4, s2, s0
	s_subb_u32 s5, s3, s1
	v_cmp_gt_i64_e32 vcc, s[4:5], v[0:1]
	s_and_saveexec_b64 s[6:7], vcc
	s_cbranch_execz .LBB127_89
; %bb.80:
	s_sub_u32 s6, s0, s46
	s_subb_u32 s7, s1, 0
	s_and_b32 s8, s4, 7
	s_sub_u32 s0, s0, s2
	s_mov_b32 s16, 0
	s_subb_u32 s1, s1, s3
	s_mov_b32 s9, s16
	s_and_b32 s2, s4, -8
	v_cmp_lt_u64_e64 s[0:1], s[0:1], -7
	s_cmp_lg_u64 s[8:9], 0
	v_cndmask_b32_e64 v2, 0, 1, s[0:1]
	s_mov_b32 s3, s5
	s_mov_b64 s[10:11], 0
	s_cselect_b64 s[12:13], -1, 0
	v_cmp_ne_u32_e64 s[0:1], 1, v2
	s_branch .LBB127_82
.LBB127_81:                             ;   in Loop: Header=BB127_82 Depth=1
	v_mov_b32_e32 v8, s16
	s_waitcnt lgkmcnt(1)
	v_add_co_u32_e32 v4, vcc, s46, v4
	v_addc_co_u32_e32 v5, vcc, v5, v8, vcc
	v_lshlrev_b64 v[6:7], 3, v[6:7]
	v_mov_b32_e32 v9, s49
	v_add_co_u32_e32 v8, vcc, s48, v6
	v_addc_co_u32_e32 v9, vcc, v9, v7, vcc
	global_store_dwordx2 v[8:9], v[4:5], off
	v_mov_b32_e32 v5, s51
	v_add_co_u32_e32 v4, vcc, s50, v6
	v_addc_co_u32_e32 v5, vcc, v5, v7, vcc
	v_add_co_u32_e32 v0, vcc, 0x400, v0
	v_addc_co_u32_e32 v1, vcc, 0, v1, vcc
	v_cmp_le_i64_e32 vcc, s[4:5], v[0:1]
	s_or_b64 s[10:11], vcc, s[10:11]
	s_waitcnt lgkmcnt(0)
	global_store_dwordx2 v[4:5], v[2:3], off
	s_andn2_b64 exec, exec, s[10:11]
	s_cbranch_execz .LBB127_89
.LBB127_82:                             ; =>This Loop Header: Depth=1
                                        ;     Child Loop BB127_84 Depth 2
                                        ;     Child Loop BB127_88 Depth 2
	v_lshl_add_u32 v2, v0, 3, 0
	v_add_u32_e32 v3, 0x20000, v2
	ds_read_b64 v[4:5], v2
	ds_read_b64 v[2:3], v3
	s_and_b64 vcc, exec, s[0:1]
	v_pk_mov_b32 v[6:7], s[6:7], s[6:7] op_sel:[0,1]
	s_mov_b64 s[14:15], 0
	s_cbranch_vccnz .LBB127_86
; %bb.83:                               ;   in Loop: Header=BB127_82 Depth=1
	s_mov_b32 s17, 0
	v_pk_mov_b32 v[6:7], s[6:7], s[6:7] op_sel:[0,1]
.LBB127_84:                             ;   Parent Loop BB127_82 Depth=1
                                        ; =>  This Inner Loop Header: Depth=2
	v_mov_b32_e32 v20, s17
	ds_read2_b64 v[8:11], v20 offset1:1
	ds_read2_b64 v[12:15], v20 offset0:2 offset1:3
	ds_read2_b64 v[16:19], v20 offset0:4 offset1:5
	;; [unrolled: 1-line block ×3, first 2 shown]
	s_add_u32 s14, s14, 8
	s_waitcnt lgkmcnt(3)
	v_cmp_gt_i64_e32 vcc, v[4:5], v[8:9]
	v_cndmask_b32_e64 v8, 0, 1, vcc
	v_cmp_gt_i64_e32 vcc, v[4:5], v[10:11]
	v_cndmask_b32_e64 v9, 0, 1, vcc
	s_waitcnt lgkmcnt(2)
	v_cmp_gt_i64_e32 vcc, v[4:5], v[12:13]
	v_cndmask_b32_e64 v10, 0, 1, vcc
	v_cmp_gt_i64_e32 vcc, v[4:5], v[14:15]
	v_cndmask_b32_e64 v11, 0, 1, vcc
	;; [unrolled: 5-line block ×4, first 2 shown]
	v_add_co_u32_e32 v6, vcc, v6, v8
	v_addc_co_u32_e32 v7, vcc, 0, v7, vcc
	v_add_co_u32_e32 v6, vcc, v6, v9
	v_addc_co_u32_e32 v7, vcc, 0, v7, vcc
	;; [unrolled: 2-line block ×7, first 2 shown]
	s_addc_u32 s15, s15, 0
	s_add_i32 s17, s17, 64
	v_add_co_u32_e32 v6, vcc, v6, v15
	s_cmp_eq_u64 s[2:3], s[14:15]
	v_addc_co_u32_e32 v7, vcc, 0, v7, vcc
	s_cbranch_scc0 .LBB127_84
; %bb.85:                               ;   in Loop: Header=BB127_82 Depth=1
	s_mov_b64 s[14:15], s[2:3]
.LBB127_86:                             ;   in Loop: Header=BB127_82 Depth=1
	s_andn2_b64 vcc, exec, s[12:13]
	s_cbranch_vccnz .LBB127_81
; %bb.87:                               ;   in Loop: Header=BB127_82 Depth=1
	s_lshl_b32 s14, s14, 3
	s_add_i32 s17, s14, 0
	s_mov_b64 s[14:15], s[8:9]
.LBB127_88:                             ;   Parent Loop BB127_82 Depth=1
                                        ; =>  This Inner Loop Header: Depth=2
	v_mov_b32_e32 v8, s17
	ds_read_b64 v[8:9], v8
	s_add_i32 s17, s17, 8
	s_add_u32 s14, s14, -1
	s_addc_u32 s15, s15, -1
	s_cmp_lg_u64 s[14:15], 0
	s_waitcnt lgkmcnt(0)
	v_cmp_gt_i64_e32 vcc, v[4:5], v[8:9]
	v_cndmask_b32_e64 v8, 0, 1, vcc
	v_add_co_u32_e32 v6, vcc, v6, v8
	v_addc_co_u32_e32 v7, vcc, 0, v7, vcc
	s_cbranch_scc1 .LBB127_88
	s_branch .LBB127_81
.LBB127_89:
	s_endpgm
	.section	.rodata,"a",@progbits
	.p2align	6, 0x0
	.amdhsa_kernel _ZN9rocsparseL26csrgemm_fill_block_per_rowILj1024ELj64ELj16384ELj137ELj64ElldEEvT5_PKS1_S3_NS_24const_host_device_scalarIT6_EEPKT4_S3_PKS5_S9_S3_SB_S6_S9_S3_SB_S9_PS1_PS5_21rocsparse_index_base_SE_SE_SE_bbb
		.amdhsa_group_segment_fixed_size 0
		.amdhsa_private_segment_fixed_size 0
		.amdhsa_kernarg_size 156
		.amdhsa_user_sgpr_count 6
		.amdhsa_user_sgpr_private_segment_buffer 1
		.amdhsa_user_sgpr_dispatch_ptr 0
		.amdhsa_user_sgpr_queue_ptr 0
		.amdhsa_user_sgpr_kernarg_segment_ptr 1
		.amdhsa_user_sgpr_dispatch_id 0
		.amdhsa_user_sgpr_flat_scratch_init 0
		.amdhsa_user_sgpr_kernarg_preload_length 0
		.amdhsa_user_sgpr_kernarg_preload_offset 0
		.amdhsa_user_sgpr_private_segment_size 0
		.amdhsa_uses_dynamic_stack 0
		.amdhsa_system_sgpr_private_segment_wavefront_offset 0
		.amdhsa_system_sgpr_workgroup_id_x 1
		.amdhsa_system_sgpr_workgroup_id_y 0
		.amdhsa_system_sgpr_workgroup_id_z 0
		.amdhsa_system_sgpr_workgroup_info 0
		.amdhsa_system_vgpr_workitem_id 0
		.amdhsa_next_free_vgpr 30
		.amdhsa_next_free_sgpr 65
		.amdhsa_accum_offset 32
		.amdhsa_reserve_vcc 1
		.amdhsa_reserve_flat_scratch 0
		.amdhsa_float_round_mode_32 0
		.amdhsa_float_round_mode_16_64 0
		.amdhsa_float_denorm_mode_32 3
		.amdhsa_float_denorm_mode_16_64 3
		.amdhsa_dx10_clamp 1
		.amdhsa_ieee_mode 1
		.amdhsa_fp16_overflow 0
		.amdhsa_tg_split 0
		.amdhsa_exception_fp_ieee_invalid_op 0
		.amdhsa_exception_fp_denorm_src 0
		.amdhsa_exception_fp_ieee_div_zero 0
		.amdhsa_exception_fp_ieee_overflow 0
		.amdhsa_exception_fp_ieee_underflow 0
		.amdhsa_exception_fp_ieee_inexact 0
		.amdhsa_exception_int_div_zero 0
	.end_amdhsa_kernel
	.section	.text._ZN9rocsparseL26csrgemm_fill_block_per_rowILj1024ELj64ELj16384ELj137ELj64ElldEEvT5_PKS1_S3_NS_24const_host_device_scalarIT6_EEPKT4_S3_PKS5_S9_S3_SB_S6_S9_S3_SB_S9_PS1_PS5_21rocsparse_index_base_SE_SE_SE_bbb,"axG",@progbits,_ZN9rocsparseL26csrgemm_fill_block_per_rowILj1024ELj64ELj16384ELj137ELj64ElldEEvT5_PKS1_S3_NS_24const_host_device_scalarIT6_EEPKT4_S3_PKS5_S9_S3_SB_S6_S9_S3_SB_S9_PS1_PS5_21rocsparse_index_base_SE_SE_SE_bbb,comdat
.Lfunc_end127:
	.size	_ZN9rocsparseL26csrgemm_fill_block_per_rowILj1024ELj64ELj16384ELj137ELj64ElldEEvT5_PKS1_S3_NS_24const_host_device_scalarIT6_EEPKT4_S3_PKS5_S9_S3_SB_S6_S9_S3_SB_S9_PS1_PS5_21rocsparse_index_base_SE_SE_SE_bbb, .Lfunc_end127-_ZN9rocsparseL26csrgemm_fill_block_per_rowILj1024ELj64ELj16384ELj137ELj64ElldEEvT5_PKS1_S3_NS_24const_host_device_scalarIT6_EEPKT4_S3_PKS5_S9_S3_SB_S6_S9_S3_SB_S9_PS1_PS5_21rocsparse_index_base_SE_SE_SE_bbb
                                        ; -- End function
	.section	.AMDGPU.csdata,"",@progbits
; Kernel info:
; codeLenInByte = 3388
; NumSgprs: 69
; NumVgprs: 30
; NumAgprs: 0
; TotalNumVgprs: 30
; ScratchSize: 0
; MemoryBound: 0
; FloatMode: 240
; IeeeMode: 1
; LDSByteSize: 0 bytes/workgroup (compile time only)
; SGPRBlocks: 8
; VGPRBlocks: 3
; NumSGPRsForWavesPerEU: 69
; NumVGPRsForWavesPerEU: 30
; AccumOffset: 32
; Occupancy: 8
; WaveLimiterHint : 1
; COMPUTE_PGM_RSRC2:SCRATCH_EN: 0
; COMPUTE_PGM_RSRC2:USER_SGPR: 6
; COMPUTE_PGM_RSRC2:TRAP_HANDLER: 0
; COMPUTE_PGM_RSRC2:TGID_X_EN: 1
; COMPUTE_PGM_RSRC2:TGID_Y_EN: 0
; COMPUTE_PGM_RSRC2:TGID_Z_EN: 0
; COMPUTE_PGM_RSRC2:TIDIG_COMP_CNT: 0
; COMPUTE_PGM_RSRC3_GFX90A:ACCUM_OFFSET: 7
; COMPUTE_PGM_RSRC3_GFX90A:TG_SPLIT: 0
	.section	.text._ZN9rocsparseL26csrgemm_fill_block_per_rowILj1024ELj64ELj32768ELj137ELj32ElldEEvT5_PKS1_S3_NS_24const_host_device_scalarIT6_EEPKT4_S3_PKS5_S9_S3_SB_S6_S9_S3_SB_S9_PS1_PS5_21rocsparse_index_base_SE_SE_SE_bbb,"axG",@progbits,_ZN9rocsparseL26csrgemm_fill_block_per_rowILj1024ELj64ELj32768ELj137ELj32ElldEEvT5_PKS1_S3_NS_24const_host_device_scalarIT6_EEPKT4_S3_PKS5_S9_S3_SB_S6_S9_S3_SB_S9_PS1_PS5_21rocsparse_index_base_SE_SE_SE_bbb,comdat
	.globl	_ZN9rocsparseL26csrgemm_fill_block_per_rowILj1024ELj64ELj32768ELj137ELj32ElldEEvT5_PKS1_S3_NS_24const_host_device_scalarIT6_EEPKT4_S3_PKS5_S9_S3_SB_S6_S9_S3_SB_S9_PS1_PS5_21rocsparse_index_base_SE_SE_SE_bbb ; -- Begin function _ZN9rocsparseL26csrgemm_fill_block_per_rowILj1024ELj64ELj32768ELj137ELj32ElldEEvT5_PKS1_S3_NS_24const_host_device_scalarIT6_EEPKT4_S3_PKS5_S9_S3_SB_S6_S9_S3_SB_S9_PS1_PS5_21rocsparse_index_base_SE_SE_SE_bbb
	.p2align	8
	.type	_ZN9rocsparseL26csrgemm_fill_block_per_rowILj1024ELj64ELj32768ELj137ELj32ElldEEvT5_PKS1_S3_NS_24const_host_device_scalarIT6_EEPKT4_S3_PKS5_S9_S3_SB_S6_S9_S3_SB_S9_PS1_PS5_21rocsparse_index_base_SE_SE_SE_bbb,@function
_ZN9rocsparseL26csrgemm_fill_block_per_rowILj1024ELj64ELj32768ELj137ELj32ElldEEvT5_PKS1_S3_NS_24const_host_device_scalarIT6_EEPKT4_S3_PKS5_S9_S3_SB_S6_S9_S3_SB_S9_PS1_PS5_21rocsparse_index_base_SE_SE_SE_bbb: ; @_ZN9rocsparseL26csrgemm_fill_block_per_rowILj1024ELj64ELj32768ELj137ELj32ElldEEvT5_PKS1_S3_NS_24const_host_device_scalarIT6_EEPKT4_S3_PKS5_S9_S3_SB_S6_S9_S3_SB_S9_PS1_PS5_21rocsparse_index_base_SE_SE_SE_bbb
; %bb.0:
	s_load_dword s7, s[4:5], 0x98
	s_load_dwordx4 s[40:43], s[4:5], 0x88
	s_load_dwordx2 s[0:1], s[4:5], 0x18
	s_load_dwordx2 s[24:25], s[4:5], 0x50
	s_waitcnt lgkmcnt(0)
	s_and_b32 s2, 1, s7
	s_bitcmp1_b32 s7, 16
	s_cselect_b64 s[26:27], -1, 0
	s_cmp_eq_u32 s2, 1
	s_cselect_b64 s[22:23], -1, 0
	s_and_b64 s[2:3], s[22:23], exec
	s_cselect_b32 s3, s1, 0
	s_cselect_b32 s2, s0, 0
	s_xor_b64 s[8:9], s[22:23], -1
	s_or_b64 s[8:9], s[8:9], s[26:27]
	s_and_b64 vcc, exec, s[8:9]
	v_pk_mov_b32 v[4:5], s[2:3], s[2:3] op_sel:[0,1]
	s_cbranch_vccnz .LBB128_2
; %bb.1:
	v_pk_mov_b32 v[2:3], s[0:1], s[0:1] op_sel:[0,1]
	flat_load_dwordx2 v[4:5], v[2:3]
.LBB128_2:
	s_load_dwordx4 s[0:3], s[4:5], 0x78
                                        ; implicit-def: $vgpr29 : SGPR spill to VGPR lane
	s_bitcmp1_b32 s7, 8
	s_cselect_b64 s[20:21], -1, 0
	s_and_b64 s[28:29], s[20:21], exec
	s_cselect_b32 s29, s25, 0
	s_waitcnt lgkmcnt(0)
	v_writelane_b32 v29, s0, 0
	v_writelane_b32 v29, s1, 1
	;; [unrolled: 1-line block ×4, first 2 shown]
	s_load_dwordx8 s[44:51], s[4:5], 0x58
	s_load_dwordx4 s[0:3], s[4:5], 0x40
	s_load_dwordx4 s[16:19], s[4:5], 0x8
	s_load_dwordx8 s[8:15], s[4:5], 0x20
	s_cselect_b32 s28, s24, 0
	s_xor_b64 s[30:31], s[20:21], -1
	s_or_b64 s[26:27], s[30:31], s[26:27]
	s_and_b64 vcc, exec, s[26:27]
	v_pk_mov_b32 v[2:3], s[28:29], s[28:29] op_sel:[0,1]
	s_cbranch_vccnz .LBB128_4
; %bb.3:
	v_pk_mov_b32 v[2:3], s[24:25], s[24:25] op_sel:[0,1]
	flat_load_dwordx2 v[2:3], v[2:3]
.LBB128_4:
	s_load_dwordx2 s[76:77], s[4:5], 0x0
	v_or_b32_e32 v1, 0xfffffc00, v0
	v_mov_b32_e32 v6, 0
	v_lshl_add_u32 v19, v0, 3, 0
	s_mov_b64 s[4:5], 0
	s_waitcnt lgkmcnt(0)
	v_pk_mov_b32 v[8:9], s[76:77], s[76:77] op_sel:[0,1]
	v_mov_b32_e32 v7, v6
	s_movk_i32 s7, 0x7bff
	v_mov_b32_e32 v10, v19
	v_mov_b32_e32 v11, v1
.LBB128_5:                              ; =>This Inner Loop Header: Depth=1
	v_add_u32_e32 v11, 0x400, v11
	v_cmp_lt_u32_e32 vcc, s7, v11
	ds_write_b64 v10, v[8:9]
	v_add_u32_e32 v12, 0x40000, v10
	v_add_u32_e32 v10, 0x2000, v10
	s_or_b64 s[4:5], vcc, s[4:5]
	ds_write_b64 v12, v[6:7]
	s_andn2_b64 exec, exec, s[4:5]
	s_cbranch_execnz .LBB128_5
; %bb.6:
	s_or_b64 exec, exec, s[4:5]
	s_waitcnt lgkmcnt(0)
	s_barrier
	s_load_dwordx2 s[4:5], s[16:17], 0x0
	s_mov_b32 s7, 0
	s_waitcnt lgkmcnt(0)
	s_lshl_b64 s[4:5], s[4:5], 3
	s_add_u32 s16, s18, s4
	s_addc_u32 s17, s19, s5
	s_lshl_b64 s[4:5], s[6:7], 3
	s_add_u32 s4, s16, s4
	s_addc_u32 s5, s17, s5
	s_load_dwordx2 s[52:53], s[4:5], 0x0
	s_and_b64 vcc, exec, s[22:23]
	s_cbranch_vccz .LBB128_26
; %bb.7:
	s_waitcnt lgkmcnt(0)
	s_lshl_b64 s[4:5], s[52:53], 3
	s_add_u32 s4, s8, s4
	s_addc_u32 s5, s9, s5
	s_load_dwordx4 s[16:19], s[4:5], 0x0
	v_lshrrev_b32_e32 v6, 6, v0
	v_subrev_co_u32_e32 v6, vcc, s40, v6
	v_subb_co_u32_e64 v7, s[8:9], 0, 0, vcc
	s_waitcnt lgkmcnt(0)
	s_sub_u32 s4, s18, s40
	v_mov_b32_e32 v8, s17
	v_add_co_u32_e32 v6, vcc, s16, v6
	s_subb_u32 s5, s19, 0
	v_addc_co_u32_e32 v7, vcc, v8, v7, vcc
	v_cmp_gt_i64_e32 vcc, s[4:5], v[6:7]
	s_and_saveexec_b64 s[8:9], vcc
	s_cbranch_execz .LBB128_25
; %bb.8:
	v_and_b32_e32 v8, 63, v0
	v_subrev_co_u32_e32 v22, vcc, s41, v8
	s_mov_b32 s6, 0
	v_subb_co_u32_e64 v23, s[16:17], 0, 0, vcc
	s_mov_b32 s33, s40
	s_mov_b32 s36, s41
	s_mov_b64 s[16:17], 0
	v_mov_b32_e32 v24, s11
	v_mov_b32_e32 v25, s7
	;; [unrolled: 1-line block ×4, first 2 shown]
	s_movk_i32 s11, 0x89
	s_branch .LBB128_10
.LBB128_9:                              ;   in Loop: Header=BB128_10 Depth=1
	s_or_b64 exec, exec, s[6:7]
	v_add_co_u32_e32 v6, vcc, 16, v6
	v_addc_co_u32_e32 v7, vcc, 0, v7, vcc
	v_cmp_le_i64_e32 vcc, s[4:5], v[6:7]
	s_or_b64 s[16:17], vcc, s[16:17]
	s_andn2_b64 exec, exec, s[16:17]
	s_cbranch_execz .LBB128_25
.LBB128_10:                             ; =>This Loop Header: Depth=1
                                        ;     Child Loop BB128_13 Depth 2
                                        ;       Child Loop BB128_15 Depth 3
	v_lshlrev_b64 v[12:13], 3, v[6:7]
	v_add_co_u32_e32 v8, vcc, s10, v12
	v_addc_co_u32_e32 v9, vcc, v24, v13, vcc
	global_load_dwordx2 v[8:9], v[8:9], off
	s_waitcnt vmcnt(0)
	v_subrev_co_u32_e32 v8, vcc, s33, v8
	v_subb_co_u32_e32 v9, vcc, v9, v25, vcc
	v_lshlrev_b64 v[8:9], 3, v[8:9]
	v_add_co_u32_e32 v8, vcc, s14, v8
	v_addc_co_u32_e32 v9, vcc, v26, v9, vcc
	global_load_dwordx4 v[14:17], v[8:9], off
	s_waitcnt vmcnt(0)
	v_subrev_co_u32_e32 v8, vcc, s36, v16
	v_subb_co_u32_e32 v9, vcc, v17, v27, vcc
	v_add_co_u32_e32 v10, vcc, v14, v22
	v_addc_co_u32_e32 v11, vcc, v15, v23, vcc
	v_cmp_lt_i64_e32 vcc, v[10:11], v[8:9]
	s_and_saveexec_b64 s[6:7], vcc
	s_cbranch_execz .LBB128_9
; %bb.11:                               ;   in Loop: Header=BB128_10 Depth=1
	v_mov_b32_e32 v14, s13
	v_add_co_u32_e32 v12, vcc, s12, v12
	v_addc_co_u32_e32 v13, vcc, v14, v13, vcc
	global_load_dwordx2 v[12:13], v[12:13], off
	s_mov_b64 s[18:19], 0
	s_waitcnt vmcnt(0)
	v_mul_f64 v[12:13], v[4:5], v[12:13]
	s_branch .LBB128_13
.LBB128_12:                             ;   in Loop: Header=BB128_13 Depth=2
	s_or_b64 exec, exec, s[22:23]
	v_add_co_u32_e32 v10, vcc, 64, v10
	v_addc_co_u32_e32 v11, vcc, 0, v11, vcc
	v_cmp_ge_i64_e32 vcc, v[10:11], v[8:9]
	s_or_b64 s[18:19], vcc, s[18:19]
	s_andn2_b64 exec, exec, s[18:19]
	s_cbranch_execz .LBB128_9
.LBB128_13:                             ;   Parent Loop BB128_10 Depth=1
                                        ; =>  This Loop Header: Depth=2
                                        ;       Child Loop BB128_15 Depth 3
	v_lshlrev_b64 v[14:15], 3, v[10:11]
	v_mov_b32_e32 v17, s1
	v_add_co_u32_e32 v16, vcc, s0, v14
	v_addc_co_u32_e32 v17, vcc, v17, v15, vcc
	global_load_dwordx2 v[16:17], v[16:17], off
	v_mov_b32_e32 v18, s3
	v_add_co_u32_e32 v14, vcc, s2, v14
	v_addc_co_u32_e32 v15, vcc, v18, v15, vcc
	global_load_dwordx2 v[20:21], v[14:15], off
	s_mov_b64 s[22:23], 0
	s_waitcnt vmcnt(1)
	v_subrev_co_u32_e32 v14, vcc, s36, v16
	v_mul_lo_u32 v18, v14, s11
	v_subb_co_u32_e32 v15, vcc, v17, v27, vcc
	v_and_b32_e32 v18, 0x7fff, v18
	s_waitcnt vmcnt(0)
	v_mul_f64 v[16:17], v[12:13], v[20:21]
	s_branch .LBB128_15
.LBB128_14:                             ;   in Loop: Header=BB128_15 Depth=3
	s_or_b64 exec, exec, s[24:25]
	s_xor_b64 s[24:25], s[26:27], -1
	s_and_b64 s[24:25], exec, s[24:25]
	s_or_b64 s[22:23], s[24:25], s[22:23]
	s_andn2_b64 exec, exec, s[22:23]
	s_cbranch_execz .LBB128_12
.LBB128_15:                             ;   Parent Loop BB128_10 Depth=1
                                        ;     Parent Loop BB128_13 Depth=2
                                        ; =>    This Inner Loop Header: Depth=3
	v_lshl_add_u32 v28, v18, 3, 0
	ds_read_b64 v[20:21], v28
                                        ; implicit-def: $sgpr26_sgpr27
	s_waitcnt lgkmcnt(0)
	v_cmp_ne_u64_e32 vcc, v[20:21], v[14:15]
	s_and_saveexec_b64 s[24:25], vcc
	s_xor_b64 s[24:25], exec, s[24:25]
	s_cbranch_execz .LBB128_23
; %bb.16:                               ;   in Loop: Header=BB128_15 Depth=3
	v_cmp_ne_u64_e32 vcc, s[76:77], v[20:21]
                                        ; implicit-def: $sgpr26_sgpr27
	s_and_saveexec_b64 s[28:29], vcc
	s_xor_b64 s[28:29], exec, s[28:29]
; %bb.17:                               ;   in Loop: Header=BB128_15 Depth=3
	v_add_u32_e32 v18, 1, v18
	v_and_b32_e32 v18, 0x7fff, v18
	s_mov_b64 s[26:27], -1
                                        ; implicit-def: $vgpr28
; %bb.18:                               ;   in Loop: Header=BB128_15 Depth=3
	s_andn2_saveexec_b64 s[28:29], s[28:29]
	s_cbranch_execz .LBB128_22
; %bb.19:                               ;   in Loop: Header=BB128_15 Depth=3
	v_pk_mov_b32 v[20:21], s[76:77], s[76:77] op_sel:[0,1]
	ds_cmpst_rtn_b64 v[20:21], v28, v[20:21], v[14:15]
	s_mov_b64 s[30:31], -1
	s_waitcnt lgkmcnt(0)
	v_cmp_eq_u64_e32 vcc, s[76:77], v[20:21]
	s_and_saveexec_b64 s[34:35], vcc
	s_cbranch_execz .LBB128_21
; %bb.20:                               ;   in Loop: Header=BB128_15 Depth=3
	v_add_u32_e32 v20, 0x40000, v28
	ds_add_f64 v20, v[16:17]
	s_xor_b64 s[30:31], exec, -1
.LBB128_21:                             ;   in Loop: Header=BB128_15 Depth=3
	s_or_b64 exec, exec, s[34:35]
	s_andn2_b64 s[26:27], s[26:27], exec
	s_and_b64 s[30:31], s[30:31], exec
	s_or_b64 s[26:27], s[26:27], s[30:31]
.LBB128_22:                             ;   in Loop: Header=BB128_15 Depth=3
	s_or_b64 exec, exec, s[28:29]
	s_and_b64 s[26:27], s[26:27], exec
                                        ; implicit-def: $vgpr28
.LBB128_23:                             ;   in Loop: Header=BB128_15 Depth=3
	s_andn2_saveexec_b64 s[24:25], s[24:25]
	s_cbranch_execz .LBB128_14
; %bb.24:                               ;   in Loop: Header=BB128_15 Depth=3
	v_add_u32_e32 v20, 0x40000, v28
	ds_add_f64 v20, v[16:17]
	s_andn2_b64 s[26:27], s[26:27], exec
	s_branch .LBB128_14
.LBB128_25:
	s_or_b64 exec, exec, s[8:9]
.LBB128_26:
	s_andn2_b64 vcc, exec, s[20:21]
	s_cbranch_vccnz .LBB128_43
; %bb.27:
	s_waitcnt lgkmcnt(0)
	s_lshl_b64 s[0:1], s[52:53], 3
	s_add_u32 s0, s44, s0
	s_addc_u32 s1, s45, s1
	s_load_dwordx4 s[8:11], s[0:1], 0x0
	s_waitcnt vmcnt(0)
	v_subrev_co_u32_e32 v4, vcc, s43, v0
	v_subb_co_u32_e64 v5, s[2:3], 0, 0, vcc
	s_waitcnt lgkmcnt(0)
	s_sub_u32 s0, s10, s43
	v_mov_b32_e32 v6, s9
	v_add_co_u32_e32 v4, vcc, s8, v4
	s_subb_u32 s1, s11, 0
	v_addc_co_u32_e32 v5, vcc, v6, v5, vcc
	s_mov_b32 s6, 0
	v_cmp_gt_i64_e32 vcc, s[0:1], v[4:5]
	s_and_saveexec_b64 s[2:3], vcc
	s_cbranch_execz .LBB128_42
; %bb.28:
	s_mov_b32 s18, s43
	s_mov_b64 s[4:5], 0
	v_mov_b32_e32 v11, s47
	v_mov_b32_e32 v14, s6
	;; [unrolled: 1-line block ×3, first 2 shown]
	s_movk_i32 s19, 0x89
	s_branch .LBB128_30
.LBB128_29:                             ;   in Loop: Header=BB128_30 Depth=1
	s_or_b64 exec, exec, s[6:7]
	v_add_co_u32_e32 v4, vcc, 0x400, v4
	v_addc_co_u32_e32 v5, vcc, 0, v5, vcc
	v_cmp_le_i64_e32 vcc, s[0:1], v[4:5]
	s_or_b64 s[4:5], vcc, s[4:5]
	s_andn2_b64 exec, exec, s[4:5]
	s_cbranch_execz .LBB128_42
.LBB128_30:                             ; =>This Loop Header: Depth=1
                                        ;     Child Loop BB128_32 Depth 2
	v_lshlrev_b64 v[6:7], 3, v[4:5]
	v_add_co_u32_e32 v8, vcc, s46, v6
	v_addc_co_u32_e32 v9, vcc, v11, v7, vcc
	global_load_dwordx2 v[8:9], v[8:9], off
	v_add_co_u32_e32 v6, vcc, s48, v6
	v_addc_co_u32_e32 v7, vcc, v15, v7, vcc
	global_load_dwordx2 v[12:13], v[6:7], off
	s_mov_b64 s[6:7], 0
	s_waitcnt vmcnt(1)
	v_subrev_co_u32_e32 v6, vcc, s18, v8
	v_mul_lo_u32 v10, v6, s19
	v_subb_co_u32_e32 v7, vcc, v9, v14, vcc
	s_waitcnt vmcnt(0)
	v_mul_f64 v[8:9], v[2:3], v[12:13]
	v_and_b32_e32 v10, 0x7fff, v10
	s_branch .LBB128_32
.LBB128_31:                             ;   in Loop: Header=BB128_32 Depth=2
	s_or_b64 exec, exec, s[8:9]
	s_xor_b64 s[8:9], s[10:11], -1
	s_and_b64 s[8:9], exec, s[8:9]
	s_or_b64 s[6:7], s[8:9], s[6:7]
	s_andn2_b64 exec, exec, s[6:7]
	s_cbranch_execz .LBB128_29
.LBB128_32:                             ;   Parent Loop BB128_30 Depth=1
                                        ; =>  This Inner Loop Header: Depth=2
	v_lshl_add_u32 v16, v10, 3, 0
	ds_read_b64 v[12:13], v16
                                        ; implicit-def: $sgpr10_sgpr11
	s_waitcnt lgkmcnt(0)
	v_cmp_ne_u64_e32 vcc, v[12:13], v[6:7]
	s_and_saveexec_b64 s[8:9], vcc
	s_xor_b64 s[8:9], exec, s[8:9]
	s_cbranch_execz .LBB128_40
; %bb.33:                               ;   in Loop: Header=BB128_32 Depth=2
	v_cmp_ne_u64_e32 vcc, s[76:77], v[12:13]
                                        ; implicit-def: $sgpr10_sgpr11
	s_and_saveexec_b64 s[12:13], vcc
	s_xor_b64 s[12:13], exec, s[12:13]
; %bb.34:                               ;   in Loop: Header=BB128_32 Depth=2
	v_add_u32_e32 v10, 1, v10
	v_and_b32_e32 v10, 0x7fff, v10
	s_mov_b64 s[10:11], -1
                                        ; implicit-def: $vgpr16
; %bb.35:                               ;   in Loop: Header=BB128_32 Depth=2
	s_andn2_saveexec_b64 s[12:13], s[12:13]
	s_cbranch_execz .LBB128_39
; %bb.36:                               ;   in Loop: Header=BB128_32 Depth=2
	v_pk_mov_b32 v[12:13], s[76:77], s[76:77] op_sel:[0,1]
	ds_cmpst_rtn_b64 v[12:13], v16, v[12:13], v[6:7]
	s_mov_b64 s[14:15], -1
	s_waitcnt lgkmcnt(0)
	v_cmp_eq_u64_e32 vcc, s[76:77], v[12:13]
	s_and_saveexec_b64 s[16:17], vcc
	s_cbranch_execz .LBB128_38
; %bb.37:                               ;   in Loop: Header=BB128_32 Depth=2
	v_add_u32_e32 v12, 0x40000, v16
	ds_add_f64 v12, v[8:9]
	s_xor_b64 s[14:15], exec, -1
.LBB128_38:                             ;   in Loop: Header=BB128_32 Depth=2
	s_or_b64 exec, exec, s[16:17]
	s_andn2_b64 s[10:11], s[10:11], exec
	s_and_b64 s[14:15], s[14:15], exec
	s_or_b64 s[10:11], s[10:11], s[14:15]
.LBB128_39:                             ;   in Loop: Header=BB128_32 Depth=2
	s_or_b64 exec, exec, s[12:13]
	s_and_b64 s[10:11], s[10:11], exec
                                        ; implicit-def: $vgpr16
.LBB128_40:                             ;   in Loop: Header=BB128_32 Depth=2
	s_andn2_saveexec_b64 s[8:9], s[8:9]
	s_cbranch_execz .LBB128_31
; %bb.41:                               ;   in Loop: Header=BB128_32 Depth=2
	v_add_u32_e32 v12, 0x40000, v16
	ds_add_f64 v12, v[8:9]
	s_andn2_b64 s[10:11], s[10:11], exec
	s_branch .LBB128_31
.LBB128_42:
	s_or_b64 exec, exec, s[2:3]
.LBB128_43:
	s_waitcnt lgkmcnt(0)
	v_writelane_b32 v29, s52, 4
	v_writelane_b32 v29, s53, 5
	;; [unrolled: 1-line block ×10, first 2 shown]
	s_movk_i32 s33, 0x25f
	v_writelane_b32 v29, s40, 14
	v_cmp_lt_u32_e64 s[34:35], s33, v0
	s_movk_i32 s33, 0x27f
	v_writelane_b32 v29, s41, 15
	v_cmp_lt_u32_e64 s[36:37], s33, v0
	;; [unrolled: 3-line block ×4, first 2 shown]
	s_movk_i32 s33, 0x2df
	v_cmp_lt_u32_e64 s[42:43], s33, v0
	s_movk_i32 s33, 0x2ff
	v_cmp_lt_u32_e64 s[44:45], s33, v0
	;; [unrolled: 2-line block ×7, first 2 shown]
	s_movk_i32 s33, 0x3bf
	s_add_i32 s0, 0, 0x80000
	v_cmp_lt_u32_e64 s[56:57], s33, v0
	s_movk_i32 s33, 0x3df
	v_writelane_b32 v29, s0, 18
	v_cmp_lt_u32_e64 s[58:59], s33, v0
	s_add_i32 s33, 0, 0x80008
	v_writelane_b32 v29, s33, 19
	s_add_i32 s33, 0, 0x80010
	s_waitcnt vmcnt(0)
	v_mbcnt_lo_u32_b32 v2, -1, 0
	v_writelane_b32 v29, s33, 20
	s_add_i32 s33, 0, 0x80018
	v_mbcnt_hi_u32_b32 v2, -1, v2
	v_writelane_b32 v29, s33, 21
	s_add_i32 s33, 0, 0x80020
	v_sub_u32_e32 v2, 63, v2
	v_writelane_b32 v29, s33, 22
	s_add_i32 s33, 0, 0x80028
	v_lshrrev_b64 v[4:5], v2, -1
	v_lshrrev_b32_e32 v2, 2, v0
	v_writelane_b32 v29, s33, 23
	s_add_i32 s33, 0, 0x80030
	v_and_b32_e32 v2, 0xf8, v2
	v_writelane_b32 v29, s33, 24
	s_add_i32 s33, 0, 0x80038
	v_add_u32_e32 v14, s0, v2
	s_movk_i32 s0, 0x3ff
	v_writelane_b32 v29, s33, 25
	s_add_i32 s33, 0, 0x80040
	v_cmp_eq_u32_e32 vcc, s0, v0
	s_movk_i32 s0, 0x5f
	s_movk_i32 s2, 0x7f
	;; [unrolled: 1-line block ×16, first 2 shown]
	v_writelane_b32 v29, s33, 26
	s_add_i32 s33, 0, 0x80048
	v_mov_b32_e32 v3, 0
	v_cmp_lt_u32_e64 s[0:1], s0, v0
	v_cmp_lt_u32_e64 s[2:3], s2, v0
	;; [unrolled: 1-line block ×16, first 2 shown]
	v_pk_mov_b32 v[6:7], 0, 0
	v_writelane_b32 v29, s33, 27
	s_add_i32 s90, 0, 0x80050
	s_add_i32 s91, 0, 0x80058
	;; [unrolled: 1-line block ×22, first 2 shown]
	s_movk_i32 s87, 0x7bff
	v_cmp_lt_u32_e64 s[60:61], 31, v0
	v_cmp_lt_u32_e64 s[62:63], 63, v0
	s_mov_b64 s[68:69], 0
	s_barrier
	s_branch .LBB128_45
.LBB128_44:                             ;   in Loop: Header=BB128_45 Depth=1
	s_or_b64 exec, exec, s[64:65]
	v_mov_b32_e32 v2, s86
	s_waitcnt lgkmcnt(0)
	s_barrier
	ds_read_b64 v[8:9], v2
	v_add_u32_e32 v1, 0x400, v1
	v_add_u32_e32 v19, 0x2000, v19
	s_waitcnt lgkmcnt(0)
	v_add_co_u32_e64 v6, s[64:65], v8, v6
	v_addc_co_u32_e64 v7, s[64:65], v9, v7, s[64:65]
	v_cmp_lt_u32_e64 s[64:65], s87, v1
	s_or_b64 s[68:69], s[64:65], s[68:69]
	s_andn2_b64 exec, exec, s[68:69]
	s_cbranch_execz .LBB128_111
.LBB128_45:                             ; =>This Inner Loop Header: Depth=1
	ds_read_b64 v[8:9], v19
	v_add_u32_e32 v2, 0x40000, v19
	ds_read_b64 v[10:11], v2
	s_waitcnt lgkmcnt(0)
	s_barrier
	v_cmp_gt_i64_e64 s[64:65], s[76:77], v[8:9]
	v_and_b32_e32 v13, s64, v4
	s_bcnt1_i32_b64 s80, s[64:65]
	v_and_b32_e32 v12, s65, v5
	v_bcnt_u32_b32 v13, v13, 0
	v_mov_b32_e32 v2, s80
	v_bcnt_u32_b32 v12, v12, v13
	ds_write_b64 v14, v[2:3]
	s_waitcnt lgkmcnt(0)
	s_barrier
	s_and_saveexec_b64 s[80:81], s[60:61]
	s_cbranch_execnz .LBB128_78
; %bb.46:                               ;   in Loop: Header=BB128_45 Depth=1
	s_or_b64 exec, exec, s[80:81]
	s_and_saveexec_b64 s[80:81], s[62:63]
	s_cbranch_execnz .LBB128_79
.LBB128_47:                             ;   in Loop: Header=BB128_45 Depth=1
	s_or_b64 exec, exec, s[80:81]
	s_and_saveexec_b64 s[80:81], s[0:1]
	s_cbranch_execnz .LBB128_80
.LBB128_48:                             ;   in Loop: Header=BB128_45 Depth=1
	s_or_b64 exec, exec, s[80:81]
	s_and_saveexec_b64 s[80:81], s[2:3]
	s_cbranch_execnz .LBB128_81
.LBB128_49:                             ;   in Loop: Header=BB128_45 Depth=1
	s_or_b64 exec, exec, s[80:81]
	s_and_saveexec_b64 s[80:81], s[4:5]
	s_cbranch_execnz .LBB128_82
.LBB128_50:                             ;   in Loop: Header=BB128_45 Depth=1
	s_or_b64 exec, exec, s[80:81]
	s_and_saveexec_b64 s[80:81], s[6:7]
	s_cbranch_execnz .LBB128_83
.LBB128_51:                             ;   in Loop: Header=BB128_45 Depth=1
	s_or_b64 exec, exec, s[80:81]
	s_and_saveexec_b64 s[80:81], s[8:9]
	s_cbranch_execnz .LBB128_84
.LBB128_52:                             ;   in Loop: Header=BB128_45 Depth=1
	s_or_b64 exec, exec, s[80:81]
	s_and_saveexec_b64 s[80:81], s[10:11]
	s_cbranch_execnz .LBB128_85
.LBB128_53:                             ;   in Loop: Header=BB128_45 Depth=1
	s_or_b64 exec, exec, s[80:81]
	s_and_saveexec_b64 s[80:81], s[12:13]
	s_cbranch_execnz .LBB128_86
.LBB128_54:                             ;   in Loop: Header=BB128_45 Depth=1
	s_or_b64 exec, exec, s[80:81]
	s_and_saveexec_b64 s[80:81], s[14:15]
	s_cbranch_execnz .LBB128_87
.LBB128_55:                             ;   in Loop: Header=BB128_45 Depth=1
	s_or_b64 exec, exec, s[80:81]
	s_and_saveexec_b64 s[80:81], s[16:17]
	s_cbranch_execnz .LBB128_88
.LBB128_56:                             ;   in Loop: Header=BB128_45 Depth=1
	s_or_b64 exec, exec, s[80:81]
	s_and_saveexec_b64 s[80:81], s[18:19]
	s_cbranch_execnz .LBB128_89
.LBB128_57:                             ;   in Loop: Header=BB128_45 Depth=1
	s_or_b64 exec, exec, s[80:81]
	s_and_saveexec_b64 s[80:81], s[20:21]
	s_cbranch_execnz .LBB128_90
.LBB128_58:                             ;   in Loop: Header=BB128_45 Depth=1
	s_or_b64 exec, exec, s[80:81]
	s_and_saveexec_b64 s[80:81], s[22:23]
	s_cbranch_execnz .LBB128_91
.LBB128_59:                             ;   in Loop: Header=BB128_45 Depth=1
	s_or_b64 exec, exec, s[80:81]
	s_and_saveexec_b64 s[80:81], s[24:25]
	s_cbranch_execnz .LBB128_92
.LBB128_60:                             ;   in Loop: Header=BB128_45 Depth=1
	s_or_b64 exec, exec, s[80:81]
	s_and_saveexec_b64 s[80:81], s[26:27]
	s_cbranch_execnz .LBB128_93
.LBB128_61:                             ;   in Loop: Header=BB128_45 Depth=1
	s_or_b64 exec, exec, s[80:81]
	s_and_saveexec_b64 s[80:81], s[28:29]
	s_cbranch_execnz .LBB128_94
.LBB128_62:                             ;   in Loop: Header=BB128_45 Depth=1
	s_or_b64 exec, exec, s[80:81]
	s_and_saveexec_b64 s[80:81], s[30:31]
	s_cbranch_execnz .LBB128_95
.LBB128_63:                             ;   in Loop: Header=BB128_45 Depth=1
	s_or_b64 exec, exec, s[80:81]
	s_and_saveexec_b64 s[80:81], s[34:35]
	s_cbranch_execnz .LBB128_96
.LBB128_64:                             ;   in Loop: Header=BB128_45 Depth=1
	s_or_b64 exec, exec, s[80:81]
	s_and_saveexec_b64 s[80:81], s[36:37]
	s_cbranch_execnz .LBB128_97
.LBB128_65:                             ;   in Loop: Header=BB128_45 Depth=1
	s_or_b64 exec, exec, s[80:81]
	s_and_saveexec_b64 s[80:81], s[38:39]
	s_cbranch_execnz .LBB128_98
.LBB128_66:                             ;   in Loop: Header=BB128_45 Depth=1
	s_or_b64 exec, exec, s[80:81]
	s_and_saveexec_b64 s[80:81], s[40:41]
	s_cbranch_execnz .LBB128_99
.LBB128_67:                             ;   in Loop: Header=BB128_45 Depth=1
	s_or_b64 exec, exec, s[80:81]
	s_and_saveexec_b64 s[80:81], s[42:43]
	s_cbranch_execnz .LBB128_100
.LBB128_68:                             ;   in Loop: Header=BB128_45 Depth=1
	s_or_b64 exec, exec, s[80:81]
	s_and_saveexec_b64 s[80:81], s[44:45]
	s_cbranch_execnz .LBB128_101
.LBB128_69:                             ;   in Loop: Header=BB128_45 Depth=1
	s_or_b64 exec, exec, s[80:81]
	s_and_saveexec_b64 s[80:81], s[46:47]
	s_cbranch_execnz .LBB128_102
.LBB128_70:                             ;   in Loop: Header=BB128_45 Depth=1
	s_or_b64 exec, exec, s[80:81]
	s_and_saveexec_b64 s[80:81], s[48:49]
	s_cbranch_execnz .LBB128_103
.LBB128_71:                             ;   in Loop: Header=BB128_45 Depth=1
	s_or_b64 exec, exec, s[80:81]
	s_and_saveexec_b64 s[80:81], s[50:51]
	s_cbranch_execnz .LBB128_104
.LBB128_72:                             ;   in Loop: Header=BB128_45 Depth=1
	s_or_b64 exec, exec, s[80:81]
	s_and_saveexec_b64 s[80:81], s[52:53]
	s_cbranch_execnz .LBB128_105
.LBB128_73:                             ;   in Loop: Header=BB128_45 Depth=1
	s_or_b64 exec, exec, s[80:81]
	s_and_saveexec_b64 s[80:81], s[54:55]
	s_cbranch_execnz .LBB128_106
.LBB128_74:                             ;   in Loop: Header=BB128_45 Depth=1
	s_or_b64 exec, exec, s[80:81]
	s_and_saveexec_b64 s[80:81], s[56:57]
	s_cbranch_execnz .LBB128_107
.LBB128_75:                             ;   in Loop: Header=BB128_45 Depth=1
	s_or_b64 exec, exec, s[80:81]
	s_and_saveexec_b64 s[80:81], s[58:59]
	s_cbranch_execnz .LBB128_108
.LBB128_76:                             ;   in Loop: Header=BB128_45 Depth=1
	s_or_b64 exec, exec, s[80:81]
	v_ashrrev_i32_e32 v13, 31, v12
	s_and_saveexec_b64 s[80:81], s[64:65]
	s_cbranch_execnz .LBB128_109
.LBB128_77:                             ;   in Loop: Header=BB128_45 Depth=1
	s_or_b64 exec, exec, s[80:81]
	s_and_saveexec_b64 s[64:65], vcc
	s_cbranch_execz .LBB128_44
	s_branch .LBB128_110
.LBB128_78:                             ;   in Loop: Header=BB128_45 Depth=1
	v_readlane_b32 s88, v29, 18
	v_mov_b32_e32 v2, s88
	ds_read_b32 v2, v2
	s_waitcnt lgkmcnt(0)
	v_add_u32_e32 v12, v2, v12
	s_or_b64 exec, exec, s[80:81]
	s_and_saveexec_b64 s[80:81], s[62:63]
	s_cbranch_execz .LBB128_47
.LBB128_79:                             ;   in Loop: Header=BB128_45 Depth=1
	v_readlane_b32 s88, v29, 19
	v_mov_b32_e32 v2, s88
	ds_read_b32 v2, v2
	s_waitcnt lgkmcnt(0)
	v_add_u32_e32 v12, v12, v2
	s_or_b64 exec, exec, s[80:81]
	s_and_saveexec_b64 s[80:81], s[0:1]
	s_cbranch_execz .LBB128_48
.LBB128_80:                             ;   in Loop: Header=BB128_45 Depth=1
	v_readlane_b32 s88, v29, 20
	v_mov_b32_e32 v2, s88
	ds_read_b32 v2, v2
	s_waitcnt lgkmcnt(0)
	v_add_u32_e32 v12, v12, v2
	s_or_b64 exec, exec, s[80:81]
	s_and_saveexec_b64 s[80:81], s[2:3]
	s_cbranch_execz .LBB128_49
.LBB128_81:                             ;   in Loop: Header=BB128_45 Depth=1
	v_readlane_b32 s88, v29, 21
	v_mov_b32_e32 v2, s88
	ds_read_b32 v2, v2
	s_waitcnt lgkmcnt(0)
	v_add_u32_e32 v12, v12, v2
	s_or_b64 exec, exec, s[80:81]
	s_and_saveexec_b64 s[80:81], s[4:5]
	s_cbranch_execz .LBB128_50
.LBB128_82:                             ;   in Loop: Header=BB128_45 Depth=1
	v_readlane_b32 s88, v29, 22
	v_mov_b32_e32 v2, s88
	ds_read_b32 v2, v2
	s_waitcnt lgkmcnt(0)
	v_add_u32_e32 v12, v12, v2
	s_or_b64 exec, exec, s[80:81]
	s_and_saveexec_b64 s[80:81], s[6:7]
	s_cbranch_execz .LBB128_51
.LBB128_83:                             ;   in Loop: Header=BB128_45 Depth=1
	v_readlane_b32 s88, v29, 23
	v_mov_b32_e32 v2, s88
	ds_read_b32 v2, v2
	s_waitcnt lgkmcnt(0)
	v_add_u32_e32 v12, v12, v2
	s_or_b64 exec, exec, s[80:81]
	s_and_saveexec_b64 s[80:81], s[8:9]
	s_cbranch_execz .LBB128_52
.LBB128_84:                             ;   in Loop: Header=BB128_45 Depth=1
	v_readlane_b32 s88, v29, 24
	v_mov_b32_e32 v2, s88
	ds_read_b32 v2, v2
	s_waitcnt lgkmcnt(0)
	v_add_u32_e32 v12, v12, v2
	s_or_b64 exec, exec, s[80:81]
	s_and_saveexec_b64 s[80:81], s[10:11]
	s_cbranch_execz .LBB128_53
.LBB128_85:                             ;   in Loop: Header=BB128_45 Depth=1
	v_readlane_b32 s88, v29, 25
	v_mov_b32_e32 v2, s88
	ds_read_b32 v2, v2
	s_waitcnt lgkmcnt(0)
	v_add_u32_e32 v12, v12, v2
	s_or_b64 exec, exec, s[80:81]
	s_and_saveexec_b64 s[80:81], s[12:13]
	s_cbranch_execz .LBB128_54
.LBB128_86:                             ;   in Loop: Header=BB128_45 Depth=1
	v_readlane_b32 s88, v29, 26
	v_mov_b32_e32 v2, s88
	ds_read_b32 v2, v2
	s_waitcnt lgkmcnt(0)
	v_add_u32_e32 v12, v12, v2
	s_or_b64 exec, exec, s[80:81]
	s_and_saveexec_b64 s[80:81], s[14:15]
	s_cbranch_execz .LBB128_55
.LBB128_87:                             ;   in Loop: Header=BB128_45 Depth=1
	v_readlane_b32 s88, v29, 27
	v_mov_b32_e32 v2, s88
	ds_read_b32 v2, v2
	s_waitcnt lgkmcnt(0)
	v_add_u32_e32 v12, v12, v2
	s_or_b64 exec, exec, s[80:81]
	s_and_saveexec_b64 s[80:81], s[16:17]
	s_cbranch_execz .LBB128_56
.LBB128_88:                             ;   in Loop: Header=BB128_45 Depth=1
	v_mov_b32_e32 v2, s90
	ds_read_b32 v2, v2
	s_waitcnt lgkmcnt(0)
	v_add_u32_e32 v12, v12, v2
	s_or_b64 exec, exec, s[80:81]
	s_and_saveexec_b64 s[80:81], s[18:19]
	s_cbranch_execz .LBB128_57
.LBB128_89:                             ;   in Loop: Header=BB128_45 Depth=1
	v_mov_b32_e32 v2, s91
	ds_read_b32 v2, v2
	s_waitcnt lgkmcnt(0)
	v_add_u32_e32 v12, v12, v2
	s_or_b64 exec, exec, s[80:81]
	s_and_saveexec_b64 s[80:81], s[20:21]
	s_cbranch_execz .LBB128_58
.LBB128_90:                             ;   in Loop: Header=BB128_45 Depth=1
	v_mov_b32_e32 v2, s92
	ds_read_b32 v2, v2
	s_waitcnt lgkmcnt(0)
	v_add_u32_e32 v12, v12, v2
	s_or_b64 exec, exec, s[80:81]
	s_and_saveexec_b64 s[80:81], s[22:23]
	s_cbranch_execz .LBB128_59
.LBB128_91:                             ;   in Loop: Header=BB128_45 Depth=1
	v_mov_b32_e32 v2, s93
	ds_read_b32 v2, v2
	s_waitcnt lgkmcnt(0)
	v_add_u32_e32 v12, v12, v2
	s_or_b64 exec, exec, s[80:81]
	s_and_saveexec_b64 s[80:81], s[24:25]
	s_cbranch_execz .LBB128_60
.LBB128_92:                             ;   in Loop: Header=BB128_45 Depth=1
	v_mov_b32_e32 v2, s94
	ds_read_b32 v2, v2
	s_waitcnt lgkmcnt(0)
	v_add_u32_e32 v12, v12, v2
	s_or_b64 exec, exec, s[80:81]
	s_and_saveexec_b64 s[80:81], s[26:27]
	s_cbranch_execz .LBB128_61
.LBB128_93:                             ;   in Loop: Header=BB128_45 Depth=1
	v_mov_b32_e32 v2, s95
	ds_read_b32 v2, v2
	s_waitcnt lgkmcnt(0)
	v_add_u32_e32 v12, v12, v2
	s_or_b64 exec, exec, s[80:81]
	s_and_saveexec_b64 s[80:81], s[28:29]
	s_cbranch_execz .LBB128_62
.LBB128_94:                             ;   in Loop: Header=BB128_45 Depth=1
	v_mov_b32_e32 v2, s78
	ds_read_b32 v2, v2
	s_waitcnt lgkmcnt(0)
	v_add_u32_e32 v12, v12, v2
	s_or_b64 exec, exec, s[80:81]
	s_and_saveexec_b64 s[80:81], s[30:31]
	s_cbranch_execz .LBB128_63
.LBB128_95:                             ;   in Loop: Header=BB128_45 Depth=1
	v_mov_b32_e32 v2, s79
	ds_read_b32 v2, v2
	s_waitcnt lgkmcnt(0)
	v_add_u32_e32 v12, v12, v2
	s_or_b64 exec, exec, s[80:81]
	s_and_saveexec_b64 s[80:81], s[34:35]
	s_cbranch_execz .LBB128_64
.LBB128_96:                             ;   in Loop: Header=BB128_45 Depth=1
	v_mov_b32_e32 v2, s70
	ds_read_b32 v2, v2
	s_waitcnt lgkmcnt(0)
	v_add_u32_e32 v12, v12, v2
	s_or_b64 exec, exec, s[80:81]
	s_and_saveexec_b64 s[80:81], s[36:37]
	s_cbranch_execz .LBB128_65
.LBB128_97:                             ;   in Loop: Header=BB128_45 Depth=1
	v_mov_b32_e32 v2, s66
	ds_read_b32 v2, v2
	s_waitcnt lgkmcnt(0)
	v_add_u32_e32 v12, v12, v2
	s_or_b64 exec, exec, s[80:81]
	s_and_saveexec_b64 s[80:81], s[38:39]
	s_cbranch_execz .LBB128_66
.LBB128_98:                             ;   in Loop: Header=BB128_45 Depth=1
	v_mov_b32_e32 v2, s67
	ds_read_b32 v2, v2
	s_waitcnt lgkmcnt(0)
	v_add_u32_e32 v12, v12, v2
	s_or_b64 exec, exec, s[80:81]
	s_and_saveexec_b64 s[80:81], s[40:41]
	s_cbranch_execz .LBB128_67
.LBB128_99:                             ;   in Loop: Header=BB128_45 Depth=1
	v_mov_b32_e32 v2, s72
	ds_read_b32 v2, v2
	s_waitcnt lgkmcnt(0)
	v_add_u32_e32 v12, v12, v2
	s_or_b64 exec, exec, s[80:81]
	s_and_saveexec_b64 s[80:81], s[42:43]
	s_cbranch_execz .LBB128_68
.LBB128_100:                            ;   in Loop: Header=BB128_45 Depth=1
	v_mov_b32_e32 v2, s73
	ds_read_b32 v2, v2
	s_waitcnt lgkmcnt(0)
	v_add_u32_e32 v12, v12, v2
	s_or_b64 exec, exec, s[80:81]
	s_and_saveexec_b64 s[80:81], s[44:45]
	s_cbranch_execz .LBB128_69
.LBB128_101:                            ;   in Loop: Header=BB128_45 Depth=1
	v_mov_b32_e32 v2, s74
	ds_read_b32 v2, v2
	s_waitcnt lgkmcnt(0)
	v_add_u32_e32 v12, v12, v2
	s_or_b64 exec, exec, s[80:81]
	s_and_saveexec_b64 s[80:81], s[46:47]
	s_cbranch_execz .LBB128_70
.LBB128_102:                            ;   in Loop: Header=BB128_45 Depth=1
	v_mov_b32_e32 v2, s75
	ds_read_b32 v2, v2
	s_waitcnt lgkmcnt(0)
	v_add_u32_e32 v12, v12, v2
	s_or_b64 exec, exec, s[80:81]
	s_and_saveexec_b64 s[80:81], s[48:49]
	s_cbranch_execz .LBB128_71
.LBB128_103:                            ;   in Loop: Header=BB128_45 Depth=1
	v_mov_b32_e32 v2, s33
	ds_read_b32 v2, v2
	s_waitcnt lgkmcnt(0)
	v_add_u32_e32 v12, v12, v2
	s_or_b64 exec, exec, s[80:81]
	s_and_saveexec_b64 s[80:81], s[50:51]
	s_cbranch_execz .LBB128_72
.LBB128_104:                            ;   in Loop: Header=BB128_45 Depth=1
	v_mov_b32_e32 v2, s71
	ds_read_b32 v2, v2
	s_waitcnt lgkmcnt(0)
	v_add_u32_e32 v12, v12, v2
	s_or_b64 exec, exec, s[80:81]
	s_and_saveexec_b64 s[80:81], s[52:53]
	s_cbranch_execz .LBB128_73
.LBB128_105:                            ;   in Loop: Header=BB128_45 Depth=1
	v_mov_b32_e32 v2, s82
	ds_read_b32 v2, v2
	s_waitcnt lgkmcnt(0)
	v_add_u32_e32 v12, v12, v2
	s_or_b64 exec, exec, s[80:81]
	s_and_saveexec_b64 s[80:81], s[54:55]
	s_cbranch_execz .LBB128_74
.LBB128_106:                            ;   in Loop: Header=BB128_45 Depth=1
	v_mov_b32_e32 v2, s83
	ds_read_b32 v2, v2
	s_waitcnt lgkmcnt(0)
	v_add_u32_e32 v12, v12, v2
	s_or_b64 exec, exec, s[80:81]
	s_and_saveexec_b64 s[80:81], s[56:57]
	s_cbranch_execz .LBB128_75
.LBB128_107:                            ;   in Loop: Header=BB128_45 Depth=1
	v_mov_b32_e32 v2, s84
	ds_read_b32 v2, v2
	s_waitcnt lgkmcnt(0)
	v_add_u32_e32 v12, v12, v2
	s_or_b64 exec, exec, s[80:81]
	s_and_saveexec_b64 s[80:81], s[58:59]
	s_cbranch_execz .LBB128_76
.LBB128_108:                            ;   in Loop: Header=BB128_45 Depth=1
	v_mov_b32_e32 v2, s85
	ds_read_b32 v2, v2
	s_waitcnt lgkmcnt(0)
	v_add_u32_e32 v12, v12, v2
	s_or_b64 exec, exec, s[80:81]
	v_ashrrev_i32_e32 v13, 31, v12
	s_and_saveexec_b64 s[80:81], s[64:65]
	s_cbranch_execz .LBB128_77
.LBB128_109:                            ;   in Loop: Header=BB128_45 Depth=1
	v_add3_u32 v2, v6, -1, v12
	v_lshl_add_u32 v2, v2, 3, 0
	v_add_u32_e32 v15, 0x40000, v2
	ds_write_b64 v2, v[8:9]
	ds_write_b64 v15, v[10:11]
	s_or_b64 exec, exec, s[80:81]
	s_and_saveexec_b64 s[64:65], vcc
	s_cbranch_execz .LBB128_44
.LBB128_110:                            ;   in Loop: Header=BB128_45 Depth=1
	v_mov_b32_e32 v2, s86
	ds_write_b64 v2, v[12:13]
	s_branch .LBB128_44
.LBB128_111:
	s_or_b64 exec, exec, s[68:69]
	v_readlane_b32 s0, v29, 4
	v_readlane_b32 s4, v29, 6
	;; [unrolled: 1-line block ×7, first 2 shown]
	s_lshl_b64 s[0:1], s[0:1], 3
	s_mov_b64 s[6:7], s[10:11]
	s_add_u32 s0, s6, s0
	s_addc_u32 s1, s7, s1
	s_load_dwordx4 s[0:3], s[0:1], 0x0
	v_readlane_b32 s5, v29, 7
	v_mov_b32_e32 v1, 0
	v_readlane_b32 s8, v29, 10
	v_readlane_b32 s9, v29, 11
	s_waitcnt lgkmcnt(0)
	s_sub_u32 s4, s2, s0
	s_subb_u32 s5, s3, s1
	v_cmp_gt_i64_e32 vcc, s[4:5], v[0:1]
	s_and_saveexec_b64 s[6:7], vcc
	v_readlane_b32 s16, v29, 14
	v_readlane_b32 s18, v29, 16
	v_readlane_b32 s17, v29, 15
	v_readlane_b32 s19, v29, 17
	s_cbranch_execz .LBB128_121
; %bb.112:
	s_sub_u32 s6, s0, s18
	s_subb_u32 s7, s1, 0
	s_and_b32 s8, s4, 7
	s_sub_u32 s0, s0, s2
	s_mov_b32 s16, 0
	s_subb_u32 s1, s1, s3
	s_mov_b32 s9, s16
	s_and_b32 s2, s4, -8
	v_cmp_lt_u64_e64 s[0:1], s[0:1], -7
	s_cmp_lg_u64 s[8:9], 0
	v_cndmask_b32_e64 v2, 0, 1, s[0:1]
	s_mov_b32 s3, s5
	s_mov_b64 s[10:11], 0
	s_cselect_b64 s[12:13], -1, 0
	v_cmp_ne_u32_e64 s[0:1], 1, v2
	s_branch .LBB128_114
.LBB128_113:                            ;   in Loop: Header=BB128_114 Depth=1
	v_mov_b32_e32 v8, s16
	s_waitcnt lgkmcnt(1)
	v_add_co_u32_e32 v4, vcc, s18, v4
	v_readlane_b32 s20, v29, 0
	v_addc_co_u32_e32 v5, vcc, v5, v8, vcc
	v_lshlrev_b64 v[6:7], 3, v[6:7]
	v_readlane_b32 s21, v29, 1
	v_mov_b32_e32 v9, s21
	v_add_co_u32_e32 v8, vcc, s20, v6
	v_readlane_b32 s22, v29, 2
	v_readlane_b32 s23, v29, 3
	v_addc_co_u32_e32 v9, vcc, v9, v7, vcc
	global_store_dwordx2 v[8:9], v[4:5], off
	v_mov_b32_e32 v5, s23
	v_add_co_u32_e32 v4, vcc, s22, v6
	v_addc_co_u32_e32 v5, vcc, v5, v7, vcc
	v_add_co_u32_e32 v0, vcc, 0x400, v0
	v_addc_co_u32_e32 v1, vcc, 0, v1, vcc
	v_cmp_le_i64_e32 vcc, s[4:5], v[0:1]
	s_or_b64 s[10:11], vcc, s[10:11]
	s_waitcnt lgkmcnt(0)
	global_store_dwordx2 v[4:5], v[2:3], off
	s_andn2_b64 exec, exec, s[10:11]
	s_cbranch_execz .LBB128_121
.LBB128_114:                            ; =>This Loop Header: Depth=1
                                        ;     Child Loop BB128_116 Depth 2
                                        ;     Child Loop BB128_120 Depth 2
	v_lshl_add_u32 v2, v0, 3, 0
	v_add_u32_e32 v3, 0x40000, v2
	ds_read_b64 v[4:5], v2
	ds_read_b64 v[2:3], v3
	s_and_b64 vcc, exec, s[0:1]
	v_pk_mov_b32 v[6:7], s[6:7], s[6:7] op_sel:[0,1]
	s_mov_b64 s[14:15], 0
	s_cbranch_vccnz .LBB128_118
; %bb.115:                              ;   in Loop: Header=BB128_114 Depth=1
	s_mov_b32 s17, 0
	v_pk_mov_b32 v[6:7], s[6:7], s[6:7] op_sel:[0,1]
.LBB128_116:                            ;   Parent Loop BB128_114 Depth=1
                                        ; =>  This Inner Loop Header: Depth=2
	v_mov_b32_e32 v20, s17
	ds_read2_b64 v[8:11], v20 offset1:1
	ds_read2_b64 v[12:15], v20 offset0:2 offset1:3
	ds_read2_b64 v[16:19], v20 offset0:4 offset1:5
	;; [unrolled: 1-line block ×3, first 2 shown]
	s_add_u32 s14, s14, 8
	s_waitcnt lgkmcnt(3)
	v_cmp_gt_i64_e32 vcc, v[4:5], v[8:9]
	v_cndmask_b32_e64 v8, 0, 1, vcc
	v_cmp_gt_i64_e32 vcc, v[4:5], v[10:11]
	v_cndmask_b32_e64 v9, 0, 1, vcc
	s_waitcnt lgkmcnt(2)
	v_cmp_gt_i64_e32 vcc, v[4:5], v[12:13]
	v_cndmask_b32_e64 v10, 0, 1, vcc
	v_cmp_gt_i64_e32 vcc, v[4:5], v[14:15]
	v_cndmask_b32_e64 v11, 0, 1, vcc
	s_waitcnt lgkmcnt(1)
	v_cmp_gt_i64_e32 vcc, v[4:5], v[16:17]
	v_cndmask_b32_e64 v12, 0, 1, vcc
	v_cmp_gt_i64_e32 vcc, v[4:5], v[18:19]
	v_cndmask_b32_e64 v13, 0, 1, vcc
	s_waitcnt lgkmcnt(0)
	v_cmp_gt_i64_e32 vcc, v[4:5], v[20:21]
	v_cndmask_b32_e64 v14, 0, 1, vcc
	v_cmp_gt_i64_e32 vcc, v[4:5], v[22:23]
	v_cndmask_b32_e64 v15, 0, 1, vcc
	v_add_co_u32_e32 v6, vcc, v6, v8
	v_addc_co_u32_e32 v7, vcc, 0, v7, vcc
	v_add_co_u32_e32 v6, vcc, v6, v9
	v_addc_co_u32_e32 v7, vcc, 0, v7, vcc
	;; [unrolled: 2-line block ×7, first 2 shown]
	s_addc_u32 s15, s15, 0
	s_add_i32 s17, s17, 64
	v_add_co_u32_e32 v6, vcc, v6, v15
	s_cmp_eq_u64 s[2:3], s[14:15]
	v_addc_co_u32_e32 v7, vcc, 0, v7, vcc
	s_cbranch_scc0 .LBB128_116
; %bb.117:                              ;   in Loop: Header=BB128_114 Depth=1
	s_mov_b64 s[14:15], s[2:3]
.LBB128_118:                            ;   in Loop: Header=BB128_114 Depth=1
	s_andn2_b64 vcc, exec, s[12:13]
	s_cbranch_vccnz .LBB128_113
; %bb.119:                              ;   in Loop: Header=BB128_114 Depth=1
	s_lshl_b32 s14, s14, 3
	s_add_i32 s17, s14, 0
	s_mov_b64 s[14:15], s[8:9]
.LBB128_120:                            ;   Parent Loop BB128_114 Depth=1
                                        ; =>  This Inner Loop Header: Depth=2
	v_mov_b32_e32 v8, s17
	ds_read_b64 v[8:9], v8
	s_add_i32 s17, s17, 8
	s_add_u32 s14, s14, -1
	s_addc_u32 s15, s15, -1
	s_cmp_lg_u64 s[14:15], 0
	s_waitcnt lgkmcnt(0)
	v_cmp_gt_i64_e32 vcc, v[4:5], v[8:9]
	v_cndmask_b32_e64 v8, 0, 1, vcc
	v_add_co_u32_e32 v6, vcc, v6, v8
	v_addc_co_u32_e32 v7, vcc, 0, v7, vcc
	s_cbranch_scc1 .LBB128_120
	s_branch .LBB128_113
.LBB128_121:
	s_endpgm
	.section	.rodata,"a",@progbits
	.p2align	6, 0x0
	.amdhsa_kernel _ZN9rocsparseL26csrgemm_fill_block_per_rowILj1024ELj64ELj32768ELj137ELj32ElldEEvT5_PKS1_S3_NS_24const_host_device_scalarIT6_EEPKT4_S3_PKS5_S9_S3_SB_S6_S9_S3_SB_S9_PS1_PS5_21rocsparse_index_base_SE_SE_SE_bbb
		.amdhsa_group_segment_fixed_size 0
		.amdhsa_private_segment_fixed_size 0
		.amdhsa_kernarg_size 156
		.amdhsa_user_sgpr_count 6
		.amdhsa_user_sgpr_private_segment_buffer 1
		.amdhsa_user_sgpr_dispatch_ptr 0
		.amdhsa_user_sgpr_queue_ptr 0
		.amdhsa_user_sgpr_kernarg_segment_ptr 1
		.amdhsa_user_sgpr_dispatch_id 0
		.amdhsa_user_sgpr_flat_scratch_init 0
		.amdhsa_user_sgpr_kernarg_preload_length 0
		.amdhsa_user_sgpr_kernarg_preload_offset 0
		.amdhsa_user_sgpr_private_segment_size 0
		.amdhsa_uses_dynamic_stack 0
		.amdhsa_system_sgpr_private_segment_wavefront_offset 0
		.amdhsa_system_sgpr_workgroup_id_x 1
		.amdhsa_system_sgpr_workgroup_id_y 0
		.amdhsa_system_sgpr_workgroup_id_z 0
		.amdhsa_system_sgpr_workgroup_info 0
		.amdhsa_system_vgpr_workitem_id 0
		.amdhsa_next_free_vgpr 30
		.amdhsa_next_free_sgpr 96
		.amdhsa_accum_offset 32
		.amdhsa_reserve_vcc 1
		.amdhsa_reserve_flat_scratch 0
		.amdhsa_float_round_mode_32 0
		.amdhsa_float_round_mode_16_64 0
		.amdhsa_float_denorm_mode_32 3
		.amdhsa_float_denorm_mode_16_64 3
		.amdhsa_dx10_clamp 1
		.amdhsa_ieee_mode 1
		.amdhsa_fp16_overflow 0
		.amdhsa_tg_split 0
		.amdhsa_exception_fp_ieee_invalid_op 0
		.amdhsa_exception_fp_denorm_src 0
		.amdhsa_exception_fp_ieee_div_zero 0
		.amdhsa_exception_fp_ieee_overflow 0
		.amdhsa_exception_fp_ieee_underflow 0
		.amdhsa_exception_fp_ieee_inexact 0
		.amdhsa_exception_int_div_zero 0
	.end_amdhsa_kernel
	.section	.text._ZN9rocsparseL26csrgemm_fill_block_per_rowILj1024ELj64ELj32768ELj137ELj32ElldEEvT5_PKS1_S3_NS_24const_host_device_scalarIT6_EEPKT4_S3_PKS5_S9_S3_SB_S6_S9_S3_SB_S9_PS1_PS5_21rocsparse_index_base_SE_SE_SE_bbb,"axG",@progbits,_ZN9rocsparseL26csrgemm_fill_block_per_rowILj1024ELj64ELj32768ELj137ELj32ElldEEvT5_PKS1_S3_NS_24const_host_device_scalarIT6_EEPKT4_S3_PKS5_S9_S3_SB_S6_S9_S3_SB_S9_PS1_PS5_21rocsparse_index_base_SE_SE_SE_bbb,comdat
.Lfunc_end128:
	.size	_ZN9rocsparseL26csrgemm_fill_block_per_rowILj1024ELj64ELj32768ELj137ELj32ElldEEvT5_PKS1_S3_NS_24const_host_device_scalarIT6_EEPKT4_S3_PKS5_S9_S3_SB_S6_S9_S3_SB_S9_PS1_PS5_21rocsparse_index_base_SE_SE_SE_bbb, .Lfunc_end128-_ZN9rocsparseL26csrgemm_fill_block_per_rowILj1024ELj64ELj32768ELj137ELj32ElldEEvT5_PKS1_S3_NS_24const_host_device_scalarIT6_EEPKT4_S3_PKS5_S9_S3_SB_S6_S9_S3_SB_S9_PS1_PS5_21rocsparse_index_base_SE_SE_SE_bbb
                                        ; -- End function
	.section	.AMDGPU.csdata,"",@progbits
; Kernel info:
; codeLenInByte = 4872
; NumSgprs: 100
; NumVgprs: 30
; NumAgprs: 0
; TotalNumVgprs: 30
; ScratchSize: 0
; MemoryBound: 0
; FloatMode: 240
; IeeeMode: 1
; LDSByteSize: 0 bytes/workgroup (compile time only)
; SGPRBlocks: 12
; VGPRBlocks: 3
; NumSGPRsForWavesPerEU: 100
; NumVGPRsForWavesPerEU: 30
; AccumOffset: 32
; Occupancy: 8
; WaveLimiterHint : 1
; COMPUTE_PGM_RSRC2:SCRATCH_EN: 0
; COMPUTE_PGM_RSRC2:USER_SGPR: 6
; COMPUTE_PGM_RSRC2:TRAP_HANDLER: 0
; COMPUTE_PGM_RSRC2:TGID_X_EN: 1
; COMPUTE_PGM_RSRC2:TGID_Y_EN: 0
; COMPUTE_PGM_RSRC2:TGID_Z_EN: 0
; COMPUTE_PGM_RSRC2:TIDIG_COMP_CNT: 0
; COMPUTE_PGM_RSRC3_GFX90A:ACCUM_OFFSET: 7
; COMPUTE_PGM_RSRC3_GFX90A:TG_SPLIT: 0
	.section	.text._ZN9rocsparseL26csrgemm_fill_block_per_rowILj1024ELj64ELj32768ELj137ELj64ElldEEvT5_PKS1_S3_NS_24const_host_device_scalarIT6_EEPKT4_S3_PKS5_S9_S3_SB_S6_S9_S3_SB_S9_PS1_PS5_21rocsparse_index_base_SE_SE_SE_bbb,"axG",@progbits,_ZN9rocsparseL26csrgemm_fill_block_per_rowILj1024ELj64ELj32768ELj137ELj64ElldEEvT5_PKS1_S3_NS_24const_host_device_scalarIT6_EEPKT4_S3_PKS5_S9_S3_SB_S6_S9_S3_SB_S9_PS1_PS5_21rocsparse_index_base_SE_SE_SE_bbb,comdat
	.globl	_ZN9rocsparseL26csrgemm_fill_block_per_rowILj1024ELj64ELj32768ELj137ELj64ElldEEvT5_PKS1_S3_NS_24const_host_device_scalarIT6_EEPKT4_S3_PKS5_S9_S3_SB_S6_S9_S3_SB_S9_PS1_PS5_21rocsparse_index_base_SE_SE_SE_bbb ; -- Begin function _ZN9rocsparseL26csrgemm_fill_block_per_rowILj1024ELj64ELj32768ELj137ELj64ElldEEvT5_PKS1_S3_NS_24const_host_device_scalarIT6_EEPKT4_S3_PKS5_S9_S3_SB_S6_S9_S3_SB_S9_PS1_PS5_21rocsparse_index_base_SE_SE_SE_bbb
	.p2align	8
	.type	_ZN9rocsparseL26csrgemm_fill_block_per_rowILj1024ELj64ELj32768ELj137ELj64ElldEEvT5_PKS1_S3_NS_24const_host_device_scalarIT6_EEPKT4_S3_PKS5_S9_S3_SB_S6_S9_S3_SB_S9_PS1_PS5_21rocsparse_index_base_SE_SE_SE_bbb,@function
_ZN9rocsparseL26csrgemm_fill_block_per_rowILj1024ELj64ELj32768ELj137ELj64ElldEEvT5_PKS1_S3_NS_24const_host_device_scalarIT6_EEPKT4_S3_PKS5_S9_S3_SB_S6_S9_S3_SB_S9_PS1_PS5_21rocsparse_index_base_SE_SE_SE_bbb: ; @_ZN9rocsparseL26csrgemm_fill_block_per_rowILj1024ELj64ELj32768ELj137ELj64ElldEEvT5_PKS1_S3_NS_24const_host_device_scalarIT6_EEPKT4_S3_PKS5_S9_S3_SB_S6_S9_S3_SB_S9_PS1_PS5_21rocsparse_index_base_SE_SE_SE_bbb
; %bb.0:
	s_load_dword s7, s[4:5], 0x98
	s_load_dwordx4 s[44:47], s[4:5], 0x88
	s_load_dwordx2 s[0:1], s[4:5], 0x18
	s_load_dwordx2 s[24:25], s[4:5], 0x50
	s_waitcnt lgkmcnt(0)
	s_and_b32 s2, 1, s7
	s_bitcmp1_b32 s7, 16
	s_cselect_b64 s[26:27], -1, 0
	s_cmp_eq_u32 s2, 1
	s_cselect_b64 s[22:23], -1, 0
	s_and_b64 s[2:3], s[22:23], exec
	s_cselect_b32 s3, s1, 0
	s_cselect_b32 s2, s0, 0
	s_xor_b64 s[8:9], s[22:23], -1
	s_or_b64 s[8:9], s[8:9], s[26:27]
	s_and_b64 vcc, exec, s[8:9]
	v_pk_mov_b32 v[4:5], s[2:3], s[2:3] op_sel:[0,1]
	s_cbranch_vccnz .LBB129_2
; %bb.1:
	v_pk_mov_b32 v[2:3], s[0:1], s[0:1] op_sel:[0,1]
	flat_load_dwordx2 v[4:5], v[2:3]
.LBB129_2:
	s_load_dwordx4 s[48:51], s[4:5], 0x78
	s_load_dwordx8 s[36:43], s[4:5], 0x58
	s_load_dwordx4 s[0:3], s[4:5], 0x40
	s_load_dwordx4 s[16:19], s[4:5], 0x8
	s_load_dwordx8 s[8:15], s[4:5], 0x20
	s_bitcmp1_b32 s7, 8
	s_cselect_b64 s[20:21], -1, 0
	s_and_b64 s[28:29], s[20:21], exec
	s_cselect_b32 s29, s25, 0
	s_cselect_b32 s28, s24, 0
	s_xor_b64 s[30:31], s[20:21], -1
	s_or_b64 s[26:27], s[30:31], s[26:27]
	s_and_b64 vcc, exec, s[26:27]
	v_pk_mov_b32 v[2:3], s[28:29], s[28:29] op_sel:[0,1]
	s_cbranch_vccnz .LBB129_4
; %bb.3:
	v_pk_mov_b32 v[2:3], s[24:25], s[24:25] op_sel:[0,1]
	flat_load_dwordx2 v[2:3], v[2:3]
.LBB129_4:
	s_load_dwordx2 s[34:35], s[4:5], 0x0
	v_or_b32_e32 v1, 0xfffffc00, v0
	v_mov_b32_e32 v6, 0
	v_lshl_add_u32 v19, v0, 3, 0
	s_mov_b64 s[4:5], 0
	s_waitcnt lgkmcnt(0)
	v_pk_mov_b32 v[8:9], s[34:35], s[34:35] op_sel:[0,1]
	v_mov_b32_e32 v7, v6
	s_movk_i32 s7, 0x7bff
	v_mov_b32_e32 v10, v19
	v_mov_b32_e32 v11, v1
.LBB129_5:                              ; =>This Inner Loop Header: Depth=1
	v_add_u32_e32 v11, 0x400, v11
	v_cmp_lt_u32_e32 vcc, s7, v11
	ds_write_b64 v10, v[8:9]
	v_add_u32_e32 v12, 0x40000, v10
	v_add_u32_e32 v10, 0x2000, v10
	s_or_b64 s[4:5], vcc, s[4:5]
	ds_write_b64 v12, v[6:7]
	s_andn2_b64 exec, exec, s[4:5]
	s_cbranch_execnz .LBB129_5
; %bb.6:
	s_or_b64 exec, exec, s[4:5]
	s_waitcnt lgkmcnt(0)
	s_barrier
	s_load_dwordx2 s[4:5], s[16:17], 0x0
	s_mov_b32 s7, 0
	v_lshrrev_b32_e32 v22, 6, v0
	s_waitcnt lgkmcnt(0)
	s_lshl_b64 s[4:5], s[4:5], 3
	s_add_u32 s16, s18, s4
	s_addc_u32 s17, s19, s5
	s_lshl_b64 s[4:5], s[6:7], 3
	s_add_u32 s4, s16, s4
	s_addc_u32 s5, s17, s5
	s_load_dwordx2 s[52:53], s[4:5], 0x0
	s_and_b64 vcc, exec, s[22:23]
	s_cbranch_vccz .LBB129_26
; %bb.7:
	s_waitcnt lgkmcnt(0)
	s_lshl_b64 s[4:5], s[52:53], 3
	s_add_u32 s4, s8, s4
	s_addc_u32 s5, s9, s5
	s_load_dwordx4 s[16:19], s[4:5], 0x0
	v_subrev_co_u32_e32 v6, vcc, s44, v22
	v_subb_co_u32_e64 v7, s[8:9], 0, 0, vcc
	s_waitcnt lgkmcnt(0)
	s_sub_u32 s4, s18, s44
	v_mov_b32_e32 v8, s17
	v_add_co_u32_e32 v6, vcc, s16, v6
	s_subb_u32 s5, s19, 0
	v_addc_co_u32_e32 v7, vcc, v8, v7, vcc
	v_cmp_gt_i64_e32 vcc, s[4:5], v[6:7]
	s_and_saveexec_b64 s[8:9], vcc
	s_cbranch_execz .LBB129_25
; %bb.8:
	v_and_b32_e32 v8, 63, v0
	v_subrev_co_u32_e32 v23, vcc, s45, v8
	s_mov_b32 s6, 0
	v_subb_co_u32_e64 v24, s[16:17], 0, 0, vcc
	s_mov_b32 s33, s44
	s_mov_b32 s54, s45
	s_mov_b64 s[16:17], 0
	v_mov_b32_e32 v25, s11
	v_mov_b32_e32 v26, s7
	;; [unrolled: 1-line block ×4, first 2 shown]
	s_movk_i32 s11, 0x89
	s_branch .LBB129_10
.LBB129_9:                              ;   in Loop: Header=BB129_10 Depth=1
	s_or_b64 exec, exec, s[6:7]
	v_add_co_u32_e32 v6, vcc, 16, v6
	v_addc_co_u32_e32 v7, vcc, 0, v7, vcc
	v_cmp_le_i64_e32 vcc, s[4:5], v[6:7]
	s_or_b64 s[16:17], vcc, s[16:17]
	s_andn2_b64 exec, exec, s[16:17]
	s_cbranch_execz .LBB129_25
.LBB129_10:                             ; =>This Loop Header: Depth=1
                                        ;     Child Loop BB129_13 Depth 2
                                        ;       Child Loop BB129_15 Depth 3
	v_lshlrev_b64 v[12:13], 3, v[6:7]
	v_add_co_u32_e32 v8, vcc, s10, v12
	v_addc_co_u32_e32 v9, vcc, v25, v13, vcc
	global_load_dwordx2 v[8:9], v[8:9], off
	s_waitcnt vmcnt(0)
	v_subrev_co_u32_e32 v8, vcc, s33, v8
	v_subb_co_u32_e32 v9, vcc, v9, v26, vcc
	v_lshlrev_b64 v[8:9], 3, v[8:9]
	v_add_co_u32_e32 v8, vcc, s14, v8
	v_addc_co_u32_e32 v9, vcc, v27, v9, vcc
	global_load_dwordx4 v[14:17], v[8:9], off
	s_waitcnt vmcnt(0)
	v_subrev_co_u32_e32 v8, vcc, s54, v16
	v_subb_co_u32_e32 v9, vcc, v17, v28, vcc
	v_add_co_u32_e32 v10, vcc, v14, v23
	v_addc_co_u32_e32 v11, vcc, v15, v24, vcc
	v_cmp_lt_i64_e32 vcc, v[10:11], v[8:9]
	s_and_saveexec_b64 s[6:7], vcc
	s_cbranch_execz .LBB129_9
; %bb.11:                               ;   in Loop: Header=BB129_10 Depth=1
	v_mov_b32_e32 v14, s13
	v_add_co_u32_e32 v12, vcc, s12, v12
	v_addc_co_u32_e32 v13, vcc, v14, v13, vcc
	global_load_dwordx2 v[12:13], v[12:13], off
	s_mov_b64 s[18:19], 0
	s_waitcnt vmcnt(0)
	v_mul_f64 v[12:13], v[4:5], v[12:13]
	s_branch .LBB129_13
.LBB129_12:                             ;   in Loop: Header=BB129_13 Depth=2
	s_or_b64 exec, exec, s[22:23]
	v_add_co_u32_e32 v10, vcc, 64, v10
	v_addc_co_u32_e32 v11, vcc, 0, v11, vcc
	v_cmp_ge_i64_e32 vcc, v[10:11], v[8:9]
	s_or_b64 s[18:19], vcc, s[18:19]
	s_andn2_b64 exec, exec, s[18:19]
	s_cbranch_execz .LBB129_9
.LBB129_13:                             ;   Parent Loop BB129_10 Depth=1
                                        ; =>  This Loop Header: Depth=2
                                        ;       Child Loop BB129_15 Depth 3
	v_lshlrev_b64 v[14:15], 3, v[10:11]
	v_mov_b32_e32 v17, s1
	v_add_co_u32_e32 v16, vcc, s0, v14
	v_addc_co_u32_e32 v17, vcc, v17, v15, vcc
	global_load_dwordx2 v[16:17], v[16:17], off
	v_mov_b32_e32 v18, s3
	v_add_co_u32_e32 v14, vcc, s2, v14
	v_addc_co_u32_e32 v15, vcc, v18, v15, vcc
	global_load_dwordx2 v[20:21], v[14:15], off
	s_mov_b64 s[22:23], 0
	s_waitcnt vmcnt(1)
	v_subrev_co_u32_e32 v14, vcc, s54, v16
	v_mul_lo_u32 v18, v14, s11
	v_subb_co_u32_e32 v15, vcc, v17, v28, vcc
	v_and_b32_e32 v18, 0x7fff, v18
	s_waitcnt vmcnt(0)
	v_mul_f64 v[16:17], v[12:13], v[20:21]
	s_branch .LBB129_15
.LBB129_14:                             ;   in Loop: Header=BB129_15 Depth=3
	s_or_b64 exec, exec, s[24:25]
	s_xor_b64 s[24:25], s[26:27], -1
	s_and_b64 s[24:25], exec, s[24:25]
	s_or_b64 s[22:23], s[24:25], s[22:23]
	s_andn2_b64 exec, exec, s[22:23]
	s_cbranch_execz .LBB129_12
.LBB129_15:                             ;   Parent Loop BB129_10 Depth=1
                                        ;     Parent Loop BB129_13 Depth=2
                                        ; =>    This Inner Loop Header: Depth=3
	v_lshl_add_u32 v29, v18, 3, 0
	ds_read_b64 v[20:21], v29
                                        ; implicit-def: $sgpr26_sgpr27
	s_waitcnt lgkmcnt(0)
	v_cmp_ne_u64_e32 vcc, v[20:21], v[14:15]
	s_and_saveexec_b64 s[24:25], vcc
	s_xor_b64 s[24:25], exec, s[24:25]
	s_cbranch_execz .LBB129_23
; %bb.16:                               ;   in Loop: Header=BB129_15 Depth=3
	v_cmp_ne_u64_e32 vcc, s[34:35], v[20:21]
                                        ; implicit-def: $sgpr26_sgpr27
	s_and_saveexec_b64 s[28:29], vcc
	s_xor_b64 s[28:29], exec, s[28:29]
; %bb.17:                               ;   in Loop: Header=BB129_15 Depth=3
	v_add_u32_e32 v18, 1, v18
	v_and_b32_e32 v18, 0x7fff, v18
	s_mov_b64 s[26:27], -1
                                        ; implicit-def: $vgpr29
; %bb.18:                               ;   in Loop: Header=BB129_15 Depth=3
	s_andn2_saveexec_b64 s[28:29], s[28:29]
	s_cbranch_execz .LBB129_22
; %bb.19:                               ;   in Loop: Header=BB129_15 Depth=3
	v_pk_mov_b32 v[20:21], s[34:35], s[34:35] op_sel:[0,1]
	ds_cmpst_rtn_b64 v[20:21], v29, v[20:21], v[14:15]
	s_mov_b64 s[30:31], -1
	s_waitcnt lgkmcnt(0)
	v_cmp_eq_u64_e32 vcc, s[34:35], v[20:21]
	s_and_saveexec_b64 s[44:45], vcc
	s_cbranch_execz .LBB129_21
; %bb.20:                               ;   in Loop: Header=BB129_15 Depth=3
	v_add_u32_e32 v20, 0x40000, v29
	ds_add_f64 v20, v[16:17]
	s_xor_b64 s[30:31], exec, -1
.LBB129_21:                             ;   in Loop: Header=BB129_15 Depth=3
	s_or_b64 exec, exec, s[44:45]
	s_andn2_b64 s[26:27], s[26:27], exec
	s_and_b64 s[30:31], s[30:31], exec
	s_or_b64 s[26:27], s[26:27], s[30:31]
.LBB129_22:                             ;   in Loop: Header=BB129_15 Depth=3
	s_or_b64 exec, exec, s[28:29]
	s_and_b64 s[26:27], s[26:27], exec
                                        ; implicit-def: $vgpr29
.LBB129_23:                             ;   in Loop: Header=BB129_15 Depth=3
	s_andn2_saveexec_b64 s[24:25], s[24:25]
	s_cbranch_execz .LBB129_14
; %bb.24:                               ;   in Loop: Header=BB129_15 Depth=3
	v_add_u32_e32 v20, 0x40000, v29
	ds_add_f64 v20, v[16:17]
	s_andn2_b64 s[26:27], s[26:27], exec
	s_branch .LBB129_14
.LBB129_25:
	s_or_b64 exec, exec, s[8:9]
.LBB129_26:
	s_andn2_b64 vcc, exec, s[20:21]
	s_cbranch_vccnz .LBB129_43
; %bb.27:
	s_waitcnt lgkmcnt(0)
	s_lshl_b64 s[0:1], s[52:53], 3
	s_add_u32 s0, s36, s0
	s_addc_u32 s1, s37, s1
	s_load_dwordx4 s[8:11], s[0:1], 0x0
	s_waitcnt vmcnt(0)
	v_subrev_co_u32_e32 v4, vcc, s47, v0
	v_subb_co_u32_e64 v5, s[2:3], 0, 0, vcc
	s_waitcnt lgkmcnt(0)
	s_sub_u32 s0, s10, s47
	v_mov_b32_e32 v6, s9
	v_add_co_u32_e32 v4, vcc, s8, v4
	s_subb_u32 s1, s11, 0
	v_addc_co_u32_e32 v5, vcc, v6, v5, vcc
	s_mov_b32 s6, 0
	v_cmp_gt_i64_e32 vcc, s[0:1], v[4:5]
	s_and_saveexec_b64 s[2:3], vcc
	s_cbranch_execz .LBB129_42
; %bb.28:
	s_mov_b32 s18, s47
	s_mov_b64 s[4:5], 0
	v_mov_b32_e32 v11, s39
	v_mov_b32_e32 v14, s6
	;; [unrolled: 1-line block ×3, first 2 shown]
	s_movk_i32 s19, 0x89
	s_branch .LBB129_30
.LBB129_29:                             ;   in Loop: Header=BB129_30 Depth=1
	s_or_b64 exec, exec, s[6:7]
	v_add_co_u32_e32 v4, vcc, 0x400, v4
	v_addc_co_u32_e32 v5, vcc, 0, v5, vcc
	v_cmp_le_i64_e32 vcc, s[0:1], v[4:5]
	s_or_b64 s[4:5], vcc, s[4:5]
	s_andn2_b64 exec, exec, s[4:5]
	s_cbranch_execz .LBB129_42
.LBB129_30:                             ; =>This Loop Header: Depth=1
                                        ;     Child Loop BB129_32 Depth 2
	v_lshlrev_b64 v[6:7], 3, v[4:5]
	v_add_co_u32_e32 v8, vcc, s38, v6
	v_addc_co_u32_e32 v9, vcc, v11, v7, vcc
	global_load_dwordx2 v[8:9], v[8:9], off
	v_add_co_u32_e32 v6, vcc, s40, v6
	v_addc_co_u32_e32 v7, vcc, v15, v7, vcc
	global_load_dwordx2 v[12:13], v[6:7], off
	s_mov_b64 s[6:7], 0
	s_waitcnt vmcnt(1)
	v_subrev_co_u32_e32 v6, vcc, s18, v8
	v_mul_lo_u32 v10, v6, s19
	v_subb_co_u32_e32 v7, vcc, v9, v14, vcc
	s_waitcnt vmcnt(0)
	v_mul_f64 v[8:9], v[2:3], v[12:13]
	v_and_b32_e32 v10, 0x7fff, v10
	s_branch .LBB129_32
.LBB129_31:                             ;   in Loop: Header=BB129_32 Depth=2
	s_or_b64 exec, exec, s[8:9]
	s_xor_b64 s[8:9], s[10:11], -1
	s_and_b64 s[8:9], exec, s[8:9]
	s_or_b64 s[6:7], s[8:9], s[6:7]
	s_andn2_b64 exec, exec, s[6:7]
	s_cbranch_execz .LBB129_29
.LBB129_32:                             ;   Parent Loop BB129_30 Depth=1
                                        ; =>  This Inner Loop Header: Depth=2
	v_lshl_add_u32 v16, v10, 3, 0
	ds_read_b64 v[12:13], v16
                                        ; implicit-def: $sgpr10_sgpr11
	s_waitcnt lgkmcnt(0)
	v_cmp_ne_u64_e32 vcc, v[12:13], v[6:7]
	s_and_saveexec_b64 s[8:9], vcc
	s_xor_b64 s[8:9], exec, s[8:9]
	s_cbranch_execz .LBB129_40
; %bb.33:                               ;   in Loop: Header=BB129_32 Depth=2
	v_cmp_ne_u64_e32 vcc, s[34:35], v[12:13]
                                        ; implicit-def: $sgpr10_sgpr11
	s_and_saveexec_b64 s[12:13], vcc
	s_xor_b64 s[12:13], exec, s[12:13]
; %bb.34:                               ;   in Loop: Header=BB129_32 Depth=2
	v_add_u32_e32 v10, 1, v10
	v_and_b32_e32 v10, 0x7fff, v10
	s_mov_b64 s[10:11], -1
                                        ; implicit-def: $vgpr16
; %bb.35:                               ;   in Loop: Header=BB129_32 Depth=2
	s_andn2_saveexec_b64 s[12:13], s[12:13]
	s_cbranch_execz .LBB129_39
; %bb.36:                               ;   in Loop: Header=BB129_32 Depth=2
	v_pk_mov_b32 v[12:13], s[34:35], s[34:35] op_sel:[0,1]
	ds_cmpst_rtn_b64 v[12:13], v16, v[12:13], v[6:7]
	s_mov_b64 s[14:15], -1
	s_waitcnt lgkmcnt(0)
	v_cmp_eq_u64_e32 vcc, s[34:35], v[12:13]
	s_and_saveexec_b64 s[16:17], vcc
	s_cbranch_execz .LBB129_38
; %bb.37:                               ;   in Loop: Header=BB129_32 Depth=2
	v_add_u32_e32 v12, 0x40000, v16
	ds_add_f64 v12, v[8:9]
	s_xor_b64 s[14:15], exec, -1
.LBB129_38:                             ;   in Loop: Header=BB129_32 Depth=2
	s_or_b64 exec, exec, s[16:17]
	s_andn2_b64 s[10:11], s[10:11], exec
	s_and_b64 s[14:15], s[14:15], exec
	s_or_b64 s[10:11], s[10:11], s[14:15]
.LBB129_39:                             ;   in Loop: Header=BB129_32 Depth=2
	s_or_b64 exec, exec, s[12:13]
	s_and_b64 s[10:11], s[10:11], exec
                                        ; implicit-def: $vgpr16
.LBB129_40:                             ;   in Loop: Header=BB129_32 Depth=2
	s_andn2_saveexec_b64 s[8:9], s[8:9]
	s_cbranch_execz .LBB129_31
; %bb.41:                               ;   in Loop: Header=BB129_32 Depth=2
	v_add_u32_e32 v12, 0x40000, v16
	ds_add_f64 v12, v[8:9]
	s_andn2_b64 s[10:11], s[10:11], exec
	s_branch .LBB129_31
.LBB129_42:
	s_or_b64 exec, exec, s[2:3]
.LBB129_43:
	s_waitcnt vmcnt(0)
	v_mbcnt_lo_u32_b32 v2, -1, 0
	v_mbcnt_hi_u32_b32 v2, -1, v2
	v_sub_u32_e32 v2, 63, v2
	s_add_i32 s33, 0, 0x80000
	s_movk_i32 s0, 0x3ff
	s_movk_i32 s2, 0x7f
	;; [unrolled: 1-line block ×15, first 2 shown]
	s_add_i32 s63, 0, 0x80078
	v_mov_b32_e32 v3, 0
	v_lshrrev_b64 v[4:5], v2, -1
	v_lshl_add_u32 v14, v22, 3, s33
	v_cmp_eq_u32_e32 vcc, s0, v0
	v_cmp_lt_u32_e64 s[0:1], 63, v0
	v_cmp_lt_u32_e64 s[2:3], s2, v0
	;; [unrolled: 1-line block ×15, first 2 shown]
	s_mov_b64 s[36:37], 0
	v_pk_mov_b32 v[6:7], 0, 0
	s_add_i32 s40, 0, 0x80008
	s_add_i32 s41, 0, 0x80010
	;; [unrolled: 1-line block ×14, first 2 shown]
	v_mov_b32_e32 v15, s63
	s_movk_i32 s64, 0x7bff
	s_waitcnt lgkmcnt(0)
	s_barrier
	s_branch .LBB129_45
.LBB129_44:                             ;   in Loop: Header=BB129_45 Depth=1
	s_or_b64 exec, exec, s[30:31]
	s_waitcnt lgkmcnt(0)
	s_barrier
	ds_read_b64 v[8:9], v15
	v_add_u32_e32 v1, 0x400, v1
	v_add_u32_e32 v19, 0x2000, v19
	s_waitcnt lgkmcnt(0)
	v_add_co_u32_e64 v6, s[30:31], v8, v6
	v_addc_co_u32_e64 v7, s[30:31], v9, v7, s[30:31]
	v_cmp_lt_u32_e64 s[30:31], s64, v1
	s_or_b64 s[36:37], s[30:31], s[36:37]
	s_andn2_b64 exec, exec, s[36:37]
	s_cbranch_execz .LBB129_79
.LBB129_45:                             ; =>This Inner Loop Header: Depth=1
	ds_read_b64 v[8:9], v19
	v_add_u32_e32 v2, 0x40000, v19
	ds_read_b64 v[10:11], v2
	s_waitcnt lgkmcnt(0)
	s_barrier
	v_cmp_gt_i64_e64 s[30:31], s[34:35], v[8:9]
	v_and_b32_e32 v13, s30, v4
	s_bcnt1_i32_b64 s38, s[30:31]
	v_and_b32_e32 v12, s31, v5
	v_bcnt_u32_b32 v13, v13, 0
	v_mov_b32_e32 v2, s38
	v_bcnt_u32_b32 v12, v12, v13
	ds_write_b64 v14, v[2:3]
	s_waitcnt lgkmcnt(0)
	s_barrier
	s_and_saveexec_b64 s[38:39], s[0:1]
	s_cbranch_execnz .LBB129_62
; %bb.46:                               ;   in Loop: Header=BB129_45 Depth=1
	s_or_b64 exec, exec, s[38:39]
	s_and_saveexec_b64 s[38:39], s[2:3]
	s_cbranch_execnz .LBB129_63
.LBB129_47:                             ;   in Loop: Header=BB129_45 Depth=1
	s_or_b64 exec, exec, s[38:39]
	s_and_saveexec_b64 s[38:39], s[4:5]
	s_cbranch_execnz .LBB129_64
.LBB129_48:                             ;   in Loop: Header=BB129_45 Depth=1
	s_or_b64 exec, exec, s[38:39]
	s_and_saveexec_b64 s[38:39], s[6:7]
	s_cbranch_execnz .LBB129_65
.LBB129_49:                             ;   in Loop: Header=BB129_45 Depth=1
	s_or_b64 exec, exec, s[38:39]
	s_and_saveexec_b64 s[38:39], s[8:9]
	s_cbranch_execnz .LBB129_66
.LBB129_50:                             ;   in Loop: Header=BB129_45 Depth=1
	s_or_b64 exec, exec, s[38:39]
	s_and_saveexec_b64 s[38:39], s[10:11]
	s_cbranch_execnz .LBB129_67
.LBB129_51:                             ;   in Loop: Header=BB129_45 Depth=1
	s_or_b64 exec, exec, s[38:39]
	s_and_saveexec_b64 s[38:39], s[12:13]
	s_cbranch_execnz .LBB129_68
.LBB129_52:                             ;   in Loop: Header=BB129_45 Depth=1
	s_or_b64 exec, exec, s[38:39]
	s_and_saveexec_b64 s[38:39], s[14:15]
	s_cbranch_execnz .LBB129_69
.LBB129_53:                             ;   in Loop: Header=BB129_45 Depth=1
	s_or_b64 exec, exec, s[38:39]
	s_and_saveexec_b64 s[38:39], s[16:17]
	s_cbranch_execnz .LBB129_70
.LBB129_54:                             ;   in Loop: Header=BB129_45 Depth=1
	s_or_b64 exec, exec, s[38:39]
	s_and_saveexec_b64 s[38:39], s[18:19]
	s_cbranch_execnz .LBB129_71
.LBB129_55:                             ;   in Loop: Header=BB129_45 Depth=1
	s_or_b64 exec, exec, s[38:39]
	s_and_saveexec_b64 s[38:39], s[20:21]
	s_cbranch_execnz .LBB129_72
.LBB129_56:                             ;   in Loop: Header=BB129_45 Depth=1
	s_or_b64 exec, exec, s[38:39]
	s_and_saveexec_b64 s[38:39], s[22:23]
	s_cbranch_execnz .LBB129_73
.LBB129_57:                             ;   in Loop: Header=BB129_45 Depth=1
	s_or_b64 exec, exec, s[38:39]
	s_and_saveexec_b64 s[38:39], s[24:25]
	s_cbranch_execnz .LBB129_74
.LBB129_58:                             ;   in Loop: Header=BB129_45 Depth=1
	s_or_b64 exec, exec, s[38:39]
	s_and_saveexec_b64 s[38:39], s[26:27]
	s_cbranch_execnz .LBB129_75
.LBB129_59:                             ;   in Loop: Header=BB129_45 Depth=1
	s_or_b64 exec, exec, s[38:39]
	s_and_saveexec_b64 s[38:39], s[28:29]
	s_cbranch_execnz .LBB129_76
.LBB129_60:                             ;   in Loop: Header=BB129_45 Depth=1
	s_or_b64 exec, exec, s[38:39]
	v_ashrrev_i32_e32 v13, 31, v12
	s_and_saveexec_b64 s[38:39], s[30:31]
	s_cbranch_execnz .LBB129_77
.LBB129_61:                             ;   in Loop: Header=BB129_45 Depth=1
	s_or_b64 exec, exec, s[38:39]
	s_and_saveexec_b64 s[30:31], vcc
	s_cbranch_execz .LBB129_44
	s_branch .LBB129_78
.LBB129_62:                             ;   in Loop: Header=BB129_45 Depth=1
	v_mov_b32_e32 v2, s33
	ds_read_b32 v2, v2
	s_waitcnt lgkmcnt(0)
	v_add_u32_e32 v12, v2, v12
	s_or_b64 exec, exec, s[38:39]
	s_and_saveexec_b64 s[38:39], s[2:3]
	s_cbranch_execz .LBB129_47
.LBB129_63:                             ;   in Loop: Header=BB129_45 Depth=1
	v_mov_b32_e32 v2, s40
	ds_read_b32 v2, v2
	s_waitcnt lgkmcnt(0)
	v_add_u32_e32 v12, v12, v2
	s_or_b64 exec, exec, s[38:39]
	s_and_saveexec_b64 s[38:39], s[4:5]
	s_cbranch_execz .LBB129_48
.LBB129_64:                             ;   in Loop: Header=BB129_45 Depth=1
	v_mov_b32_e32 v2, s41
	ds_read_b32 v2, v2
	s_waitcnt lgkmcnt(0)
	v_add_u32_e32 v12, v12, v2
	s_or_b64 exec, exec, s[38:39]
	s_and_saveexec_b64 s[38:39], s[6:7]
	s_cbranch_execz .LBB129_49
.LBB129_65:                             ;   in Loop: Header=BB129_45 Depth=1
	v_mov_b32_e32 v2, s44
	ds_read_b32 v2, v2
	s_waitcnt lgkmcnt(0)
	v_add_u32_e32 v12, v12, v2
	s_or_b64 exec, exec, s[38:39]
	s_and_saveexec_b64 s[38:39], s[8:9]
	s_cbranch_execz .LBB129_50
.LBB129_66:                             ;   in Loop: Header=BB129_45 Depth=1
	v_mov_b32_e32 v2, s45
	ds_read_b32 v2, v2
	s_waitcnt lgkmcnt(0)
	v_add_u32_e32 v12, v12, v2
	s_or_b64 exec, exec, s[38:39]
	s_and_saveexec_b64 s[38:39], s[10:11]
	s_cbranch_execz .LBB129_51
.LBB129_67:                             ;   in Loop: Header=BB129_45 Depth=1
	v_mov_b32_e32 v2, s47
	ds_read_b32 v2, v2
	s_waitcnt lgkmcnt(0)
	v_add_u32_e32 v12, v12, v2
	s_or_b64 exec, exec, s[38:39]
	s_and_saveexec_b64 s[38:39], s[12:13]
	s_cbranch_execz .LBB129_52
.LBB129_68:                             ;   in Loop: Header=BB129_45 Depth=1
	v_mov_b32_e32 v2, s54
	ds_read_b32 v2, v2
	s_waitcnt lgkmcnt(0)
	v_add_u32_e32 v12, v12, v2
	s_or_b64 exec, exec, s[38:39]
	s_and_saveexec_b64 s[38:39], s[14:15]
	s_cbranch_execz .LBB129_53
.LBB129_69:                             ;   in Loop: Header=BB129_45 Depth=1
	v_mov_b32_e32 v2, s55
	ds_read_b32 v2, v2
	s_waitcnt lgkmcnt(0)
	v_add_u32_e32 v12, v12, v2
	s_or_b64 exec, exec, s[38:39]
	s_and_saveexec_b64 s[38:39], s[16:17]
	s_cbranch_execz .LBB129_54
.LBB129_70:                             ;   in Loop: Header=BB129_45 Depth=1
	v_mov_b32_e32 v2, s56
	ds_read_b32 v2, v2
	s_waitcnt lgkmcnt(0)
	v_add_u32_e32 v12, v12, v2
	s_or_b64 exec, exec, s[38:39]
	s_and_saveexec_b64 s[38:39], s[18:19]
	s_cbranch_execz .LBB129_55
.LBB129_71:                             ;   in Loop: Header=BB129_45 Depth=1
	v_mov_b32_e32 v2, s57
	ds_read_b32 v2, v2
	s_waitcnt lgkmcnt(0)
	v_add_u32_e32 v12, v12, v2
	s_or_b64 exec, exec, s[38:39]
	s_and_saveexec_b64 s[38:39], s[20:21]
	s_cbranch_execz .LBB129_56
.LBB129_72:                             ;   in Loop: Header=BB129_45 Depth=1
	v_mov_b32_e32 v2, s58
	ds_read_b32 v2, v2
	s_waitcnt lgkmcnt(0)
	v_add_u32_e32 v12, v12, v2
	s_or_b64 exec, exec, s[38:39]
	s_and_saveexec_b64 s[38:39], s[22:23]
	s_cbranch_execz .LBB129_57
.LBB129_73:                             ;   in Loop: Header=BB129_45 Depth=1
	v_mov_b32_e32 v2, s59
	ds_read_b32 v2, v2
	s_waitcnt lgkmcnt(0)
	v_add_u32_e32 v12, v12, v2
	s_or_b64 exec, exec, s[38:39]
	s_and_saveexec_b64 s[38:39], s[24:25]
	s_cbranch_execz .LBB129_58
.LBB129_74:                             ;   in Loop: Header=BB129_45 Depth=1
	v_mov_b32_e32 v2, s60
	ds_read_b32 v2, v2
	s_waitcnt lgkmcnt(0)
	v_add_u32_e32 v12, v12, v2
	s_or_b64 exec, exec, s[38:39]
	s_and_saveexec_b64 s[38:39], s[26:27]
	s_cbranch_execz .LBB129_59
.LBB129_75:                             ;   in Loop: Header=BB129_45 Depth=1
	v_mov_b32_e32 v2, s61
	ds_read_b32 v2, v2
	s_waitcnt lgkmcnt(0)
	v_add_u32_e32 v12, v12, v2
	s_or_b64 exec, exec, s[38:39]
	s_and_saveexec_b64 s[38:39], s[28:29]
	s_cbranch_execz .LBB129_60
.LBB129_76:                             ;   in Loop: Header=BB129_45 Depth=1
	v_mov_b32_e32 v2, s62
	ds_read_b32 v2, v2
	s_waitcnt lgkmcnt(0)
	v_add_u32_e32 v12, v12, v2
	s_or_b64 exec, exec, s[38:39]
	v_ashrrev_i32_e32 v13, 31, v12
	s_and_saveexec_b64 s[38:39], s[30:31]
	s_cbranch_execz .LBB129_61
.LBB129_77:                             ;   in Loop: Header=BB129_45 Depth=1
	v_add3_u32 v2, v6, -1, v12
	v_lshl_add_u32 v2, v2, 3, 0
	v_add_u32_e32 v16, 0x40000, v2
	ds_write_b64 v2, v[8:9]
	ds_write_b64 v16, v[10:11]
	s_or_b64 exec, exec, s[38:39]
	s_and_saveexec_b64 s[30:31], vcc
	s_cbranch_execz .LBB129_44
.LBB129_78:                             ;   in Loop: Header=BB129_45 Depth=1
	v_mov_b32_e32 v2, s63
	ds_write_b64 v2, v[12:13]
	s_branch .LBB129_44
.LBB129_79:
	s_or_b64 exec, exec, s[36:37]
	s_lshl_b64 s[0:1], s[52:53], 3
	s_add_u32 s0, s42, s0
	s_addc_u32 s1, s43, s1
	s_load_dwordx4 s[0:3], s[0:1], 0x0
	v_mov_b32_e32 v1, 0
	s_waitcnt lgkmcnt(0)
	s_sub_u32 s4, s2, s0
	s_subb_u32 s5, s3, s1
	v_cmp_gt_i64_e32 vcc, s[4:5], v[0:1]
	s_and_saveexec_b64 s[6:7], vcc
	s_cbranch_execz .LBB129_89
; %bb.80:
	s_sub_u32 s6, s0, s46
	s_subb_u32 s7, s1, 0
	s_and_b32 s8, s4, 7
	s_sub_u32 s0, s0, s2
	s_mov_b32 s16, 0
	s_subb_u32 s1, s1, s3
	s_mov_b32 s9, s16
	s_and_b32 s2, s4, -8
	v_cmp_lt_u64_e64 s[0:1], s[0:1], -7
	s_cmp_lg_u64 s[8:9], 0
	v_cndmask_b32_e64 v2, 0, 1, s[0:1]
	s_mov_b32 s3, s5
	s_mov_b64 s[10:11], 0
	s_cselect_b64 s[12:13], -1, 0
	v_cmp_ne_u32_e64 s[0:1], 1, v2
	s_branch .LBB129_82
.LBB129_81:                             ;   in Loop: Header=BB129_82 Depth=1
	v_mov_b32_e32 v8, s16
	s_waitcnt lgkmcnt(1)
	v_add_co_u32_e32 v4, vcc, s46, v4
	v_addc_co_u32_e32 v5, vcc, v5, v8, vcc
	v_lshlrev_b64 v[6:7], 3, v[6:7]
	v_mov_b32_e32 v9, s49
	v_add_co_u32_e32 v8, vcc, s48, v6
	v_addc_co_u32_e32 v9, vcc, v9, v7, vcc
	global_store_dwordx2 v[8:9], v[4:5], off
	v_mov_b32_e32 v5, s51
	v_add_co_u32_e32 v4, vcc, s50, v6
	v_addc_co_u32_e32 v5, vcc, v5, v7, vcc
	v_add_co_u32_e32 v0, vcc, 0x400, v0
	v_addc_co_u32_e32 v1, vcc, 0, v1, vcc
	v_cmp_le_i64_e32 vcc, s[4:5], v[0:1]
	s_or_b64 s[10:11], vcc, s[10:11]
	s_waitcnt lgkmcnt(0)
	global_store_dwordx2 v[4:5], v[2:3], off
	s_andn2_b64 exec, exec, s[10:11]
	s_cbranch_execz .LBB129_89
.LBB129_82:                             ; =>This Loop Header: Depth=1
                                        ;     Child Loop BB129_84 Depth 2
                                        ;     Child Loop BB129_88 Depth 2
	v_lshl_add_u32 v2, v0, 3, 0
	v_add_u32_e32 v3, 0x40000, v2
	ds_read_b64 v[4:5], v2
	ds_read_b64 v[2:3], v3
	s_and_b64 vcc, exec, s[0:1]
	v_pk_mov_b32 v[6:7], s[6:7], s[6:7] op_sel:[0,1]
	s_mov_b64 s[14:15], 0
	s_cbranch_vccnz .LBB129_86
; %bb.83:                               ;   in Loop: Header=BB129_82 Depth=1
	s_mov_b32 s17, 0
	v_pk_mov_b32 v[6:7], s[6:7], s[6:7] op_sel:[0,1]
.LBB129_84:                             ;   Parent Loop BB129_82 Depth=1
                                        ; =>  This Inner Loop Header: Depth=2
	v_mov_b32_e32 v20, s17
	ds_read2_b64 v[8:11], v20 offset1:1
	ds_read2_b64 v[12:15], v20 offset0:2 offset1:3
	ds_read2_b64 v[16:19], v20 offset0:4 offset1:5
	;; [unrolled: 1-line block ×3, first 2 shown]
	s_add_u32 s14, s14, 8
	s_waitcnt lgkmcnt(3)
	v_cmp_gt_i64_e32 vcc, v[4:5], v[8:9]
	v_cndmask_b32_e64 v8, 0, 1, vcc
	v_cmp_gt_i64_e32 vcc, v[4:5], v[10:11]
	v_cndmask_b32_e64 v9, 0, 1, vcc
	s_waitcnt lgkmcnt(2)
	v_cmp_gt_i64_e32 vcc, v[4:5], v[12:13]
	v_cndmask_b32_e64 v10, 0, 1, vcc
	v_cmp_gt_i64_e32 vcc, v[4:5], v[14:15]
	v_cndmask_b32_e64 v11, 0, 1, vcc
	;; [unrolled: 5-line block ×4, first 2 shown]
	v_add_co_u32_e32 v6, vcc, v6, v8
	v_addc_co_u32_e32 v7, vcc, 0, v7, vcc
	v_add_co_u32_e32 v6, vcc, v6, v9
	v_addc_co_u32_e32 v7, vcc, 0, v7, vcc
	;; [unrolled: 2-line block ×7, first 2 shown]
	s_addc_u32 s15, s15, 0
	s_add_i32 s17, s17, 64
	v_add_co_u32_e32 v6, vcc, v6, v15
	s_cmp_eq_u64 s[2:3], s[14:15]
	v_addc_co_u32_e32 v7, vcc, 0, v7, vcc
	s_cbranch_scc0 .LBB129_84
; %bb.85:                               ;   in Loop: Header=BB129_82 Depth=1
	s_mov_b64 s[14:15], s[2:3]
.LBB129_86:                             ;   in Loop: Header=BB129_82 Depth=1
	s_andn2_b64 vcc, exec, s[12:13]
	s_cbranch_vccnz .LBB129_81
; %bb.87:                               ;   in Loop: Header=BB129_82 Depth=1
	s_lshl_b32 s14, s14, 3
	s_add_i32 s17, s14, 0
	s_mov_b64 s[14:15], s[8:9]
.LBB129_88:                             ;   Parent Loop BB129_82 Depth=1
                                        ; =>  This Inner Loop Header: Depth=2
	v_mov_b32_e32 v8, s17
	ds_read_b64 v[8:9], v8
	s_add_i32 s17, s17, 8
	s_add_u32 s14, s14, -1
	s_addc_u32 s15, s15, -1
	s_cmp_lg_u64 s[14:15], 0
	s_waitcnt lgkmcnt(0)
	v_cmp_gt_i64_e32 vcc, v[4:5], v[8:9]
	v_cndmask_b32_e64 v8, 0, 1, vcc
	v_add_co_u32_e32 v6, vcc, v6, v8
	v_addc_co_u32_e32 v7, vcc, 0, v7, vcc
	s_cbranch_scc1 .LBB129_88
	s_branch .LBB129_81
.LBB129_89:
	s_endpgm
	.section	.rodata,"a",@progbits
	.p2align	6, 0x0
	.amdhsa_kernel _ZN9rocsparseL26csrgemm_fill_block_per_rowILj1024ELj64ELj32768ELj137ELj64ElldEEvT5_PKS1_S3_NS_24const_host_device_scalarIT6_EEPKT4_S3_PKS5_S9_S3_SB_S6_S9_S3_SB_S9_PS1_PS5_21rocsparse_index_base_SE_SE_SE_bbb
		.amdhsa_group_segment_fixed_size 0
		.amdhsa_private_segment_fixed_size 0
		.amdhsa_kernarg_size 156
		.amdhsa_user_sgpr_count 6
		.amdhsa_user_sgpr_private_segment_buffer 1
		.amdhsa_user_sgpr_dispatch_ptr 0
		.amdhsa_user_sgpr_queue_ptr 0
		.amdhsa_user_sgpr_kernarg_segment_ptr 1
		.amdhsa_user_sgpr_dispatch_id 0
		.amdhsa_user_sgpr_flat_scratch_init 0
		.amdhsa_user_sgpr_kernarg_preload_length 0
		.amdhsa_user_sgpr_kernarg_preload_offset 0
		.amdhsa_user_sgpr_private_segment_size 0
		.amdhsa_uses_dynamic_stack 0
		.amdhsa_system_sgpr_private_segment_wavefront_offset 0
		.amdhsa_system_sgpr_workgroup_id_x 1
		.amdhsa_system_sgpr_workgroup_id_y 0
		.amdhsa_system_sgpr_workgroup_id_z 0
		.amdhsa_system_sgpr_workgroup_info 0
		.amdhsa_system_vgpr_workitem_id 0
		.amdhsa_next_free_vgpr 30
		.amdhsa_next_free_sgpr 65
		.amdhsa_accum_offset 32
		.amdhsa_reserve_vcc 1
		.amdhsa_reserve_flat_scratch 0
		.amdhsa_float_round_mode_32 0
		.amdhsa_float_round_mode_16_64 0
		.amdhsa_float_denorm_mode_32 3
		.amdhsa_float_denorm_mode_16_64 3
		.amdhsa_dx10_clamp 1
		.amdhsa_ieee_mode 1
		.amdhsa_fp16_overflow 0
		.amdhsa_tg_split 0
		.amdhsa_exception_fp_ieee_invalid_op 0
		.amdhsa_exception_fp_denorm_src 0
		.amdhsa_exception_fp_ieee_div_zero 0
		.amdhsa_exception_fp_ieee_overflow 0
		.amdhsa_exception_fp_ieee_underflow 0
		.amdhsa_exception_fp_ieee_inexact 0
		.amdhsa_exception_int_div_zero 0
	.end_amdhsa_kernel
	.section	.text._ZN9rocsparseL26csrgemm_fill_block_per_rowILj1024ELj64ELj32768ELj137ELj64ElldEEvT5_PKS1_S3_NS_24const_host_device_scalarIT6_EEPKT4_S3_PKS5_S9_S3_SB_S6_S9_S3_SB_S9_PS1_PS5_21rocsparse_index_base_SE_SE_SE_bbb,"axG",@progbits,_ZN9rocsparseL26csrgemm_fill_block_per_rowILj1024ELj64ELj32768ELj137ELj64ElldEEvT5_PKS1_S3_NS_24const_host_device_scalarIT6_EEPKT4_S3_PKS5_S9_S3_SB_S6_S9_S3_SB_S9_PS1_PS5_21rocsparse_index_base_SE_SE_SE_bbb,comdat
.Lfunc_end129:
	.size	_ZN9rocsparseL26csrgemm_fill_block_per_rowILj1024ELj64ELj32768ELj137ELj64ElldEEvT5_PKS1_S3_NS_24const_host_device_scalarIT6_EEPKT4_S3_PKS5_S9_S3_SB_S6_S9_S3_SB_S9_PS1_PS5_21rocsparse_index_base_SE_SE_SE_bbb, .Lfunc_end129-_ZN9rocsparseL26csrgemm_fill_block_per_rowILj1024ELj64ELj32768ELj137ELj64ElldEEvT5_PKS1_S3_NS_24const_host_device_scalarIT6_EEPKT4_S3_PKS5_S9_S3_SB_S6_S9_S3_SB_S9_PS1_PS5_21rocsparse_index_base_SE_SE_SE_bbb
                                        ; -- End function
	.section	.AMDGPU.csdata,"",@progbits
; Kernel info:
; codeLenInByte = 3388
; NumSgprs: 69
; NumVgprs: 30
; NumAgprs: 0
; TotalNumVgprs: 30
; ScratchSize: 0
; MemoryBound: 0
; FloatMode: 240
; IeeeMode: 1
; LDSByteSize: 0 bytes/workgroup (compile time only)
; SGPRBlocks: 8
; VGPRBlocks: 3
; NumSGPRsForWavesPerEU: 69
; NumVGPRsForWavesPerEU: 30
; AccumOffset: 32
; Occupancy: 8
; WaveLimiterHint : 1
; COMPUTE_PGM_RSRC2:SCRATCH_EN: 0
; COMPUTE_PGM_RSRC2:USER_SGPR: 6
; COMPUTE_PGM_RSRC2:TRAP_HANDLER: 0
; COMPUTE_PGM_RSRC2:TGID_X_EN: 1
; COMPUTE_PGM_RSRC2:TGID_Y_EN: 0
; COMPUTE_PGM_RSRC2:TGID_Z_EN: 0
; COMPUTE_PGM_RSRC2:TIDIG_COMP_CNT: 0
; COMPUTE_PGM_RSRC3_GFX90A:ACCUM_OFFSET: 7
; COMPUTE_PGM_RSRC3_GFX90A:TG_SPLIT: 0
	.section	.text._ZN9rocsparseL36csrgemm_fill_block_per_row_multipassILj512ELj16ELj2048ELj32ElldEEvT4_PKS1_S3_NS_24const_host_device_scalarIT5_EEPKT3_S3_PKS5_S9_S3_SB_S6_S9_S3_SB_S9_PS1_PS5_PS7_21rocsparse_index_base_SF_SF_SF_bbb,"axG",@progbits,_ZN9rocsparseL36csrgemm_fill_block_per_row_multipassILj512ELj16ELj2048ELj32ElldEEvT4_PKS1_S3_NS_24const_host_device_scalarIT5_EEPKT3_S3_PKS5_S9_S3_SB_S6_S9_S3_SB_S9_PS1_PS5_PS7_21rocsparse_index_base_SF_SF_SF_bbb,comdat
	.globl	_ZN9rocsparseL36csrgemm_fill_block_per_row_multipassILj512ELj16ELj2048ELj32ElldEEvT4_PKS1_S3_NS_24const_host_device_scalarIT5_EEPKT3_S3_PKS5_S9_S3_SB_S6_S9_S3_SB_S9_PS1_PS5_PS7_21rocsparse_index_base_SF_SF_SF_bbb ; -- Begin function _ZN9rocsparseL36csrgemm_fill_block_per_row_multipassILj512ELj16ELj2048ELj32ElldEEvT4_PKS1_S3_NS_24const_host_device_scalarIT5_EEPKT3_S3_PKS5_S9_S3_SB_S6_S9_S3_SB_S9_PS1_PS5_PS7_21rocsparse_index_base_SF_SF_SF_bbb
	.p2align	8
	.type	_ZN9rocsparseL36csrgemm_fill_block_per_row_multipassILj512ELj16ELj2048ELj32ElldEEvT4_PKS1_S3_NS_24const_host_device_scalarIT5_EEPKT3_S3_PKS5_S9_S3_SB_S6_S9_S3_SB_S9_PS1_PS5_PS7_21rocsparse_index_base_SF_SF_SF_bbb,@function
_ZN9rocsparseL36csrgemm_fill_block_per_row_multipassILj512ELj16ELj2048ELj32ElldEEvT4_PKS1_S3_NS_24const_host_device_scalarIT5_EEPKT3_S3_PKS5_S9_S3_SB_S6_S9_S3_SB_S9_PS1_PS5_PS7_21rocsparse_index_base_SF_SF_SF_bbb: ; @_ZN9rocsparseL36csrgemm_fill_block_per_row_multipassILj512ELj16ELj2048ELj32ElldEEvT4_PKS1_S3_NS_24const_host_device_scalarIT5_EEPKT3_S3_PKS5_S9_S3_SB_S6_S9_S3_SB_S9_PS1_PS5_PS7_21rocsparse_index_base_SF_SF_SF_bbb
; %bb.0:
	s_load_dword s7, s[4:5], 0xa0
	s_load_dwordx4 s[0:3], s[4:5], 0x8
	s_load_dwordx2 s[10:11], s[4:5], 0x18
	s_load_dwordx4 s[56:59], s[4:5], 0x90
	s_load_dwordx2 s[12:13], s[4:5], 0x50
	s_waitcnt lgkmcnt(0)
	s_and_b32 s8, 1, s7
	s_bitcmp1_b32 s7, 16
	s_cselect_b64 s[14:15], -1, 0
	s_cmp_eq_u32 s8, 1
	s_cselect_b64 s[8:9], -1, 0
	s_and_b64 s[16:17], s[8:9], exec
	s_cselect_b32 s17, s11, 0
	s_cselect_b32 s16, s10, 0
	s_xor_b64 s[18:19], s[8:9], -1
	s_or_b64 s[18:19], s[18:19], s[14:15]
	s_and_b64 vcc, exec, s[18:19]
	v_pk_mov_b32 v[2:3], s[16:17], s[16:17] op_sel:[0,1]
	s_cbranch_vccnz .LBB130_2
; %bb.1:
	v_pk_mov_b32 v[2:3], s[10:11], s[10:11] op_sel:[0,1]
	flat_load_dwordx2 v[2:3], v[2:3]
.LBB130_2:
	s_bitcmp1_b32 s7, 8
	s_load_dwordx2 s[10:11], s[4:5], 0x20
	s_cselect_b64 s[64:65], -1, 0
	s_and_b64 s[16:17], s[64:65], exec
	s_cselect_b32 s17, s13, 0
	s_cselect_b32 s16, s12, 0
	s_xor_b64 s[18:19], s[64:65], -1
	s_or_b64 s[14:15], s[18:19], s[14:15]
	s_and_b64 vcc, exec, s[14:15]
	v_pk_mov_b32 v[4:5], s[16:17], s[16:17] op_sel:[0,1]
	s_cbranch_vccnz .LBB130_4
; %bb.3:
	v_pk_mov_b32 v[4:5], s[12:13], s[12:13] op_sel:[0,1]
	flat_load_dwordx2 v[4:5], v[4:5]
.LBB130_4:
	s_load_dwordx2 s[0:1], s[0:1], 0x0
	s_mov_b32 s7, 0
	v_cndmask_b32_e64 v1, 0, 1, s[8:9]
	s_mov_b64 s[66:67], 0
	s_waitcnt lgkmcnt(0)
	s_lshl_b64 s[0:1], s[0:1], 3
	s_add_u32 s2, s2, s0
	s_addc_u32 s3, s3, s1
	s_lshl_b64 s[0:1], s[6:7], 3
	s_add_u32 s0, s2, s0
	s_addc_u32 s1, s3, s1
	s_load_dwordx2 s[6:7], s[0:1], 0x0
	v_cmp_ne_u32_e64 s[0:1], 1, v1
	s_andn2_b64 vcc, exec, s[8:9]
	s_mov_b64 s[2:3], 0
	s_cbranch_vccz .LBB130_7
; %bb.5:
	s_and_b64 vcc, exec, s[0:1]
	s_cbranch_vccz .LBB130_8
.LBB130_6:
	s_load_dwordx2 s[68:69], s[4:5], 0x0
	s_waitcnt lgkmcnt(0)
	v_cmp_lt_i64_e64 s[0:1], s[68:69], 1
	s_and_b64 vcc, exec, s[0:1]
	s_cbranch_vccz .LBB130_9
	s_branch .LBB130_63
.LBB130_7:
	s_waitcnt lgkmcnt(0)
	s_lshl_b64 s[2:3], s[6:7], 3
	s_add_u32 s2, s10, s2
	s_addc_u32 s3, s11, s3
	s_load_dwordx2 s[2:3], s[2:3], 0x0
	s_waitcnt lgkmcnt(0)
	s_sub_u32 s2, s2, s56
	s_subb_u32 s3, s3, 0
	s_and_b64 vcc, exec, s[0:1]
	s_cbranch_vccnz .LBB130_6
.LBB130_8:
	s_waitcnt lgkmcnt(0)
	s_lshl_b64 s[0:1], s[6:7], 3
	s_add_u32 s0, s10, s0
	s_addc_u32 s1, s11, s1
	s_load_dwordx2 s[0:1], s[0:1], 0x8
	s_waitcnt lgkmcnt(0)
	s_sub_u32 s66, s0, s56
	s_subb_u32 s67, s1, 0
	s_load_dwordx2 s[68:69], s[4:5], 0x0
	s_waitcnt lgkmcnt(0)
	v_cmp_lt_i64_e64 s[0:1], s[68:69], 1
	s_and_b64 vcc, exec, s[0:1]
	s_cbranch_vccnz .LBB130_63
.LBB130_9:
	s_load_dwordx8 s[12:19], s[4:5], 0x58
	s_load_dwordx2 s[70:71], s[4:5], 0x88
	s_load_dwordx4 s[60:63], s[4:5], 0x78
	s_load_dwordx2 s[72:73], s[4:5], 0x48
	s_load_dwordx8 s[48:55], s[4:5], 0x28
	s_lshl_b64 s[4:5], s[6:7], 3
	s_waitcnt lgkmcnt(0)
	s_add_u32 s0, s18, s4
	s_addc_u32 s1, s19, s5
	s_load_dwordx2 s[0:1], s[0:1], 0x0
	v_lshrrev_b32_e32 v1, 4, v0
	v_mov_b32_e32 v7, s3
	v_add_co_u32_e32 v10, vcc, s2, v1
	s_waitcnt lgkmcnt(0)
	s_sub_u32 s38, s0, s58
	s_subb_u32 s39, s1, 0
                                        ; implicit-def: $vgpr48 : SGPR spill to VGPR lane
	v_addc_co_u32_e32 v11, vcc, 0, v7, vcc
	s_add_u32 s40, s12, s4
	v_writelane_b32 v48, s12, 0
	v_cmp_gt_i64_e32 vcc, s[66:67], v[10:11]
	v_writelane_b32 v48, s13, 1
	v_writelane_b32 v48, s14, 2
	s_addc_u32 s41, s13, s5
	s_and_b64 s[46:47], s[8:9], vcc
	v_writelane_b32 v48, s15, 3
	s_add_u32 s91, s52, 8
	v_writelane_b32 v48, s16, 4
	v_mbcnt_lo_u32_b32 v1, -1, 0
	s_addc_u32 s92, s53, 0
	v_writelane_b32 v48, s17, 5
	v_subrev_co_u32_e64 v40, s[4:5], s59, v0
	v_mbcnt_hi_u32_b32 v1, -1, v1
	s_add_u32 s93, s60, -8
	v_writelane_b32 v48, s18, 6
	v_subb_co_u32_e64 v41, s[4:5], 0, 0, s[4:5]
	v_sub_u32_e32 v1, 63, v1
	s_addc_u32 s94, s61, -1
	s_mov_b32 s33, 0
	v_and_b32_e32 v6, 15, v0
	v_mov_b32_e32 v8, 0
	v_writelane_b32 v48, s19, 7
	v_lshrrev_b64 v[12:13], v1, -1
	v_lshrrev_b32_e32 v1, 3, v0
	s_movk_i32 s4, 0x1ff
	s_movk_i32 s10, 0x60
	;; [unrolled: 1-line block ×14, first 2 shown]
	s_add_u32 s95, s62, -8
	v_add_co_u32_e32 v45, vcc, s58, v0
	v_mov_b32_e32 v14, 0x800
	v_cmp_eq_u32_e64 s[0:1], 0, v0
	s_mov_b32 s88, s33
	v_cmp_eq_u32_e64 s[2:3], 15, v6
	s_mov_b32 s89, s59
	s_mov_b32 s90, s33
	v_and_b32_e32 v42, 60, v1
	v_cmp_eq_u32_e64 s[4:5], s4, v0
	v_cmp_gt_u32_e64 s[6:7], 32, v0
	v_cmp_gt_u32_e64 s[8:9], 64, v0
	;; [unrolled: 1-line block ×15, first 2 shown]
	s_addc_u32 s42, s63, -1
	v_or_b32_e32 v43, 0xfffffe00, v0
	v_lshlrev_b32_e32 v44, 3, v0
	v_addc_co_u32_e64 v46, s[44:45], 0, 0, vcc
	s_mov_b64 s[58:59], 0
	v_mov_b32_e32 v15, 0
	v_pk_mov_b32 v[0:1], s[38:39], s[38:39] op_sel:[0,1]
	v_mov_b32_e32 v9, v8
	s_movk_i32 s43, 0x5ff
	v_mov_b32_e32 v47, 1
	s_branch .LBB130_11
.LBB130_10:                             ;   in Loop: Header=BB130_11 Depth=1
	s_or_b64 exec, exec, s[38:39]
	ds_read_b64 v[16:17], v8 offset:18432
	s_waitcnt lgkmcnt(0)
	s_barrier
	v_add_co_u32_e32 v14, vcc, 0x800, v16
	v_addc_co_u32_e32 v15, vcc, 0, v17, vcc
	v_cmp_le_i64_e32 vcc, s[68:69], v[16:17]
	v_readfirstlane_b32 s58, v16
	v_readfirstlane_b32 s59, v17
	s_cbranch_vccnz .LBB130_63
.LBB130_11:                             ; =>This Loop Header: Depth=1
                                        ;     Child Loop BB130_12 Depth 2
                                        ;     Child Loop BB130_18 Depth 2
                                        ;       Child Loop BB130_26 Depth 3
                                        ;     Child Loop BB130_42 Depth 2
                                        ;     Child Loop BB130_54 Depth 2
	;; [unrolled: 1-line block ×3, first 2 shown]
	s_mov_b64 s[38:39], 0
	v_mov_b32_e32 v7, v44
	v_mov_b32_e32 v16, v43
.LBB130_12:                             ;   Parent Loop BB130_11 Depth=1
                                        ; =>  This Inner Loop Header: Depth=2
	ds_write_b8 v16, v8 offset:16896
	ds_write_b64 v7, v[8:9]
	v_add_u32_e32 v16, 0x200, v16
	v_cmp_lt_u32_e32 vcc, s43, v16
	s_or_b64 s[38:39], vcc, s[38:39]
	v_add_u32_e32 v7, 0x1000, v7
	s_andn2_b64 exec, exec, s[38:39]
	s_cbranch_execnz .LBB130_12
; %bb.13:                               ;   in Loop: Header=BB130_11 Depth=1
	s_or_b64 exec, exec, s[38:39]
	s_and_saveexec_b64 s[38:39], s[0:1]
	s_cbranch_execz .LBB130_15
; %bb.14:                               ;   in Loop: Header=BB130_11 Depth=1
	v_pk_mov_b32 v[16:17], s[68:69], s[68:69] op_sel:[0,1]
	ds_write_b64 v8, v[16:17] offset:18432
.LBB130_15:                             ;   in Loop: Header=BB130_11 Depth=1
	s_or_b64 exec, exec, s[38:39]
	v_pk_mov_b32 v[16:17], s[68:69], s[68:69] op_sel:[0,1]
	s_waitcnt lgkmcnt(0)
	s_barrier
	s_and_saveexec_b64 s[60:61], s[46:47]
	s_cbranch_execz .LBB130_38
; %bb.16:                               ;   in Loop: Header=BB130_11 Depth=1
	s_cmp_lg_u64 s[58:59], 0
	s_mov_b64 s[62:63], 0
	s_cselect_b64 s[74:75], -1, 0
	v_pk_mov_b32 v[16:17], s[68:69], s[68:69] op_sel:[0,1]
	v_pk_mov_b32 v[18:19], v[10:11], v[10:11] op_sel:[0,1]
	s_branch .LBB130_18
.LBB130_17:                             ;   in Loop: Header=BB130_18 Depth=2
	s_or_b64 exec, exec, s[38:39]
	v_add_co_u32_e32 v18, vcc, 32, v18
	v_addc_co_u32_e32 v19, vcc, 0, v19, vcc
	v_cmp_le_i64_e32 vcc, s[66:67], v[18:19]
	s_or_b64 s[62:63], vcc, s[62:63]
	s_andn2_b64 exec, exec, s[62:63]
	s_cbranch_execz .LBB130_37
.LBB130_18:                             ;   Parent Loop BB130_11 Depth=1
                                        ; =>  This Loop Header: Depth=2
                                        ;       Child Loop BB130_26 Depth 3
	v_lshlrev_b64 v[20:21], 3, v[18:19]
	v_mov_b32_e32 v7, s49
	v_add_co_u32_e32 v22, vcc, s48, v20
	v_addc_co_u32_e32 v23, vcc, v7, v21, vcc
	global_load_dwordx2 v[24:25], v[22:23], off
	v_mov_b32_e32 v7, s51
	v_add_co_u32_e32 v22, vcc, s50, v20
	v_addc_co_u32_e32 v23, vcc, v7, v21, vcc
	global_load_dwordx2 v[26:27], v[22:23], off
	s_and_b64 vcc, exec, s[74:75]
	s_cbranch_vccz .LBB130_20
; %bb.19:                               ;   in Loop: Header=BB130_18 Depth=2
	v_mov_b32_e32 v7, s71
	v_add_co_u32_e32 v22, vcc, s70, v20
	v_addc_co_u32_e32 v23, vcc, v7, v21, vcc
	global_load_dwordx2 v[22:23], v[22:23], off
	s_mov_b64 s[38:39], 0
	s_branch .LBB130_21
.LBB130_20:                             ;   in Loop: Header=BB130_18 Depth=2
	s_mov_b64 s[38:39], -1
                                        ; implicit-def: $vgpr22_vgpr23
.LBB130_21:                             ;   in Loop: Header=BB130_18 Depth=2
	v_mov_b32_e32 v7, s88
	s_waitcnt vmcnt(0)
	v_subrev_co_u32_e32 v24, vcc, s56, v24
	v_subb_co_u32_e32 v25, vcc, v25, v7, vcc
	s_andn2_b64 vcc, exec, s[38:39]
	v_lshlrev_b64 v[24:25], 3, v[24:25]
	s_cbranch_vccnz .LBB130_23
; %bb.22:                               ;   in Loop: Header=BB130_18 Depth=2
	v_mov_b32_e32 v7, s53
	v_add_co_u32_e32 v22, vcc, s52, v24
	v_addc_co_u32_e32 v23, vcc, v7, v25, vcc
	global_load_dwordx2 v[22:23], v[22:23], off
	v_mov_b32_e32 v7, s33
	s_waitcnt vmcnt(0)
	v_subrev_co_u32_e32 v22, vcc, s57, v22
	v_subb_co_u32_e32 v23, vcc, v23, v7, vcc
.LBB130_23:                             ;   in Loop: Header=BB130_18 Depth=2
	v_mov_b32_e32 v7, s92
	v_add_co_u32_e32 v24, vcc, s91, v24
	v_addc_co_u32_e32 v25, vcc, v7, v25, vcc
	global_load_dwordx2 v[24:25], v[24:25], off
	v_mov_b32_e32 v7, s33
	s_waitcnt vmcnt(0)
	v_subrev_co_u32_e32 v24, vcc, s57, v24
	v_subb_co_u32_e32 v25, vcc, v25, v7, vcc
	v_add_co_u32_e32 v22, vcc, v22, v6
	v_addc_co_u32_e32 v23, vcc, 0, v23, vcc
	v_cmp_lt_i64_e32 vcc, v[22:23], v[24:25]
	s_and_saveexec_b64 s[76:77], vcc
	s_cbranch_execz .LBB130_35
; %bb.24:                               ;   in Loop: Header=BB130_18 Depth=2
	v_lshlrev_b64 v[30:31], 3, v[22:23]
	v_mov_b32_e32 v7, s55
	v_add_co_u32_e32 v28, vcc, s54, v30
	v_addc_co_u32_e32 v29, vcc, v7, v31, vcc
	v_mov_b32_e32 v7, s73
	v_add_co_u32_e32 v30, vcc, s72, v30
	v_mul_f64 v[26:27], v[2:3], v[26:27]
	v_addc_co_u32_e32 v31, vcc, v7, v31, vcc
	s_mov_b64 s[80:81], 0
	v_pk_mov_b32 v[34:35], v[22:23], v[22:23] op_sel:[0,1]
                                        ; implicit-def: $sgpr78_sgpr79
                                        ; implicit-def: $sgpr82_sgpr83
	s_branch .LBB130_26
.LBB130_25:                             ;   in Loop: Header=BB130_26 Depth=3
	s_or_b64 exec, exec, s[84:85]
	s_and_b64 s[38:39], exec, s[86:87]
	s_or_b64 s[80:81], s[38:39], s[80:81]
	s_andn2_b64 s[38:39], s[78:79], exec
	s_and_b64 s[44:45], s[82:83], exec
	s_or_b64 s[78:79], s[38:39], s[44:45]
	v_pk_mov_b32 v[34:35], v[36:37], v[36:37] op_sel:[0,1]
	s_andn2_b64 exec, exec, s[80:81]
	s_cbranch_execz .LBB130_32
.LBB130_26:                             ;   Parent Loop BB130_11 Depth=1
                                        ;     Parent Loop BB130_18 Depth=2
                                        ; =>    This Inner Loop Header: Depth=3
	global_load_dwordx2 v[32:33], v[28:29], off
	v_mov_b32_e32 v7, s33
                                        ; implicit-def: $sgpr84_sgpr85
	s_waitcnt vmcnt(0)
	v_subrev_co_u32_e32 v32, vcc, s57, v32
	v_subb_co_u32_e32 v33, vcc, v33, v7, vcc
	v_cmp_lt_i64_e32 vcc, v[32:33], v[14:15]
	v_cmp_gt_i64_e64 s[38:39], s[58:59], v[32:33]
	s_xor_b64 s[44:45], vcc, -1
	s_or_b64 s[44:45], s[38:39], s[44:45]
	s_mov_b64 s[38:39], 0
	s_and_saveexec_b64 s[86:87], s[44:45]
	s_xor_b64 s[86:87], exec, s[86:87]
; %bb.27:                               ;   in Loop: Header=BB130_26 Depth=3
	s_mov_b64 s[84:85], -1
	s_and_b64 s[38:39], vcc, exec
; %bb.28:                               ;   in Loop: Header=BB130_26 Depth=3
	s_andn2_saveexec_b64 s[86:87], s[86:87]
	s_cbranch_execz .LBB130_30
; %bb.29:                               ;   in Loop: Header=BB130_26 Depth=3
	global_load_dwordx2 v[36:37], v[30:31], off
	v_subrev_u32_e32 v7, s58, v32
	ds_write_b8 v7, v47 offset:16384
	v_lshlrev_b32_e32 v7, 3, v7
	s_or_b64 s[38:39], s[38:39], exec
	s_waitcnt vmcnt(0)
	v_mul_f64 v[36:37], v[26:27], v[36:37]
	ds_add_f64 v7, v[36:37]
.LBB130_30:                             ;   in Loop: Header=BB130_26 Depth=3
	s_or_b64 exec, exec, s[86:87]
	s_andn2_b64 s[44:45], s[82:83], exec
	s_and_b64 s[82:83], s[84:85], exec
	s_mov_b64 s[86:87], -1
	s_or_b64 s[82:83], s[44:45], s[82:83]
	v_pk_mov_b32 v[38:39], v[34:35], v[34:35] op_sel:[0,1]
                                        ; implicit-def: $vgpr36_vgpr37
	s_and_saveexec_b64 s[84:85], s[38:39]
	s_cbranch_execz .LBB130_25
; %bb.31:                               ;   in Loop: Header=BB130_26 Depth=3
	v_add_co_u32_e32 v36, vcc, 16, v34
	v_addc_co_u32_e32 v37, vcc, 0, v35, vcc
	v_add_co_u32_e32 v28, vcc, 0x80, v28
	v_addc_co_u32_e32 v29, vcc, 0, v29, vcc
	;; [unrolled: 2-line block ×3, first 2 shown]
	v_cmp_ge_i64_e32 vcc, v[36:37], v[24:25]
	s_andn2_b64 s[82:83], s[82:83], exec
	s_orn2_b64 s[86:87], vcc, exec
	v_pk_mov_b32 v[38:39], v[34:35], v[34:35] op_sel:[0,1]
	s_branch .LBB130_25
.LBB130_32:                             ;   in Loop: Header=BB130_18 Depth=2
	s_or_b64 exec, exec, s[80:81]
	s_and_saveexec_b64 s[38:39], s[78:79]
	s_xor_b64 s[38:39], exec, s[38:39]
; %bb.33:                               ;   in Loop: Header=BB130_18 Depth=2
	v_cmp_lt_i64_e32 vcc, v[32:33], v[16:17]
	v_cndmask_b32_e32 v17, v17, v33, vcc
	v_cndmask_b32_e32 v16, v16, v32, vcc
	v_pk_mov_b32 v[22:23], v[38:39], v[38:39] op_sel:[0,1]
; %bb.34:                               ;   in Loop: Header=BB130_18 Depth=2
	s_or_b64 exec, exec, s[38:39]
.LBB130_35:                             ;   in Loop: Header=BB130_18 Depth=2
	s_or_b64 exec, exec, s[76:77]
	v_mov_b32_dpp v24, v22 row_shr:1 row_mask:0xf bank_mask:0xf
	v_mov_b32_dpp v25, v23 row_shr:1 row_mask:0xf bank_mask:0xf
	v_cmp_lt_i64_e32 vcc, v[24:25], v[22:23]
	v_cndmask_b32_e32 v23, v23, v25, vcc
	v_cndmask_b32_e32 v22, v22, v24, vcc
	s_nop 0
	v_mov_b32_dpp v25, v23 row_shr:2 row_mask:0xf bank_mask:0xf
	v_mov_b32_dpp v24, v22 row_shr:2 row_mask:0xf bank_mask:0xf
	v_cmp_lt_i64_e32 vcc, v[24:25], v[22:23]
	v_cndmask_b32_e32 v23, v23, v25, vcc
	v_cndmask_b32_e32 v22, v22, v24, vcc
	s_nop 0
	;; [unrolled: 6-line block ×3, first 2 shown]
	v_mov_b32_dpp v25, v23 row_shr:8 row_mask:0xf bank_mask:0xc
	v_mov_b32_dpp v24, v22 row_shr:8 row_mask:0xf bank_mask:0xc
	s_and_saveexec_b64 s[38:39], s[2:3]
	s_cbranch_execz .LBB130_17
; %bb.36:                               ;   in Loop: Header=BB130_18 Depth=2
	v_cmp_lt_i64_e32 vcc, v[24:25], v[22:23]
	v_cndmask_b32_e32 v23, v23, v25, vcc
	v_cndmask_b32_e32 v22, v22, v24, vcc
	v_mov_b32_e32 v7, s71
	v_add_co_u32_e32 v20, vcc, s70, v20
	v_addc_co_u32_e32 v21, vcc, v7, v21, vcc
	global_store_dwordx2 v[20:21], v[22:23], off
	s_branch .LBB130_17
.LBB130_37:                             ;   in Loop: Header=BB130_11 Depth=1
	s_or_b64 exec, exec, s[62:63]
.LBB130_38:                             ;   in Loop: Header=BB130_11 Depth=1
	s_or_b64 exec, exec, s[60:61]
	s_andn2_b64 vcc, exec, s[64:65]
	s_cbranch_vccnz .LBB130_52
; %bb.39:                               ;   in Loop: Header=BB130_11 Depth=1
	s_load_dwordx4 s[60:63], s[40:41], 0x0
	s_waitcnt lgkmcnt(0)
	s_sub_u32 s62, s62, s89
	v_mov_b32_e32 v7, s61
	v_add_co_u32_e32 v18, vcc, s60, v40
	s_subb_u32 s63, s63, 0
	v_addc_co_u32_e32 v19, vcc, v7, v41, vcc
	v_cmp_gt_i64_e32 vcc, s[62:63], v[18:19]
	s_and_saveexec_b64 s[60:61], vcc
	s_cbranch_execz .LBB130_51
; %bb.40:                               ;   in Loop: Header=BB130_11 Depth=1
	v_readlane_b32 s76, v48, 0
	v_readlane_b32 s78, v48, 2
	;; [unrolled: 1-line block ×3, first 2 shown]
	v_lshlrev_b64 v[22:23], 3, v[18:19]
	s_mov_b64 s[74:75], s[78:79]
	v_readlane_b32 s77, v48, 1
	v_readlane_b32 s80, v48, 4
	;; [unrolled: 1-line block ×3, first 2 shown]
	v_mov_b32_e32 v7, s75
	v_add_co_u32_e32 v20, vcc, s74, v22
	s_mov_b64 s[76:77], s[80:81]
	v_addc_co_u32_e32 v21, vcc, v7, v23, vcc
	v_mov_b32_e32 v7, s77
	v_add_co_u32_e32 v22, vcc, s76, v22
	v_addc_co_u32_e32 v23, vcc, v7, v23, vcc
	s_mov_b64 s[74:75], 0
	v_readlane_b32 s82, v48, 6
	v_readlane_b32 s83, v48, 7
                                        ; implicit-def: $sgpr76_sgpr77
                                        ; implicit-def: $sgpr78_sgpr79
	s_branch .LBB130_42
.LBB130_41:                             ;   in Loop: Header=BB130_42 Depth=2
	s_or_b64 exec, exec, s[80:81]
	s_and_b64 s[38:39], exec, s[82:83]
	s_or_b64 s[74:75], s[38:39], s[74:75]
	s_andn2_b64 s[38:39], s[76:77], exec
	s_and_b64 s[44:45], s[78:79], exec
	s_or_b64 s[76:77], s[38:39], s[44:45]
	s_andn2_b64 exec, exec, s[74:75]
	s_cbranch_execz .LBB130_48
.LBB130_42:                             ;   Parent Loop BB130_11 Depth=1
                                        ; =>  This Inner Loop Header: Depth=2
	global_load_dwordx2 v[24:25], v[20:21], off
	v_mov_b32_e32 v7, s90
                                        ; implicit-def: $sgpr80_sgpr81
	s_waitcnt vmcnt(0)
	v_subrev_co_u32_e32 v24, vcc, s89, v24
	v_subb_co_u32_e32 v25, vcc, v25, v7, vcc
	v_cmp_lt_i64_e32 vcc, v[24:25], v[14:15]
	v_cmp_gt_i64_e64 s[38:39], s[58:59], v[24:25]
	s_xor_b64 s[44:45], vcc, -1
	s_or_b64 s[44:45], s[38:39], s[44:45]
	s_mov_b64 s[38:39], 0
	s_and_saveexec_b64 s[82:83], s[44:45]
	s_xor_b64 s[82:83], exec, s[82:83]
; %bb.43:                               ;   in Loop: Header=BB130_42 Depth=2
	s_mov_b64 s[80:81], -1
	s_and_b64 s[38:39], vcc, exec
; %bb.44:                               ;   in Loop: Header=BB130_42 Depth=2
	s_andn2_saveexec_b64 s[82:83], s[82:83]
	s_cbranch_execz .LBB130_46
; %bb.45:                               ;   in Loop: Header=BB130_42 Depth=2
	global_load_dwordx2 v[26:27], v[22:23], off
	v_subrev_u32_e32 v7, s58, v24
	ds_write_b8 v7, v47 offset:16384
	v_lshlrev_b32_e32 v7, 3, v7
	s_or_b64 s[38:39], s[38:39], exec
	s_waitcnt vmcnt(0)
	v_mul_f64 v[26:27], v[4:5], v[26:27]
	ds_add_f64 v7, v[26:27]
.LBB130_46:                             ;   in Loop: Header=BB130_42 Depth=2
	s_or_b64 exec, exec, s[82:83]
	s_andn2_b64 s[44:45], s[78:79], exec
	s_and_b64 s[78:79], s[80:81], exec
	s_mov_b64 s[82:83], -1
	s_or_b64 s[78:79], s[44:45], s[78:79]
	s_and_saveexec_b64 s[80:81], s[38:39]
	s_cbranch_execz .LBB130_41
; %bb.47:                               ;   in Loop: Header=BB130_42 Depth=2
	v_add_co_u32_e32 v18, vcc, 0x200, v18
	v_addc_co_u32_e32 v19, vcc, 0, v19, vcc
	v_add_co_u32_e32 v20, vcc, 0x1000, v20
	v_addc_co_u32_e32 v21, vcc, 0, v21, vcc
	v_add_co_u32_e32 v22, vcc, 0x1000, v22
	v_addc_co_u32_e32 v23, vcc, 0, v23, vcc
	v_cmp_le_i64_e32 vcc, s[62:63], v[18:19]
	s_andn2_b64 s[78:79], s[78:79], exec
	s_orn2_b64 s[82:83], vcc, exec
	s_branch .LBB130_41
.LBB130_48:                             ;   in Loop: Header=BB130_11 Depth=1
	s_or_b64 exec, exec, s[74:75]
	s_and_saveexec_b64 s[38:39], s[76:77]
	s_xor_b64 s[38:39], exec, s[38:39]
; %bb.49:                               ;   in Loop: Header=BB130_11 Depth=1
	v_cmp_lt_i64_e32 vcc, v[24:25], v[16:17]
	v_cndmask_b32_e32 v17, v17, v25, vcc
	v_cndmask_b32_e32 v16, v16, v24, vcc
; %bb.50:                               ;   in Loop: Header=BB130_11 Depth=1
	s_or_b64 exec, exec, s[38:39]
.LBB130_51:                             ;   in Loop: Header=BB130_11 Depth=1
	s_or_b64 exec, exec, s[60:61]
.LBB130_52:                             ;   in Loop: Header=BB130_11 Depth=1
	v_mov_b32_dpp v14, v16 row_shr:1 row_mask:0xf bank_mask:0xf
	v_mov_b32_dpp v15, v17 row_shr:1 row_mask:0xf bank_mask:0xf
	v_cmp_lt_i64_e32 vcc, v[14:15], v[16:17]
	v_cndmask_b32_e32 v15, v17, v15, vcc
	v_cndmask_b32_e32 v14, v16, v14, vcc
	s_nop 0
	v_mov_b32_dpp v17, v15 row_shr:2 row_mask:0xf bank_mask:0xf
	v_mov_b32_dpp v16, v14 row_shr:2 row_mask:0xf bank_mask:0xf
	v_cmp_lt_i64_e32 vcc, v[16:17], v[14:15]
	v_cndmask_b32_e32 v15, v15, v17, vcc
	v_cndmask_b32_e32 v14, v14, v16, vcc
	s_nop 0
	;; [unrolled: 6-line block ×3, first 2 shown]
	v_mov_b32_dpp v17, v15 row_shr:8 row_mask:0xf bank_mask:0xc
	v_mov_b32_dpp v16, v14 row_shr:8 row_mask:0xf bank_mask:0xc
	s_and_saveexec_b64 s[38:39], s[2:3]
	s_cbranch_execz .LBB130_57
; %bb.53:                               ;   in Loop: Header=BB130_11 Depth=1
	v_cmp_lt_i64_e32 vcc, v[16:17], v[14:15]
	s_mov_b64 s[62:63], exec
	v_cndmask_b32_e32 v7, v15, v17, vcc
	v_cndmask_b32_e32 v14, v14, v16, vcc
	s_mov_b64 s[60:61], -1
.LBB130_54:                             ;   Parent Loop BB130_11 Depth=1
                                        ; =>  This Inner Loop Header: Depth=2
	s_ff1_i32_b64 s74, s[62:63]
	v_readlane_b32 s75, v7, s74
	v_readlane_b32 s76, v14, s74
	v_mov_b32_e32 v16, s76
	v_mov_b32_e32 v17, s75
	v_cmp_lt_u64_e32 vcc, s[60:61], v[16:17]
	s_and_b64 s[44:45], vcc, exec
	s_cselect_b32 s61, s61, s75
	s_cselect_b32 s60, s60, s76
	s_lshl_b64 s[44:45], 1, s74
	s_andn2_b64 s[62:63], s[62:63], s[44:45]
	s_cmp_lg_u64 s[62:63], 0
	s_cbranch_scc1 .LBB130_54
; %bb.55:                               ;   in Loop: Header=BB130_11 Depth=1
	v_mbcnt_lo_u32_b32 v7, exec_lo, 0
	v_mbcnt_hi_u32_b32 v7, exec_hi, v7
	v_cmp_eq_u32_e32 vcc, 0, v7
	s_and_saveexec_b64 s[44:45], vcc
	s_xor_b64 s[44:45], exec, s[44:45]
	s_cbranch_execz .LBB130_57
; %bb.56:                               ;   in Loop: Header=BB130_11 Depth=1
	v_pk_mov_b32 v[14:15], s[60:61], s[60:61] op_sel:[0,1]
	ds_min_u64 v8, v[14:15] offset:18432
.LBB130_57:                             ;   in Loop: Header=BB130_11 Depth=1
	s_or_b64 exec, exec, s[38:39]
	v_mov_b32_e32 v7, s59
	v_add_co_u32_e32 v14, vcc, s58, v45
	v_addc_co_u32_e32 v15, vcc, v46, v7, vcc
	s_mov_b64 s[38:39], 0
	v_mov_b32_e32 v7, v44
	v_mov_b32_e32 v18, v43
	s_waitcnt lgkmcnt(0)
	s_barrier
	s_branch .LBB130_59
.LBB130_58:                             ;   in Loop: Header=BB130_59 Depth=2
	s_or_b64 exec, exec, s[58:59]
	s_waitcnt lgkmcnt(0)
	s_barrier
	ds_read_b32 v16, v8 offset:60
	v_add_u32_e32 v18, 0x200, v18
	v_add_u32_e32 v7, 0x1000, v7
	s_waitcnt lgkmcnt(0)
	v_ashrrev_i32_e32 v17, 31, v16
	v_add_co_u32_e32 v0, vcc, v0, v16
	v_addc_co_u32_e32 v1, vcc, v1, v17, vcc
	v_add_co_u32_e32 v14, vcc, 0x200, v14
	v_addc_co_u32_e32 v15, vcc, 0, v15, vcc
	v_cmp_lt_u32_e32 vcc, s43, v18
	s_or_b64 s[38:39], vcc, s[38:39]
	s_andn2_b64 exec, exec, s[38:39]
	s_cbranch_execz .LBB130_10
.LBB130_59:                             ;   Parent Loop BB130_11 Depth=1
                                        ; =>  This Inner Loop Header: Depth=2
	ds_read_u8 v35, v18 offset:16896
	ds_read_b64 v[16:17], v7
	s_waitcnt lgkmcnt(0)
	s_barrier
	v_cmp_ne_u16_e32 vcc, 0, v35
	s_bcnt1_i32_b64 s44, vcc
	v_and_b32_e32 v20, vcc_lo, v12
	v_bcnt_u32_b32 v24, v20, 0
	v_mov_b32_e32 v20, s44
	ds_write_b32 v42, v20
	s_waitcnt lgkmcnt(0)
	s_barrier
	ds_read_b128 v[20:23], v8
	v_and_b32_e32 v19, vcc_hi, v13
	v_bcnt_u32_b32 v19, v19, v24
	ds_read_b128 v[24:27], v8 offset:16
	ds_read_b128 v[28:31], v8 offset:32
	ds_read_b96 v[32:34], v8 offset:48
	s_waitcnt lgkmcnt(0)
	v_cndmask_b32_e64 v20, v20, 0, s[6:7]
	v_add_u32_e32 v19, v20, v19
	v_cndmask_b32_e64 v20, v21, 0, s[8:9]
	v_cndmask_b32_e64 v21, v22, 0, s[10:11]
	v_add3_u32 v19, v19, v20, v21
	v_cndmask_b32_e64 v20, v23, 0, s[12:13]
	v_cndmask_b32_e64 v21, v24, 0, s[14:15]
	v_add3_u32 v19, v19, v20, v21
	;; [unrolled: 3-line block ×7, first 2 shown]
	v_and_b32_e32 v20, 1, v35
	v_cmp_eq_u32_e32 vcc, 1, v20
	s_and_saveexec_b64 s[58:59], vcc
	s_cbranch_execz .LBB130_61
; %bb.60:                               ;   in Loop: Header=BB130_59 Depth=2
	v_ashrrev_i32_e32 v21, 31, v19
	v_add_co_u32_e32 v20, vcc, v0, v19
	v_addc_co_u32_e32 v21, vcc, v1, v21, vcc
	v_lshlrev_b64 v[20:21], 3, v[20:21]
	v_mov_b32_e32 v23, s94
	v_add_co_u32_e32 v22, vcc, s93, v20
	v_addc_co_u32_e32 v23, vcc, v23, v21, vcc
	global_store_dwordx2 v[22:23], v[14:15], off
	v_mov_b32_e32 v22, s42
	v_add_co_u32_e32 v20, vcc, s95, v20
	v_addc_co_u32_e32 v21, vcc, v22, v21, vcc
	global_store_dwordx2 v[20:21], v[16:17], off
.LBB130_61:                             ;   in Loop: Header=BB130_59 Depth=2
	s_or_b64 exec, exec, s[58:59]
	s_and_saveexec_b64 s[58:59], s[4:5]
	s_cbranch_execz .LBB130_58
; %bb.62:                               ;   in Loop: Header=BB130_59 Depth=2
	ds_write_b32 v8, v19 offset:60
	s_branch .LBB130_58
.LBB130_63:
	s_endpgm
	.section	.rodata,"a",@progbits
	.p2align	6, 0x0
	.amdhsa_kernel _ZN9rocsparseL36csrgemm_fill_block_per_row_multipassILj512ELj16ELj2048ELj32ElldEEvT4_PKS1_S3_NS_24const_host_device_scalarIT5_EEPKT3_S3_PKS5_S9_S3_SB_S6_S9_S3_SB_S9_PS1_PS5_PS7_21rocsparse_index_base_SF_SF_SF_bbb
		.amdhsa_group_segment_fixed_size 18440
		.amdhsa_private_segment_fixed_size 0
		.amdhsa_kernarg_size 164
		.amdhsa_user_sgpr_count 6
		.amdhsa_user_sgpr_private_segment_buffer 1
		.amdhsa_user_sgpr_dispatch_ptr 0
		.amdhsa_user_sgpr_queue_ptr 0
		.amdhsa_user_sgpr_kernarg_segment_ptr 1
		.amdhsa_user_sgpr_dispatch_id 0
		.amdhsa_user_sgpr_flat_scratch_init 0
		.amdhsa_user_sgpr_kernarg_preload_length 0
		.amdhsa_user_sgpr_kernarg_preload_offset 0
		.amdhsa_user_sgpr_private_segment_size 0
		.amdhsa_uses_dynamic_stack 0
		.amdhsa_system_sgpr_private_segment_wavefront_offset 0
		.amdhsa_system_sgpr_workgroup_id_x 1
		.amdhsa_system_sgpr_workgroup_id_y 0
		.amdhsa_system_sgpr_workgroup_id_z 0
		.amdhsa_system_sgpr_workgroup_info 0
		.amdhsa_system_vgpr_workitem_id 0
		.amdhsa_next_free_vgpr 49
		.amdhsa_next_free_sgpr 96
		.amdhsa_accum_offset 52
		.amdhsa_reserve_vcc 1
		.amdhsa_reserve_flat_scratch 0
		.amdhsa_float_round_mode_32 0
		.amdhsa_float_round_mode_16_64 0
		.amdhsa_float_denorm_mode_32 3
		.amdhsa_float_denorm_mode_16_64 3
		.amdhsa_dx10_clamp 1
		.amdhsa_ieee_mode 1
		.amdhsa_fp16_overflow 0
		.amdhsa_tg_split 0
		.amdhsa_exception_fp_ieee_invalid_op 0
		.amdhsa_exception_fp_denorm_src 0
		.amdhsa_exception_fp_ieee_div_zero 0
		.amdhsa_exception_fp_ieee_overflow 0
		.amdhsa_exception_fp_ieee_underflow 0
		.amdhsa_exception_fp_ieee_inexact 0
		.amdhsa_exception_int_div_zero 0
	.end_amdhsa_kernel
	.section	.text._ZN9rocsparseL36csrgemm_fill_block_per_row_multipassILj512ELj16ELj2048ELj32ElldEEvT4_PKS1_S3_NS_24const_host_device_scalarIT5_EEPKT3_S3_PKS5_S9_S3_SB_S6_S9_S3_SB_S9_PS1_PS5_PS7_21rocsparse_index_base_SF_SF_SF_bbb,"axG",@progbits,_ZN9rocsparseL36csrgemm_fill_block_per_row_multipassILj512ELj16ELj2048ELj32ElldEEvT4_PKS1_S3_NS_24const_host_device_scalarIT5_EEPKT3_S3_PKS5_S9_S3_SB_S6_S9_S3_SB_S9_PS1_PS5_PS7_21rocsparse_index_base_SF_SF_SF_bbb,comdat
.Lfunc_end130:
	.size	_ZN9rocsparseL36csrgemm_fill_block_per_row_multipassILj512ELj16ELj2048ELj32ElldEEvT4_PKS1_S3_NS_24const_host_device_scalarIT5_EEPKT3_S3_PKS5_S9_S3_SB_S6_S9_S3_SB_S9_PS1_PS5_PS7_21rocsparse_index_base_SF_SF_SF_bbb, .Lfunc_end130-_ZN9rocsparseL36csrgemm_fill_block_per_row_multipassILj512ELj16ELj2048ELj32ElldEEvT4_PKS1_S3_NS_24const_host_device_scalarIT5_EEPKT3_S3_PKS5_S9_S3_SB_S6_S9_S3_SB_S9_PS1_PS5_PS7_21rocsparse_index_base_SF_SF_SF_bbb
                                        ; -- End function
	.section	.AMDGPU.csdata,"",@progbits
; Kernel info:
; codeLenInByte = 3088
; NumSgprs: 100
; NumVgprs: 49
; NumAgprs: 0
; TotalNumVgprs: 49
; ScratchSize: 0
; MemoryBound: 0
; FloatMode: 240
; IeeeMode: 1
; LDSByteSize: 18440 bytes/workgroup (compile time only)
; SGPRBlocks: 12
; VGPRBlocks: 6
; NumSGPRsForWavesPerEU: 100
; NumVGPRsForWavesPerEU: 49
; AccumOffset: 52
; Occupancy: 6
; WaveLimiterHint : 1
; COMPUTE_PGM_RSRC2:SCRATCH_EN: 0
; COMPUTE_PGM_RSRC2:USER_SGPR: 6
; COMPUTE_PGM_RSRC2:TRAP_HANDLER: 0
; COMPUTE_PGM_RSRC2:TGID_X_EN: 1
; COMPUTE_PGM_RSRC2:TGID_Y_EN: 0
; COMPUTE_PGM_RSRC2:TGID_Z_EN: 0
; COMPUTE_PGM_RSRC2:TIDIG_COMP_CNT: 0
; COMPUTE_PGM_RSRC3_GFX90A:ACCUM_OFFSET: 12
; COMPUTE_PGM_RSRC3_GFX90A:TG_SPLIT: 0
	.section	.text._ZN9rocsparseL36csrgemm_fill_block_per_row_multipassILj512ELj16ELj2048ELj64ElldEEvT4_PKS1_S3_NS_24const_host_device_scalarIT5_EEPKT3_S3_PKS5_S9_S3_SB_S6_S9_S3_SB_S9_PS1_PS5_PS7_21rocsparse_index_base_SF_SF_SF_bbb,"axG",@progbits,_ZN9rocsparseL36csrgemm_fill_block_per_row_multipassILj512ELj16ELj2048ELj64ElldEEvT4_PKS1_S3_NS_24const_host_device_scalarIT5_EEPKT3_S3_PKS5_S9_S3_SB_S6_S9_S3_SB_S9_PS1_PS5_PS7_21rocsparse_index_base_SF_SF_SF_bbb,comdat
	.globl	_ZN9rocsparseL36csrgemm_fill_block_per_row_multipassILj512ELj16ELj2048ELj64ElldEEvT4_PKS1_S3_NS_24const_host_device_scalarIT5_EEPKT3_S3_PKS5_S9_S3_SB_S6_S9_S3_SB_S9_PS1_PS5_PS7_21rocsparse_index_base_SF_SF_SF_bbb ; -- Begin function _ZN9rocsparseL36csrgemm_fill_block_per_row_multipassILj512ELj16ELj2048ELj64ElldEEvT4_PKS1_S3_NS_24const_host_device_scalarIT5_EEPKT3_S3_PKS5_S9_S3_SB_S6_S9_S3_SB_S9_PS1_PS5_PS7_21rocsparse_index_base_SF_SF_SF_bbb
	.p2align	8
	.type	_ZN9rocsparseL36csrgemm_fill_block_per_row_multipassILj512ELj16ELj2048ELj64ElldEEvT4_PKS1_S3_NS_24const_host_device_scalarIT5_EEPKT3_S3_PKS5_S9_S3_SB_S6_S9_S3_SB_S9_PS1_PS5_PS7_21rocsparse_index_base_SF_SF_SF_bbb,@function
_ZN9rocsparseL36csrgemm_fill_block_per_row_multipassILj512ELj16ELj2048ELj64ElldEEvT4_PKS1_S3_NS_24const_host_device_scalarIT5_EEPKT3_S3_PKS5_S9_S3_SB_S6_S9_S3_SB_S9_PS1_PS5_PS7_21rocsparse_index_base_SF_SF_SF_bbb: ; @_ZN9rocsparseL36csrgemm_fill_block_per_row_multipassILj512ELj16ELj2048ELj64ElldEEvT4_PKS1_S3_NS_24const_host_device_scalarIT5_EEPKT3_S3_PKS5_S9_S3_SB_S6_S9_S3_SB_S9_PS1_PS5_PS7_21rocsparse_index_base_SF_SF_SF_bbb
; %bb.0:
	s_load_dword s7, s[4:5], 0xa0
	s_load_dwordx4 s[0:3], s[4:5], 0x8
	s_load_dwordx2 s[10:11], s[4:5], 0x18
	s_load_dwordx4 s[28:31], s[4:5], 0x90
	s_load_dwordx2 s[12:13], s[4:5], 0x50
	s_waitcnt lgkmcnt(0)
	s_and_b32 s8, 1, s7
	s_bitcmp1_b32 s7, 16
	s_cselect_b64 s[14:15], -1, 0
	s_cmp_eq_u32 s8, 1
	s_cselect_b64 s[8:9], -1, 0
	s_and_b64 s[16:17], s[8:9], exec
	s_cselect_b32 s17, s11, 0
	s_cselect_b32 s16, s10, 0
	s_xor_b64 s[18:19], s[8:9], -1
	s_or_b64 s[18:19], s[18:19], s[14:15]
	s_and_b64 vcc, exec, s[18:19]
	v_pk_mov_b32 v[2:3], s[16:17], s[16:17] op_sel:[0,1]
	s_cbranch_vccnz .LBB131_2
; %bb.1:
	v_pk_mov_b32 v[2:3], s[10:11], s[10:11] op_sel:[0,1]
	flat_load_dwordx2 v[2:3], v[2:3]
.LBB131_2:
	s_bitcmp1_b32 s7, 8
	s_load_dwordx2 s[10:11], s[4:5], 0x20
	s_cselect_b64 s[34:35], -1, 0
	s_and_b64 s[16:17], s[34:35], exec
	s_cselect_b32 s17, s13, 0
	s_cselect_b32 s16, s12, 0
	s_xor_b64 s[18:19], s[34:35], -1
	s_or_b64 s[14:15], s[18:19], s[14:15]
	s_and_b64 vcc, exec, s[14:15]
	v_pk_mov_b32 v[4:5], s[16:17], s[16:17] op_sel:[0,1]
	s_cbranch_vccnz .LBB131_4
; %bb.3:
	v_pk_mov_b32 v[4:5], s[12:13], s[12:13] op_sel:[0,1]
	flat_load_dwordx2 v[4:5], v[4:5]
.LBB131_4:
	s_load_dwordx2 s[0:1], s[0:1], 0x0
	s_mov_b32 s7, 0
	v_cndmask_b32_e64 v1, 0, 1, s[8:9]
	s_mov_b64 s[48:49], 0
	s_waitcnt lgkmcnt(0)
	s_lshl_b64 s[0:1], s[0:1], 3
	s_add_u32 s2, s2, s0
	s_addc_u32 s3, s3, s1
	s_lshl_b64 s[0:1], s[6:7], 3
	s_add_u32 s0, s2, s0
	s_addc_u32 s1, s3, s1
	s_load_dwordx2 s[6:7], s[0:1], 0x0
	v_cmp_ne_u32_e64 s[0:1], 1, v1
	s_andn2_b64 vcc, exec, s[8:9]
	s_mov_b64 s[2:3], 0
	s_cbranch_vccz .LBB131_7
; %bb.5:
	s_and_b64 vcc, exec, s[0:1]
	s_cbranch_vccz .LBB131_8
.LBB131_6:
	s_load_dwordx2 s[50:51], s[4:5], 0x0
	s_waitcnt lgkmcnt(0)
	v_cmp_lt_i64_e64 s[0:1], s[50:51], 1
	s_and_b64 vcc, exec, s[0:1]
	s_cbranch_vccz .LBB131_9
	s_branch .LBB131_63
.LBB131_7:
	s_waitcnt lgkmcnt(0)
	s_lshl_b64 s[2:3], s[6:7], 3
	s_add_u32 s2, s10, s2
	s_addc_u32 s3, s11, s3
	s_load_dwordx2 s[2:3], s[2:3], 0x0
	s_waitcnt lgkmcnt(0)
	s_sub_u32 s2, s2, s28
	s_subb_u32 s3, s3, 0
	s_and_b64 vcc, exec, s[0:1]
	s_cbranch_vccnz .LBB131_6
.LBB131_8:
	s_waitcnt lgkmcnt(0)
	s_lshl_b64 s[0:1], s[6:7], 3
	s_add_u32 s0, s10, s0
	s_addc_u32 s1, s11, s1
	s_load_dwordx2 s[0:1], s[0:1], 0x8
	s_waitcnt lgkmcnt(0)
	s_sub_u32 s48, s0, s28
	s_subb_u32 s49, s1, 0
	s_load_dwordx2 s[50:51], s[4:5], 0x0
	s_waitcnt lgkmcnt(0)
	v_cmp_lt_i64_e64 s[0:1], s[50:51], 1
	s_and_b64 vcc, exec, s[0:1]
	s_cbranch_vccnz .LBB131_63
.LBB131_9:
	s_load_dwordx8 s[20:27], s[4:5], 0x58
	s_load_dwordx2 s[52:53], s[4:5], 0x88
	s_load_dwordx4 s[44:47], s[4:5], 0x78
	s_load_dwordx2 s[54:55], s[4:5], 0x48
	s_load_dwordx8 s[36:43], s[4:5], 0x28
	s_lshl_b64 s[4:5], s[6:7], 3
	s_waitcnt lgkmcnt(0)
	s_add_u32 s0, s26, s4
	s_addc_u32 s1, s27, s5
	s_load_dwordx2 s[0:1], s[0:1], 0x0
	v_lshrrev_b32_e32 v1, 4, v0
	v_mov_b32_e32 v7, s3
	v_add_co_u32_e32 v10, vcc, s2, v1
	s_waitcnt lgkmcnt(0)
	s_sub_u32 s58, s0, s30
	s_subb_u32 s59, s1, 0
	v_addc_co_u32_e32 v11, vcc, 0, v7, vcc
	v_cmp_gt_i64_e32 vcc, s[48:49], v[10:11]
	s_add_u32 s26, s20, s4
	s_addc_u32 s27, s21, s5
	s_and_b64 s[56:57], s[8:9], vcc
	s_add_u32 s75, s40, 8
	s_addc_u32 s76, s41, 0
	v_subrev_co_u32_e64 v40, s[4:5], s31, v0
	v_mbcnt_lo_u32_b32 v7, -1, 0
	s_add_u32 s77, s44, -8
	v_subb_co_u32_e64 v41, s[4:5], 0, 0, s[4:5]
	v_mbcnt_hi_u32_b32 v7, -1, v7
	s_addc_u32 s78, s45, -1
	s_mov_b32 s33, 0
	v_and_b32_e32 v6, 15, v0
	v_mov_b32_e32 v8, 0
	v_sub_u32_e32 v7, 63, v7
	s_movk_i32 s4, 0x1ff
	s_movk_i32 s8, 0x80
	;; [unrolled: 1-line block ×7, first 2 shown]
	s_add_u32 s79, s46, -8
	v_add_co_u32_e32 v45, vcc, s30, v0
	v_mov_b32_e32 v14, 0x800
	v_cmp_eq_u32_e64 s[0:1], 0, v0
	s_mov_b32 s72, s33
	v_cmp_eq_u32_e64 s[2:3], 15, v6
	s_mov_b32 s73, s31
	s_mov_b32 s74, s33
	v_lshrrev_b64 v[12:13], v7, -1
	v_and_b32_e32 v42, 28, v1
	v_cmp_eq_u32_e64 s[4:5], s4, v0
	v_cmp_gt_u32_e64 s[6:7], 64, v0
	v_cmp_gt_u32_e64 s[8:9], s8, v0
	;; [unrolled: 1-line block ×7, first 2 shown]
	s_addc_u32 s80, s47, -1
	v_or_b32_e32 v43, 0xfffffe00, v0
	v_lshlrev_b32_e32 v44, 3, v0
	v_addc_co_u32_e64 v46, s[20:21], 0, 0, vcc
	s_mov_b64 s[30:31], 0
	v_mov_b32_e32 v15, 0
	v_pk_mov_b32 v[0:1], s[58:59], s[58:59] op_sel:[0,1]
	v_mov_b32_e32 v9, v8
	s_movk_i32 s81, 0x5ff
	v_mov_b32_e32 v47, 1
	s_branch .LBB131_11
.LBB131_10:                             ;   in Loop: Header=BB131_11 Depth=1
	s_or_b64 exec, exec, s[20:21]
	ds_read_b64 v[16:17], v8 offset:18432
	s_waitcnt lgkmcnt(0)
	s_barrier
	v_add_co_u32_e32 v14, vcc, 0x800, v16
	v_addc_co_u32_e32 v15, vcc, 0, v17, vcc
	v_cmp_le_i64_e32 vcc, s[50:51], v[16:17]
	v_readfirstlane_b32 s30, v16
	v_readfirstlane_b32 s31, v17
	s_cbranch_vccnz .LBB131_63
.LBB131_11:                             ; =>This Loop Header: Depth=1
                                        ;     Child Loop BB131_12 Depth 2
                                        ;     Child Loop BB131_18 Depth 2
                                        ;       Child Loop BB131_26 Depth 3
                                        ;     Child Loop BB131_42 Depth 2
                                        ;     Child Loop BB131_54 Depth 2
	;; [unrolled: 1-line block ×3, first 2 shown]
	s_mov_b64 s[20:21], 0
	v_mov_b32_e32 v7, v44
	v_mov_b32_e32 v16, v43
.LBB131_12:                             ;   Parent Loop BB131_11 Depth=1
                                        ; =>  This Inner Loop Header: Depth=2
	ds_write_b8 v16, v8 offset:16896
	ds_write_b64 v7, v[8:9]
	v_add_u32_e32 v16, 0x200, v16
	v_cmp_lt_u32_e32 vcc, s81, v16
	s_or_b64 s[20:21], vcc, s[20:21]
	v_add_u32_e32 v7, 0x1000, v7
	s_andn2_b64 exec, exec, s[20:21]
	s_cbranch_execnz .LBB131_12
; %bb.13:                               ;   in Loop: Header=BB131_11 Depth=1
	s_or_b64 exec, exec, s[20:21]
	s_and_saveexec_b64 s[20:21], s[0:1]
	s_cbranch_execz .LBB131_15
; %bb.14:                               ;   in Loop: Header=BB131_11 Depth=1
	v_pk_mov_b32 v[16:17], s[50:51], s[50:51] op_sel:[0,1]
	ds_write_b64 v8, v[16:17] offset:18432
.LBB131_15:                             ;   in Loop: Header=BB131_11 Depth=1
	s_or_b64 exec, exec, s[20:21]
	v_pk_mov_b32 v[16:17], s[50:51], s[50:51] op_sel:[0,1]
	s_waitcnt lgkmcnt(0)
	s_barrier
	s_and_saveexec_b64 s[44:45], s[56:57]
	s_cbranch_execz .LBB131_38
; %bb.16:                               ;   in Loop: Header=BB131_11 Depth=1
	s_cmp_lg_u64 s[30:31], 0
	s_mov_b64 s[46:47], 0
	s_cselect_b64 s[58:59], -1, 0
	v_pk_mov_b32 v[16:17], s[50:51], s[50:51] op_sel:[0,1]
	v_pk_mov_b32 v[18:19], v[10:11], v[10:11] op_sel:[0,1]
	s_branch .LBB131_18
.LBB131_17:                             ;   in Loop: Header=BB131_18 Depth=2
	s_or_b64 exec, exec, s[20:21]
	v_add_co_u32_e32 v18, vcc, 32, v18
	v_addc_co_u32_e32 v19, vcc, 0, v19, vcc
	v_cmp_le_i64_e32 vcc, s[48:49], v[18:19]
	s_or_b64 s[46:47], vcc, s[46:47]
	s_andn2_b64 exec, exec, s[46:47]
	s_cbranch_execz .LBB131_37
.LBB131_18:                             ;   Parent Loop BB131_11 Depth=1
                                        ; =>  This Loop Header: Depth=2
                                        ;       Child Loop BB131_26 Depth 3
	v_lshlrev_b64 v[20:21], 3, v[18:19]
	v_mov_b32_e32 v7, s37
	v_add_co_u32_e32 v22, vcc, s36, v20
	v_addc_co_u32_e32 v23, vcc, v7, v21, vcc
	global_load_dwordx2 v[24:25], v[22:23], off
	v_mov_b32_e32 v7, s39
	v_add_co_u32_e32 v22, vcc, s38, v20
	v_addc_co_u32_e32 v23, vcc, v7, v21, vcc
	global_load_dwordx2 v[26:27], v[22:23], off
	s_and_b64 vcc, exec, s[58:59]
	s_cbranch_vccz .LBB131_20
; %bb.19:                               ;   in Loop: Header=BB131_18 Depth=2
	v_mov_b32_e32 v7, s53
	v_add_co_u32_e32 v22, vcc, s52, v20
	v_addc_co_u32_e32 v23, vcc, v7, v21, vcc
	global_load_dwordx2 v[22:23], v[22:23], off
	s_mov_b64 s[20:21], 0
	s_branch .LBB131_21
.LBB131_20:                             ;   in Loop: Header=BB131_18 Depth=2
	s_mov_b64 s[20:21], -1
                                        ; implicit-def: $vgpr22_vgpr23
.LBB131_21:                             ;   in Loop: Header=BB131_18 Depth=2
	v_mov_b32_e32 v7, s72
	s_waitcnt vmcnt(0)
	v_subrev_co_u32_e32 v24, vcc, s28, v24
	v_subb_co_u32_e32 v25, vcc, v25, v7, vcc
	s_andn2_b64 vcc, exec, s[20:21]
	v_lshlrev_b64 v[24:25], 3, v[24:25]
	s_cbranch_vccnz .LBB131_23
; %bb.22:                               ;   in Loop: Header=BB131_18 Depth=2
	v_mov_b32_e32 v7, s41
	v_add_co_u32_e32 v22, vcc, s40, v24
	v_addc_co_u32_e32 v23, vcc, v7, v25, vcc
	global_load_dwordx2 v[22:23], v[22:23], off
	v_mov_b32_e32 v7, s33
	s_waitcnt vmcnt(0)
	v_subrev_co_u32_e32 v22, vcc, s29, v22
	v_subb_co_u32_e32 v23, vcc, v23, v7, vcc
.LBB131_23:                             ;   in Loop: Header=BB131_18 Depth=2
	v_mov_b32_e32 v7, s76
	v_add_co_u32_e32 v24, vcc, s75, v24
	v_addc_co_u32_e32 v25, vcc, v7, v25, vcc
	global_load_dwordx2 v[24:25], v[24:25], off
	v_mov_b32_e32 v7, s33
	s_waitcnt vmcnt(0)
	v_subrev_co_u32_e32 v24, vcc, s29, v24
	v_subb_co_u32_e32 v25, vcc, v25, v7, vcc
	v_add_co_u32_e32 v22, vcc, v22, v6
	v_addc_co_u32_e32 v23, vcc, 0, v23, vcc
	v_cmp_lt_i64_e32 vcc, v[22:23], v[24:25]
	s_and_saveexec_b64 s[60:61], vcc
	s_cbranch_execz .LBB131_35
; %bb.24:                               ;   in Loop: Header=BB131_18 Depth=2
	v_lshlrev_b64 v[30:31], 3, v[22:23]
	v_mov_b32_e32 v7, s43
	v_add_co_u32_e32 v28, vcc, s42, v30
	v_addc_co_u32_e32 v29, vcc, v7, v31, vcc
	v_mov_b32_e32 v7, s55
	v_add_co_u32_e32 v30, vcc, s54, v30
	v_mul_f64 v[26:27], v[2:3], v[26:27]
	v_addc_co_u32_e32 v31, vcc, v7, v31, vcc
	s_mov_b64 s[64:65], 0
	v_pk_mov_b32 v[34:35], v[22:23], v[22:23] op_sel:[0,1]
                                        ; implicit-def: $sgpr62_sgpr63
                                        ; implicit-def: $sgpr66_sgpr67
	s_branch .LBB131_26
.LBB131_25:                             ;   in Loop: Header=BB131_26 Depth=3
	s_or_b64 exec, exec, s[68:69]
	s_and_b64 s[20:21], exec, s[70:71]
	s_or_b64 s[64:65], s[20:21], s[64:65]
	s_andn2_b64 s[20:21], s[62:63], exec
	s_and_b64 s[62:63], s[66:67], exec
	s_or_b64 s[62:63], s[20:21], s[62:63]
	v_pk_mov_b32 v[34:35], v[36:37], v[36:37] op_sel:[0,1]
	s_andn2_b64 exec, exec, s[64:65]
	s_cbranch_execz .LBB131_32
.LBB131_26:                             ;   Parent Loop BB131_11 Depth=1
                                        ;     Parent Loop BB131_18 Depth=2
                                        ; =>    This Inner Loop Header: Depth=3
	global_load_dwordx2 v[32:33], v[28:29], off
	v_mov_b32_e32 v7, s33
	s_waitcnt vmcnt(0)
	v_subrev_co_u32_e32 v32, vcc, s29, v32
	v_subb_co_u32_e32 v33, vcc, v33, v7, vcc
	v_cmp_lt_i64_e32 vcc, v[32:33], v[14:15]
	v_cmp_gt_i64_e64 s[20:21], s[30:31], v[32:33]
	s_xor_b64 s[68:69], vcc, -1
	s_or_b64 s[70:71], s[20:21], s[68:69]
	s_mov_b64 s[20:21], 0
                                        ; implicit-def: $sgpr68_sgpr69
	s_and_saveexec_b64 s[82:83], s[70:71]
	s_xor_b64 s[70:71], exec, s[82:83]
; %bb.27:                               ;   in Loop: Header=BB131_26 Depth=3
	s_mov_b64 s[68:69], -1
	s_and_b64 s[20:21], vcc, exec
; %bb.28:                               ;   in Loop: Header=BB131_26 Depth=3
	s_andn2_saveexec_b64 s[70:71], s[70:71]
	s_cbranch_execz .LBB131_30
; %bb.29:                               ;   in Loop: Header=BB131_26 Depth=3
	global_load_dwordx2 v[36:37], v[30:31], off
	v_subrev_u32_e32 v7, s30, v32
	ds_write_b8 v7, v47 offset:16384
	v_lshlrev_b32_e32 v7, 3, v7
	s_or_b64 s[20:21], s[20:21], exec
	s_waitcnt vmcnt(0)
	v_mul_f64 v[36:37], v[26:27], v[36:37]
	ds_add_f64 v7, v[36:37]
.LBB131_30:                             ;   in Loop: Header=BB131_26 Depth=3
	s_or_b64 exec, exec, s[70:71]
	s_andn2_b64 s[66:67], s[66:67], exec
	s_and_b64 s[68:69], s[68:69], exec
	s_mov_b64 s[70:71], -1
	s_or_b64 s[66:67], s[66:67], s[68:69]
	v_pk_mov_b32 v[38:39], v[34:35], v[34:35] op_sel:[0,1]
                                        ; implicit-def: $vgpr36_vgpr37
	s_and_saveexec_b64 s[68:69], s[20:21]
	s_cbranch_execz .LBB131_25
; %bb.31:                               ;   in Loop: Header=BB131_26 Depth=3
	v_add_co_u32_e32 v36, vcc, 16, v34
	v_addc_co_u32_e32 v37, vcc, 0, v35, vcc
	v_add_co_u32_e32 v28, vcc, 0x80, v28
	v_addc_co_u32_e32 v29, vcc, 0, v29, vcc
	v_add_co_u32_e32 v30, vcc, 0x80, v30
	v_addc_co_u32_e32 v31, vcc, 0, v31, vcc
	v_cmp_ge_i64_e32 vcc, v[36:37], v[24:25]
	s_andn2_b64 s[66:67], s[66:67], exec
	s_orn2_b64 s[70:71], vcc, exec
	v_pk_mov_b32 v[38:39], v[34:35], v[34:35] op_sel:[0,1]
	s_branch .LBB131_25
.LBB131_32:                             ;   in Loop: Header=BB131_18 Depth=2
	s_or_b64 exec, exec, s[64:65]
	s_and_saveexec_b64 s[20:21], s[62:63]
	s_xor_b64 s[20:21], exec, s[20:21]
; %bb.33:                               ;   in Loop: Header=BB131_18 Depth=2
	v_cmp_lt_i64_e32 vcc, v[32:33], v[16:17]
	v_cndmask_b32_e32 v17, v17, v33, vcc
	v_cndmask_b32_e32 v16, v16, v32, vcc
	v_pk_mov_b32 v[22:23], v[38:39], v[38:39] op_sel:[0,1]
; %bb.34:                               ;   in Loop: Header=BB131_18 Depth=2
	s_or_b64 exec, exec, s[20:21]
.LBB131_35:                             ;   in Loop: Header=BB131_18 Depth=2
	s_or_b64 exec, exec, s[60:61]
	v_mov_b32_dpp v24, v22 row_shr:1 row_mask:0xf bank_mask:0xf
	v_mov_b32_dpp v25, v23 row_shr:1 row_mask:0xf bank_mask:0xf
	v_cmp_lt_i64_e32 vcc, v[24:25], v[22:23]
	v_cndmask_b32_e32 v23, v23, v25, vcc
	v_cndmask_b32_e32 v22, v22, v24, vcc
	s_nop 0
	v_mov_b32_dpp v25, v23 row_shr:2 row_mask:0xf bank_mask:0xf
	v_mov_b32_dpp v24, v22 row_shr:2 row_mask:0xf bank_mask:0xf
	v_cmp_lt_i64_e32 vcc, v[24:25], v[22:23]
	v_cndmask_b32_e32 v23, v23, v25, vcc
	v_cndmask_b32_e32 v22, v22, v24, vcc
	s_nop 0
	;; [unrolled: 6-line block ×3, first 2 shown]
	v_mov_b32_dpp v25, v23 row_shr:8 row_mask:0xf bank_mask:0xc
	v_mov_b32_dpp v24, v22 row_shr:8 row_mask:0xf bank_mask:0xc
	s_and_saveexec_b64 s[20:21], s[2:3]
	s_cbranch_execz .LBB131_17
; %bb.36:                               ;   in Loop: Header=BB131_18 Depth=2
	v_cmp_lt_i64_e32 vcc, v[24:25], v[22:23]
	v_cndmask_b32_e32 v23, v23, v25, vcc
	v_cndmask_b32_e32 v22, v22, v24, vcc
	v_mov_b32_e32 v7, s53
	v_add_co_u32_e32 v20, vcc, s52, v20
	v_addc_co_u32_e32 v21, vcc, v7, v21, vcc
	global_store_dwordx2 v[20:21], v[22:23], off
	s_branch .LBB131_17
.LBB131_37:                             ;   in Loop: Header=BB131_11 Depth=1
	s_or_b64 exec, exec, s[46:47]
.LBB131_38:                             ;   in Loop: Header=BB131_11 Depth=1
	s_or_b64 exec, exec, s[44:45]
	s_andn2_b64 vcc, exec, s[34:35]
	s_cbranch_vccnz .LBB131_52
; %bb.39:                               ;   in Loop: Header=BB131_11 Depth=1
	s_load_dwordx4 s[44:47], s[26:27], 0x0
	s_waitcnt lgkmcnt(0)
	s_sub_u32 s46, s46, s73
	v_mov_b32_e32 v7, s45
	v_add_co_u32_e32 v18, vcc, s44, v40
	s_subb_u32 s47, s47, 0
	v_addc_co_u32_e32 v19, vcc, v7, v41, vcc
	v_cmp_gt_i64_e32 vcc, s[46:47], v[18:19]
	s_and_saveexec_b64 s[44:45], vcc
	s_cbranch_execz .LBB131_51
; %bb.40:                               ;   in Loop: Header=BB131_11 Depth=1
	v_lshlrev_b64 v[22:23], 3, v[18:19]
	v_mov_b32_e32 v7, s23
	v_add_co_u32_e32 v20, vcc, s22, v22
	v_addc_co_u32_e32 v21, vcc, v7, v23, vcc
	v_mov_b32_e32 v7, s25
	v_add_co_u32_e32 v22, vcc, s24, v22
	v_addc_co_u32_e32 v23, vcc, v7, v23, vcc
	s_mov_b64 s[58:59], 0
                                        ; implicit-def: $sgpr60_sgpr61
                                        ; implicit-def: $sgpr62_sgpr63
	s_branch .LBB131_42
.LBB131_41:                             ;   in Loop: Header=BB131_42 Depth=2
	s_or_b64 exec, exec, s[64:65]
	s_and_b64 s[20:21], exec, s[66:67]
	s_or_b64 s[58:59], s[20:21], s[58:59]
	s_andn2_b64 s[20:21], s[60:61], exec
	s_and_b64 s[60:61], s[62:63], exec
	s_or_b64 s[60:61], s[20:21], s[60:61]
	s_andn2_b64 exec, exec, s[58:59]
	s_cbranch_execz .LBB131_48
.LBB131_42:                             ;   Parent Loop BB131_11 Depth=1
                                        ; =>  This Inner Loop Header: Depth=2
	global_load_dwordx2 v[24:25], v[20:21], off
	v_mov_b32_e32 v7, s74
	s_waitcnt vmcnt(0)
	v_subrev_co_u32_e32 v24, vcc, s73, v24
	v_subb_co_u32_e32 v25, vcc, v25, v7, vcc
	v_cmp_lt_i64_e32 vcc, v[24:25], v[14:15]
	v_cmp_gt_i64_e64 s[20:21], s[30:31], v[24:25]
	s_xor_b64 s[64:65], vcc, -1
	s_or_b64 s[66:67], s[20:21], s[64:65]
	s_mov_b64 s[20:21], 0
                                        ; implicit-def: $sgpr64_sgpr65
	s_and_saveexec_b64 s[68:69], s[66:67]
	s_xor_b64 s[66:67], exec, s[68:69]
; %bb.43:                               ;   in Loop: Header=BB131_42 Depth=2
	s_mov_b64 s[64:65], -1
	s_and_b64 s[20:21], vcc, exec
; %bb.44:                               ;   in Loop: Header=BB131_42 Depth=2
	s_andn2_saveexec_b64 s[66:67], s[66:67]
	s_cbranch_execz .LBB131_46
; %bb.45:                               ;   in Loop: Header=BB131_42 Depth=2
	global_load_dwordx2 v[26:27], v[22:23], off
	v_subrev_u32_e32 v7, s30, v24
	ds_write_b8 v7, v47 offset:16384
	v_lshlrev_b32_e32 v7, 3, v7
	s_or_b64 s[20:21], s[20:21], exec
	s_waitcnt vmcnt(0)
	v_mul_f64 v[26:27], v[4:5], v[26:27]
	ds_add_f64 v7, v[26:27]
.LBB131_46:                             ;   in Loop: Header=BB131_42 Depth=2
	s_or_b64 exec, exec, s[66:67]
	s_andn2_b64 s[62:63], s[62:63], exec
	s_and_b64 s[64:65], s[64:65], exec
	s_mov_b64 s[66:67], -1
	s_or_b64 s[62:63], s[62:63], s[64:65]
	s_and_saveexec_b64 s[64:65], s[20:21]
	s_cbranch_execz .LBB131_41
; %bb.47:                               ;   in Loop: Header=BB131_42 Depth=2
	v_add_co_u32_e32 v18, vcc, 0x200, v18
	v_addc_co_u32_e32 v19, vcc, 0, v19, vcc
	v_add_co_u32_e32 v20, vcc, 0x1000, v20
	v_addc_co_u32_e32 v21, vcc, 0, v21, vcc
	;; [unrolled: 2-line block ×3, first 2 shown]
	v_cmp_le_i64_e32 vcc, s[46:47], v[18:19]
	s_andn2_b64 s[62:63], s[62:63], exec
	s_orn2_b64 s[66:67], vcc, exec
	s_branch .LBB131_41
.LBB131_48:                             ;   in Loop: Header=BB131_11 Depth=1
	s_or_b64 exec, exec, s[58:59]
	s_and_saveexec_b64 s[20:21], s[60:61]
	s_xor_b64 s[20:21], exec, s[20:21]
; %bb.49:                               ;   in Loop: Header=BB131_11 Depth=1
	v_cmp_lt_i64_e32 vcc, v[24:25], v[16:17]
	v_cndmask_b32_e32 v17, v17, v25, vcc
	v_cndmask_b32_e32 v16, v16, v24, vcc
; %bb.50:                               ;   in Loop: Header=BB131_11 Depth=1
	s_or_b64 exec, exec, s[20:21]
.LBB131_51:                             ;   in Loop: Header=BB131_11 Depth=1
	s_or_b64 exec, exec, s[44:45]
.LBB131_52:                             ;   in Loop: Header=BB131_11 Depth=1
	v_mov_b32_dpp v14, v16 row_shr:1 row_mask:0xf bank_mask:0xf
	v_mov_b32_dpp v15, v17 row_shr:1 row_mask:0xf bank_mask:0xf
	v_cmp_lt_i64_e32 vcc, v[14:15], v[16:17]
	v_cndmask_b32_e32 v15, v17, v15, vcc
	v_cndmask_b32_e32 v14, v16, v14, vcc
	s_nop 0
	v_mov_b32_dpp v17, v15 row_shr:2 row_mask:0xf bank_mask:0xf
	v_mov_b32_dpp v16, v14 row_shr:2 row_mask:0xf bank_mask:0xf
	v_cmp_lt_i64_e32 vcc, v[16:17], v[14:15]
	v_cndmask_b32_e32 v15, v15, v17, vcc
	v_cndmask_b32_e32 v14, v14, v16, vcc
	s_nop 0
	;; [unrolled: 6-line block ×3, first 2 shown]
	v_mov_b32_dpp v17, v15 row_shr:8 row_mask:0xf bank_mask:0xc
	v_mov_b32_dpp v16, v14 row_shr:8 row_mask:0xf bank_mask:0xc
	s_and_saveexec_b64 s[20:21], s[2:3]
	s_cbranch_execz .LBB131_57
; %bb.53:                               ;   in Loop: Header=BB131_11 Depth=1
	v_cmp_lt_i64_e32 vcc, v[16:17], v[14:15]
	s_mov_b64 s[46:47], exec
	v_cndmask_b32_e32 v7, v15, v17, vcc
	v_cndmask_b32_e32 v14, v14, v16, vcc
	s_mov_b64 s[44:45], -1
.LBB131_54:                             ;   Parent Loop BB131_11 Depth=1
                                        ; =>  This Inner Loop Header: Depth=2
	s_ff1_i32_b64 s60, s[46:47]
	v_readlane_b32 s61, v7, s60
	v_readlane_b32 s62, v14, s60
	v_mov_b32_e32 v16, s62
	v_mov_b32_e32 v17, s61
	v_cmp_lt_u64_e32 vcc, s[44:45], v[16:17]
	s_and_b64 s[58:59], vcc, exec
	s_cselect_b32 s45, s45, s61
	s_cselect_b32 s44, s44, s62
	s_lshl_b64 s[58:59], 1, s60
	s_andn2_b64 s[46:47], s[46:47], s[58:59]
	s_cmp_lg_u64 s[46:47], 0
	s_cbranch_scc1 .LBB131_54
; %bb.55:                               ;   in Loop: Header=BB131_11 Depth=1
	v_mbcnt_lo_u32_b32 v7, exec_lo, 0
	v_mbcnt_hi_u32_b32 v7, exec_hi, v7
	v_cmp_eq_u32_e32 vcc, 0, v7
	s_and_saveexec_b64 s[46:47], vcc
	s_xor_b64 s[46:47], exec, s[46:47]
	s_cbranch_execz .LBB131_57
; %bb.56:                               ;   in Loop: Header=BB131_11 Depth=1
	v_pk_mov_b32 v[14:15], s[44:45], s[44:45] op_sel:[0,1]
	ds_min_u64 v8, v[14:15] offset:18432
.LBB131_57:                             ;   in Loop: Header=BB131_11 Depth=1
	s_or_b64 exec, exec, s[20:21]
	v_mov_b32_e32 v7, s31
	v_add_co_u32_e32 v14, vcc, s30, v45
	v_addc_co_u32_e32 v15, vcc, v46, v7, vcc
	s_mov_b64 s[20:21], 0
	v_mov_b32_e32 v7, v44
	v_mov_b32_e32 v18, v43
	s_waitcnt lgkmcnt(0)
	s_barrier
	s_branch .LBB131_59
.LBB131_58:                             ;   in Loop: Header=BB131_59 Depth=2
	s_or_b64 exec, exec, s[30:31]
	s_waitcnt lgkmcnt(0)
	s_barrier
	ds_read_b32 v16, v8 offset:28
	v_add_u32_e32 v18, 0x200, v18
	v_add_u32_e32 v7, 0x1000, v7
	s_waitcnt lgkmcnt(0)
	v_ashrrev_i32_e32 v17, 31, v16
	v_add_co_u32_e32 v0, vcc, v0, v16
	v_addc_co_u32_e32 v1, vcc, v1, v17, vcc
	v_add_co_u32_e32 v14, vcc, 0x200, v14
	v_addc_co_u32_e32 v15, vcc, 0, v15, vcc
	v_cmp_lt_u32_e32 vcc, s81, v18
	s_or_b64 s[20:21], vcc, s[20:21]
	s_andn2_b64 exec, exec, s[20:21]
	s_cbranch_execz .LBB131_10
.LBB131_59:                             ;   Parent Loop BB131_11 Depth=1
                                        ; =>  This Inner Loop Header: Depth=2
	ds_read_u8 v27, v18 offset:16896
	ds_read_b64 v[16:17], v7
	s_waitcnt lgkmcnt(0)
	s_barrier
	v_cmp_ne_u16_e32 vcc, 0, v27
	s_bcnt1_i32_b64 s30, vcc
	v_mov_b32_e32 v20, s30
	ds_write_b32 v42, v20
	s_waitcnt lgkmcnt(0)
	s_barrier
	ds_read_b128 v[20:23], v8
	v_and_b32_e32 v24, vcc_lo, v12
	v_and_b32_e32 v19, vcc_hi, v13
	v_bcnt_u32_b32 v24, v24, 0
	v_bcnt_u32_b32 v19, v19, v24
	ds_read_b96 v[24:26], v8 offset:16
	s_waitcnt lgkmcnt(0)
	v_cndmask_b32_e64 v20, v20, 0, s[6:7]
	v_add_u32_e32 v19, v20, v19
	v_cndmask_b32_e64 v20, v21, 0, s[8:9]
	v_cndmask_b32_e64 v21, v22, 0, s[10:11]
	v_add3_u32 v19, v19, v20, v21
	v_cndmask_b32_e64 v20, v23, 0, s[12:13]
	v_cndmask_b32_e64 v21, v24, 0, s[14:15]
	v_add3_u32 v19, v19, v20, v21
	;; [unrolled: 3-line block ×3, first 2 shown]
	v_and_b32_e32 v20, 1, v27
	v_cmp_eq_u32_e32 vcc, 1, v20
	s_and_saveexec_b64 s[30:31], vcc
	s_cbranch_execz .LBB131_61
; %bb.60:                               ;   in Loop: Header=BB131_59 Depth=2
	v_ashrrev_i32_e32 v21, 31, v19
	v_add_co_u32_e32 v20, vcc, v0, v19
	v_addc_co_u32_e32 v21, vcc, v1, v21, vcc
	v_lshlrev_b64 v[20:21], 3, v[20:21]
	v_mov_b32_e32 v23, s78
	v_add_co_u32_e32 v22, vcc, s77, v20
	v_addc_co_u32_e32 v23, vcc, v23, v21, vcc
	global_store_dwordx2 v[22:23], v[14:15], off
	v_mov_b32_e32 v22, s80
	v_add_co_u32_e32 v20, vcc, s79, v20
	v_addc_co_u32_e32 v21, vcc, v22, v21, vcc
	global_store_dwordx2 v[20:21], v[16:17], off
.LBB131_61:                             ;   in Loop: Header=BB131_59 Depth=2
	s_or_b64 exec, exec, s[30:31]
	s_and_saveexec_b64 s[30:31], s[4:5]
	s_cbranch_execz .LBB131_58
; %bb.62:                               ;   in Loop: Header=BB131_59 Depth=2
	ds_write_b32 v8, v19 offset:28
	s_branch .LBB131_58
.LBB131_63:
	s_endpgm
	.section	.rodata,"a",@progbits
	.p2align	6, 0x0
	.amdhsa_kernel _ZN9rocsparseL36csrgemm_fill_block_per_row_multipassILj512ELj16ELj2048ELj64ElldEEvT4_PKS1_S3_NS_24const_host_device_scalarIT5_EEPKT3_S3_PKS5_S9_S3_SB_S6_S9_S3_SB_S9_PS1_PS5_PS7_21rocsparse_index_base_SF_SF_SF_bbb
		.amdhsa_group_segment_fixed_size 18440
		.amdhsa_private_segment_fixed_size 0
		.amdhsa_kernarg_size 164
		.amdhsa_user_sgpr_count 6
		.amdhsa_user_sgpr_private_segment_buffer 1
		.amdhsa_user_sgpr_dispatch_ptr 0
		.amdhsa_user_sgpr_queue_ptr 0
		.amdhsa_user_sgpr_kernarg_segment_ptr 1
		.amdhsa_user_sgpr_dispatch_id 0
		.amdhsa_user_sgpr_flat_scratch_init 0
		.amdhsa_user_sgpr_kernarg_preload_length 0
		.amdhsa_user_sgpr_kernarg_preload_offset 0
		.amdhsa_user_sgpr_private_segment_size 0
		.amdhsa_uses_dynamic_stack 0
		.amdhsa_system_sgpr_private_segment_wavefront_offset 0
		.amdhsa_system_sgpr_workgroup_id_x 1
		.amdhsa_system_sgpr_workgroup_id_y 0
		.amdhsa_system_sgpr_workgroup_id_z 0
		.amdhsa_system_sgpr_workgroup_info 0
		.amdhsa_system_vgpr_workitem_id 0
		.amdhsa_next_free_vgpr 48
		.amdhsa_next_free_sgpr 84
		.amdhsa_accum_offset 48
		.amdhsa_reserve_vcc 1
		.amdhsa_reserve_flat_scratch 0
		.amdhsa_float_round_mode_32 0
		.amdhsa_float_round_mode_16_64 0
		.amdhsa_float_denorm_mode_32 3
		.amdhsa_float_denorm_mode_16_64 3
		.amdhsa_dx10_clamp 1
		.amdhsa_ieee_mode 1
		.amdhsa_fp16_overflow 0
		.amdhsa_tg_split 0
		.amdhsa_exception_fp_ieee_invalid_op 0
		.amdhsa_exception_fp_denorm_src 0
		.amdhsa_exception_fp_ieee_div_zero 0
		.amdhsa_exception_fp_ieee_overflow 0
		.amdhsa_exception_fp_ieee_underflow 0
		.amdhsa_exception_fp_ieee_inexact 0
		.amdhsa_exception_int_div_zero 0
	.end_amdhsa_kernel
	.section	.text._ZN9rocsparseL36csrgemm_fill_block_per_row_multipassILj512ELj16ELj2048ELj64ElldEEvT4_PKS1_S3_NS_24const_host_device_scalarIT5_EEPKT3_S3_PKS5_S9_S3_SB_S6_S9_S3_SB_S9_PS1_PS5_PS7_21rocsparse_index_base_SF_SF_SF_bbb,"axG",@progbits,_ZN9rocsparseL36csrgemm_fill_block_per_row_multipassILj512ELj16ELj2048ELj64ElldEEvT4_PKS1_S3_NS_24const_host_device_scalarIT5_EEPKT3_S3_PKS5_S9_S3_SB_S6_S9_S3_SB_S9_PS1_PS5_PS7_21rocsparse_index_base_SF_SF_SF_bbb,comdat
.Lfunc_end131:
	.size	_ZN9rocsparseL36csrgemm_fill_block_per_row_multipassILj512ELj16ELj2048ELj64ElldEEvT4_PKS1_S3_NS_24const_host_device_scalarIT5_EEPKT3_S3_PKS5_S9_S3_SB_S6_S9_S3_SB_S9_PS1_PS5_PS7_21rocsparse_index_base_SF_SF_SF_bbb, .Lfunc_end131-_ZN9rocsparseL36csrgemm_fill_block_per_row_multipassILj512ELj16ELj2048ELj64ElldEEvT4_PKS1_S3_NS_24const_host_device_scalarIT5_EEPKT3_S3_PKS5_S9_S3_SB_S6_S9_S3_SB_S9_PS1_PS5_PS7_21rocsparse_index_base_SF_SF_SF_bbb
                                        ; -- End function
	.section	.AMDGPU.csdata,"",@progbits
; Kernel info:
; codeLenInByte = 2744
; NumSgprs: 88
; NumVgprs: 48
; NumAgprs: 0
; TotalNumVgprs: 48
; ScratchSize: 0
; MemoryBound: 0
; FloatMode: 240
; IeeeMode: 1
; LDSByteSize: 18440 bytes/workgroup (compile time only)
; SGPRBlocks: 10
; VGPRBlocks: 5
; NumSGPRsForWavesPerEU: 88
; NumVGPRsForWavesPerEU: 48
; AccumOffset: 48
; Occupancy: 6
; WaveLimiterHint : 1
; COMPUTE_PGM_RSRC2:SCRATCH_EN: 0
; COMPUTE_PGM_RSRC2:USER_SGPR: 6
; COMPUTE_PGM_RSRC2:TRAP_HANDLER: 0
; COMPUTE_PGM_RSRC2:TGID_X_EN: 1
; COMPUTE_PGM_RSRC2:TGID_Y_EN: 0
; COMPUTE_PGM_RSRC2:TGID_Z_EN: 0
; COMPUTE_PGM_RSRC2:TIDIG_COMP_CNT: 0
; COMPUTE_PGM_RSRC3_GFX90A:ACCUM_OFFSET: 11
; COMPUTE_PGM_RSRC3_GFX90A:TG_SPLIT: 0
	.section	.text._ZN9rocsparseL26csrgemm_group_reduce_part2ILj256ELj11E21rocsparse_complex_numIfEllEEvT3_PKT2_PS3_Pij,"axG",@progbits,_ZN9rocsparseL26csrgemm_group_reduce_part2ILj256ELj11E21rocsparse_complex_numIfEllEEvT3_PKT2_PS3_Pij,comdat
	.globl	_ZN9rocsparseL26csrgemm_group_reduce_part2ILj256ELj11E21rocsparse_complex_numIfEllEEvT3_PKT2_PS3_Pij ; -- Begin function _ZN9rocsparseL26csrgemm_group_reduce_part2ILj256ELj11E21rocsparse_complex_numIfEllEEvT3_PKT2_PS3_Pij
	.p2align	8
	.type	_ZN9rocsparseL26csrgemm_group_reduce_part2ILj256ELj11E21rocsparse_complex_numIfEllEEvT3_PKT2_PS3_Pij,@function
_ZN9rocsparseL26csrgemm_group_reduce_part2ILj256ELj11E21rocsparse_complex_numIfEllEEvT3_PKT2_PS3_Pij: ; @_ZN9rocsparseL26csrgemm_group_reduce_part2ILj256ELj11E21rocsparse_complex_numIfEllEEvT3_PKT2_PS3_Pij
; %bb.0:
	s_mov_b32 s9, 0
	v_mul_u32_u24_e32 v1, 11, v0
	s_mov_b32 s8, s9
	s_mov_b32 s10, s9
	;; [unrolled: 1-line block ×3, first 2 shown]
	s_load_dwordx2 s[2:3], s[4:5], 0x0
	s_load_dwordx2 s[0:1], s[4:5], 0x10
	v_lshlrev_b32_e32 v1, 3, v1
	v_pk_mov_b32 v[2:3], s[8:9], s[8:9] op_sel:[0,1]
	v_pk_mov_b32 v[4:5], s[10:11], s[10:11] op_sel:[0,1]
	ds_write2_b64 v1, v[2:3], v[4:5] offset1:1
	ds_write2_b64 v1, v[2:3], v[4:5] offset0:2 offset1:3
	ds_write2_b64 v1, v[2:3], v[4:5] offset0:4 offset1:5
	;; [unrolled: 1-line block ×4, first 2 shown]
	v_mov_b32_e32 v3, 0
	v_lshl_or_b32 v6, s6, 8, v0
	v_mov_b32_e32 v2, v3
	ds_write_b64 v1, v[2:3] offset:80
	v_mov_b32_e32 v2, v6
	s_waitcnt lgkmcnt(0)
	v_cmp_gt_i64_e32 vcc, s[2:3], v[2:3]
	s_and_saveexec_b64 s[10:11], vcc
	s_cbranch_execz .LBB132_43
; %bb.1:
	s_load_dword s7, s[4:5], 0x20
	s_load_dwordx2 s[12:13], s[4:5], 0x8
	s_load_dwordx2 s[14:15], s[4:5], 0x18
	s_load_dword s8, s[4:5], 0x28
	v_lshlrev_b64 v[4:5], 2, v[2:3]
	s_waitcnt lgkmcnt(0)
	s_cmp_lt_u32 s7, 0x10108
	s_cselect_b64 s[26:27], -1, 0
	s_cmp_lt_u32 s7, 0x20108
	s_cselect_b64 s[30:31], -1, 0
	;; [unrolled: 2-line block ×3, first 2 shown]
	s_cmp_lt_u32 s7, 0x80108
	v_mov_b32_e32 v6, s15
	v_add_co_u32_e32 v4, vcc, s14, v4
	s_cselect_b64 s[40:41], -1, 0
	s_lshl_b32 s8, s8, 8
	v_addc_co_u32_e32 v5, vcc, v6, v5, vcc
	v_lshlrev_b64 v[6:7], 3, v[2:3]
	s_lshl_b64 s[4:5], s[8:9], 2
	v_mov_b32_e32 v8, s13
	v_add_co_u32_e32 v6, vcc, s12, v6
	s_lshl_b64 s[12:13], s[8:9], 3
	v_addc_co_u32_e32 v7, vcc, v8, v7, vcc
	s_mov_b64 s[14:15], 0
	s_mov_b64 s[16:17], 0x100
	;; [unrolled: 1-line block ×6, first 2 shown]
	s_xor_b64 s[26:27], s[26:27], -1
	v_mov_b32_e32 v12, 6
	s_mov_b64 s[28:29], 0x2001
	s_xor_b64 s[30:31], s[30:31], -1
	v_mov_b32_e32 v13, 7
	s_mov_b64 s[34:35], 0x4001
	;; [unrolled: 3-line block ×3, first 2 shown]
	s_xor_b64 s[40:41], s[40:41], -1
	v_mov_b32_e32 v15, 9
	v_mov_b32_e32 v16, 10
	;; [unrolled: 1-line block ×10, first 2 shown]
	v_pk_mov_b32 v[8:9], v[2:3], v[2:3] op_sel:[0,1]
	s_branch .LBB132_3
.LBB132_2:                              ;   in Loop: Header=BB132_3 Depth=1
	s_or_b64 exec, exec, s[42:43]
	v_add_co_u32_e32 v8, vcc, s8, v8
	v_addc_co_u32_e32 v9, vcc, v9, v22, vcc
	v_add_co_u32_e32 v4, vcc, s4, v4
	v_addc_co_u32_e32 v5, vcc, v5, v23, vcc
	v_cmp_le_i64_e32 vcc, s[2:3], v[8:9]
	s_or_b64 s[14:15], vcc, s[14:15]
	v_add_co_u32_e32 v6, vcc, s12, v6
	v_addc_co_u32_e32 v7, vcc, v7, v24, vcc
	s_andn2_b64 exec, exec, s[14:15]
	s_cbranch_execz .LBB132_43
.LBB132_3:                              ; =>This Inner Loop Header: Depth=1
	global_load_dwordx4 v[26:29], v[6:7], off
	s_waitcnt vmcnt(0)
	v_sub_co_u32_e32 v10, vcc, v28, v26
	v_subb_co_u32_e32 v11, vcc, v29, v27, vcc
	v_cmp_lt_i64_e32 vcc, 16, v[10:11]
	s_and_saveexec_b64 s[42:43], vcc
	s_xor_b64 s[42:43], exec, s[42:43]
	s_cbranch_execz .LBB132_41
; %bb.4:                                ;   in Loop: Header=BB132_3 Depth=1
	v_cmp_lt_u64_e32 vcc, 32, v[10:11]
	s_and_saveexec_b64 s[44:45], vcc
	s_xor_b64 s[44:45], exec, s[44:45]
	s_cbranch_execz .LBB132_38
; %bb.5:                                ;   in Loop: Header=BB132_3 Depth=1
	v_cmp_lt_u64_e32 vcc, s[16:17], v[10:11]
	;; [unrolled: 5-line block ×5, first 2 shown]
	s_and_saveexec_b64 s[52:53], vcc
	s_xor_b64 s[52:53], exec, s[52:53]
	s_cbranch_execz .LBB132_26
; %bb.9:                                ;   in Loop: Header=BB132_3 Depth=1
	v_cmp_gt_u64_e32 vcc, s[24:25], v[10:11]
	s_and_b64 s[54:55], s[26:27], vcc
	s_and_saveexec_b64 s[56:57], s[54:55]
	s_xor_b64 s[54:55], exec, s[56:57]
	s_cbranch_execz .LBB132_11
; %bb.10:                               ;   in Loop: Header=BB132_3 Depth=1
	ds_read_b64 v[10:11], v1 offset:48
	global_store_dword v[4:5], v12, off
	s_waitcnt lgkmcnt(0)
	v_add_co_u32_e32 v10, vcc, 1, v10
	v_addc_co_u32_e32 v11, vcc, 0, v11, vcc
	ds_write_b64 v1, v[10:11] offset:48
                                        ; implicit-def: $vgpr10_vgpr11
.LBB132_11:                             ;   in Loop: Header=BB132_3 Depth=1
	s_andn2_saveexec_b64 s[54:55], s[54:55]
	s_cbranch_execz .LBB132_25
; %bb.12:                               ;   in Loop: Header=BB132_3 Depth=1
	v_cmp_gt_u64_e32 vcc, s[28:29], v[10:11]
	s_and_b64 s[56:57], s[30:31], vcc
	s_and_saveexec_b64 s[58:59], s[56:57]
	s_xor_b64 s[56:57], exec, s[58:59]
	s_cbranch_execz .LBB132_14
; %bb.13:                               ;   in Loop: Header=BB132_3 Depth=1
	ds_read_b64 v[10:11], v1 offset:56
	global_store_dword v[4:5], v13, off
	s_waitcnt lgkmcnt(0)
	v_add_co_u32_e32 v10, vcc, 1, v10
	v_addc_co_u32_e32 v11, vcc, 0, v11, vcc
	ds_write_b64 v1, v[10:11] offset:56
                                        ; implicit-def: $vgpr10_vgpr11
.LBB132_14:                             ;   in Loop: Header=BB132_3 Depth=1
	s_andn2_saveexec_b64 s[56:57], s[56:57]
	s_cbranch_execz .LBB132_24
; %bb.15:                               ;   in Loop: Header=BB132_3 Depth=1
	;; [unrolled: 17-line block ×3, first 2 shown]
	v_cmp_gt_u64_e32 vcc, s[38:39], v[10:11]
	s_and_b64 s[60:61], s[40:41], vcc
	s_and_saveexec_b64 s[62:63], s[60:61]
	s_xor_b64 s[60:61], exec, s[62:63]
	s_cbranch_execz .LBB132_20
; %bb.19:                               ;   in Loop: Header=BB132_3 Depth=1
	ds_read_b64 v[10:11], v1 offset:72
	global_store_dword v[4:5], v15, off
	s_waitcnt lgkmcnt(0)
	v_add_co_u32_e32 v10, vcc, 1, v10
	v_addc_co_u32_e32 v11, vcc, 0, v11, vcc
	ds_write_b64 v1, v[10:11] offset:72
.LBB132_20:                             ;   in Loop: Header=BB132_3 Depth=1
	s_andn2_saveexec_b64 s[60:61], s[60:61]
	s_cbranch_execz .LBB132_22
; %bb.21:                               ;   in Loop: Header=BB132_3 Depth=1
	ds_read_b64 v[10:11], v1 offset:80
	global_store_dword v[4:5], v16, off
	s_waitcnt lgkmcnt(0)
	v_add_co_u32_e32 v10, vcc, 1, v10
	v_addc_co_u32_e32 v11, vcc, 0, v11, vcc
	ds_write_b64 v1, v[10:11] offset:80
.LBB132_22:                             ;   in Loop: Header=BB132_3 Depth=1
	s_or_b64 exec, exec, s[60:61]
.LBB132_23:                             ;   in Loop: Header=BB132_3 Depth=1
	s_or_b64 exec, exec, s[58:59]
.LBB132_24:                             ;   in Loop: Header=BB132_3 Depth=1
	s_or_b64 exec, exec, s[56:57]
.LBB132_25:                             ;   in Loop: Header=BB132_3 Depth=1
	s_or_b64 exec, exec, s[54:55]
.LBB132_26:                             ;   in Loop: Header=BB132_3 Depth=1
	s_andn2_saveexec_b64 s[52:53], s[52:53]
	s_cbranch_execz .LBB132_28
; %bb.27:                               ;   in Loop: Header=BB132_3 Depth=1
	ds_read_b64 v[10:11], v1 offset:40
	global_store_dword v[4:5], v17, off
	s_waitcnt lgkmcnt(0)
	v_add_co_u32_e32 v10, vcc, 1, v10
	v_addc_co_u32_e32 v11, vcc, 0, v11, vcc
	ds_write_b64 v1, v[10:11] offset:40
.LBB132_28:                             ;   in Loop: Header=BB132_3 Depth=1
	s_or_b64 exec, exec, s[52:53]
.LBB132_29:                             ;   in Loop: Header=BB132_3 Depth=1
	s_andn2_saveexec_b64 s[50:51], s[50:51]
	s_cbranch_execz .LBB132_31
; %bb.30:                               ;   in Loop: Header=BB132_3 Depth=1
	ds_read_b64 v[10:11], v1 offset:32
	global_store_dword v[4:5], v18, off
	s_waitcnt lgkmcnt(0)
	v_add_co_u32_e32 v10, vcc, 1, v10
	v_addc_co_u32_e32 v11, vcc, 0, v11, vcc
	ds_write_b64 v1, v[10:11] offset:32
.LBB132_31:                             ;   in Loop: Header=BB132_3 Depth=1
	s_or_b64 exec, exec, s[50:51]
.LBB132_32:                             ;   in Loop: Header=BB132_3 Depth=1
	s_andn2_saveexec_b64 s[48:49], s[48:49]
	s_cbranch_execz .LBB132_34
; %bb.33:                               ;   in Loop: Header=BB132_3 Depth=1
	ds_read_b64 v[10:11], v1 offset:24
	global_store_dword v[4:5], v19, off
	s_waitcnt lgkmcnt(0)
	v_add_co_u32_e32 v10, vcc, 1, v10
	v_addc_co_u32_e32 v11, vcc, 0, v11, vcc
	ds_write_b64 v1, v[10:11] offset:24
.LBB132_34:                             ;   in Loop: Header=BB132_3 Depth=1
	s_or_b64 exec, exec, s[48:49]
.LBB132_35:                             ;   in Loop: Header=BB132_3 Depth=1
	s_andn2_saveexec_b64 s[46:47], s[46:47]
	s_cbranch_execz .LBB132_37
; %bb.36:                               ;   in Loop: Header=BB132_3 Depth=1
	ds_read_b64 v[10:11], v1 offset:16
	global_store_dword v[4:5], v20, off
	s_waitcnt lgkmcnt(0)
	v_add_co_u32_e32 v10, vcc, 1, v10
	v_addc_co_u32_e32 v11, vcc, 0, v11, vcc
	ds_write_b64 v1, v[10:11] offset:16
.LBB132_37:                             ;   in Loop: Header=BB132_3 Depth=1
	s_or_b64 exec, exec, s[46:47]
.LBB132_38:                             ;   in Loop: Header=BB132_3 Depth=1
	s_andn2_saveexec_b64 s[44:45], s[44:45]
	s_cbranch_execz .LBB132_40
; %bb.39:                               ;   in Loop: Header=BB132_3 Depth=1
	ds_read_b64 v[10:11], v1 offset:8
	global_store_dword v[4:5], v21, off
	s_waitcnt lgkmcnt(0)
	v_add_co_u32_e32 v10, vcc, 1, v10
	v_addc_co_u32_e32 v11, vcc, 0, v11, vcc
	ds_write_b64 v1, v[10:11] offset:8
.LBB132_40:                             ;   in Loop: Header=BB132_3 Depth=1
	s_or_b64 exec, exec, s[44:45]
.LBB132_41:                             ;   in Loop: Header=BB132_3 Depth=1
	s_andn2_saveexec_b64 s[42:43], s[42:43]
	s_cbranch_execz .LBB132_2
; %bb.42:                               ;   in Loop: Header=BB132_3 Depth=1
	ds_read_b64 v[10:11], v1
	global_store_dword v[4:5], v3, off
	s_waitcnt lgkmcnt(0)
	v_add_co_u32_e32 v10, vcc, 1, v10
	v_addc_co_u32_e32 v11, vcc, 0, v11, vcc
	ds_write_b64 v1, v[10:11]
	s_branch .LBB132_2
.LBB132_43:
	s_or_b64 exec, exec, s[10:11]
	s_movk_i32 s2, 0x80
	v_cmp_gt_u32_e32 vcc, s2, v0
	s_waitcnt lgkmcnt(0)
	s_barrier
	s_barrier
	;; [unrolled: 1-line block ×3, first 2 shown]
	s_and_saveexec_b64 s[2:3], vcc
	s_cbranch_execz .LBB132_45
; %bb.44:
	v_add_u32_e32 v2, 0x2c00, v1
	ds_read2_b64 v[2:5], v2 offset1:1
	ds_read2_b64 v[6:9], v1 offset1:1
	ds_read2_b64 v[10:13], v1 offset0:2 offset1:3
	ds_read2_b64 v[14:17], v1 offset0:8 offset1:9
	;; [unrolled: 1-line block ×3, first 2 shown]
	s_waitcnt lgkmcnt(3)
	v_add_co_u32_e32 v6, vcc, v6, v2
	v_addc_co_u32_e32 v7, vcc, v7, v3, vcc
	v_add_co_u32_e32 v8, vcc, v8, v4
	v_add_u32_e32 v2, 0x2c10, v1
	v_addc_co_u32_e32 v9, vcc, v9, v5, vcc
	ds_read2_b64 v[2:5], v2 offset1:1
	ds_write2_b64 v1, v[6:7], v[8:9] offset1:1
	v_add_u32_e32 v6, 0x2c20, v1
	ds_read2_b64 v[6:9], v6 offset1:1
	s_waitcnt lgkmcnt(2)
	v_add_co_u32_e32 v2, vcc, v10, v2
	v_addc_co_u32_e32 v3, vcc, v11, v3, vcc
	v_add_co_u32_e32 v4, vcc, v12, v4
	v_addc_co_u32_e32 v5, vcc, v13, v5, vcc
	ds_write2_b64 v1, v[2:3], v[4:5] offset0:2 offset1:3
	ds_read2_b64 v[2:5], v1 offset0:6 offset1:7
	s_waitcnt lgkmcnt(2)
	v_add_co_u32_e32 v10, vcc, v18, v6
	v_addc_co_u32_e32 v11, vcc, v19, v7, vcc
	v_add_co_u32_e32 v12, vcc, v20, v8
	v_add_u32_e32 v6, 0x2c30, v1
	v_addc_co_u32_e32 v13, vcc, v21, v9, vcc
	ds_read2_b64 v[6:9], v6 offset1:1
	ds_write2_b64 v1, v[10:11], v[12:13] offset0:4 offset1:5
	v_add_u32_e32 v10, 0x2c40, v1
	ds_read2_b64 v[10:13], v10 offset1:1
	s_waitcnt lgkmcnt(2)
	v_add_co_u32_e32 v2, vcc, v2, v6
	v_addc_co_u32_e32 v3, vcc, v3, v7, vcc
	v_add_co_u32_e32 v4, vcc, v4, v8
	v_addc_co_u32_e32 v5, vcc, v5, v9, vcc
	ds_write2_b64 v1, v[2:3], v[4:5] offset0:6 offset1:7
	v_add_u32_e32 v2, 0x50, v1
	ds_read2st64_b64 v[2:5], v2 offset1:22
	s_waitcnt lgkmcnt(2)
	v_add_co_u32_e32 v6, vcc, v14, v10
	v_addc_co_u32_e32 v7, vcc, v15, v11, vcc
	v_add_co_u32_e32 v8, vcc, v16, v12
	v_addc_co_u32_e32 v9, vcc, v17, v13, vcc
	s_waitcnt lgkmcnt(0)
	v_add_co_u32_e32 v2, vcc, v2, v4
	v_addc_co_u32_e32 v3, vcc, v3, v5, vcc
	ds_write2_b64 v1, v[6:7], v[8:9] offset0:8 offset1:9
	ds_write_b64 v1, v[2:3] offset:80
.LBB132_45:
	s_or_b64 exec, exec, s[2:3]
	v_cmp_gt_u32_e32 vcc, 64, v0
	s_waitcnt lgkmcnt(0)
	s_barrier
	s_and_saveexec_b64 s[2:3], vcc
	s_cbranch_execz .LBB132_47
; %bb.46:
	v_add_u32_e32 v2, 0x1600, v1
	ds_read2_b64 v[2:5], v2 offset1:1
	ds_read2_b64 v[6:9], v1 offset1:1
	ds_read2_b64 v[10:13], v1 offset0:2 offset1:3
	ds_read2_b64 v[14:17], v1 offset0:8 offset1:9
	;; [unrolled: 1-line block ×3, first 2 shown]
	s_waitcnt lgkmcnt(3)
	v_add_co_u32_e32 v6, vcc, v6, v2
	v_addc_co_u32_e32 v7, vcc, v7, v3, vcc
	v_add_co_u32_e32 v8, vcc, v8, v4
	v_add_u32_e32 v2, 0x1610, v1
	v_addc_co_u32_e32 v9, vcc, v9, v5, vcc
	ds_read2_b64 v[2:5], v2 offset1:1
	ds_write2_b64 v1, v[6:7], v[8:9] offset1:1
	v_add_u32_e32 v6, 0x1620, v1
	ds_read2_b64 v[6:9], v6 offset1:1
	s_waitcnt lgkmcnt(2)
	v_add_co_u32_e32 v2, vcc, v10, v2
	v_addc_co_u32_e32 v3, vcc, v11, v3, vcc
	v_add_co_u32_e32 v4, vcc, v12, v4
	v_addc_co_u32_e32 v5, vcc, v13, v5, vcc
	ds_write2_b64 v1, v[2:3], v[4:5] offset0:2 offset1:3
	ds_read2_b64 v[2:5], v1 offset0:6 offset1:7
	s_waitcnt lgkmcnt(2)
	v_add_co_u32_e32 v10, vcc, v18, v6
	v_addc_co_u32_e32 v11, vcc, v19, v7, vcc
	v_add_co_u32_e32 v12, vcc, v20, v8
	v_add_u32_e32 v6, 0x1630, v1
	v_addc_co_u32_e32 v13, vcc, v21, v9, vcc
	ds_read2_b64 v[6:9], v6 offset1:1
	ds_write2_b64 v1, v[10:11], v[12:13] offset0:4 offset1:5
	v_add_u32_e32 v10, 0x1640, v1
	ds_read2_b64 v[10:13], v10 offset1:1
	s_waitcnt lgkmcnt(2)
	v_add_co_u32_e32 v2, vcc, v2, v6
	v_addc_co_u32_e32 v3, vcc, v3, v7, vcc
	v_add_co_u32_e32 v4, vcc, v4, v8
	v_addc_co_u32_e32 v5, vcc, v5, v9, vcc
	ds_write2_b64 v1, v[2:3], v[4:5] offset0:6 offset1:7
	v_add_u32_e32 v2, 0x50, v1
	ds_read2st64_b64 v[2:5], v2 offset1:11
	s_waitcnt lgkmcnt(2)
	v_add_co_u32_e32 v6, vcc, v14, v10
	v_addc_co_u32_e32 v7, vcc, v15, v11, vcc
	v_add_co_u32_e32 v8, vcc, v16, v12
	v_addc_co_u32_e32 v9, vcc, v17, v13, vcc
	s_waitcnt lgkmcnt(0)
	v_add_co_u32_e32 v2, vcc, v2, v4
	v_addc_co_u32_e32 v3, vcc, v3, v5, vcc
	ds_write2_b64 v1, v[6:7], v[8:9] offset0:8 offset1:9
	ds_write_b64 v1, v[2:3] offset:80
.LBB132_47:
	s_or_b64 exec, exec, s[2:3]
	v_cmp_gt_u32_e32 vcc, 32, v0
	s_waitcnt lgkmcnt(0)
	s_barrier
	s_and_saveexec_b64 s[2:3], vcc
	s_cbranch_execz .LBB132_49
; %bb.48:
	v_add_u32_e32 v2, 0xb00, v1
	ds_read2_b64 v[2:5], v2 offset1:1
	ds_read2_b64 v[6:9], v1 offset1:1
	ds_read2_b64 v[10:13], v1 offset0:2 offset1:3
	ds_read_b64 v[18:19], v1 offset:2896
	ds_read2_b64 v[14:17], v1 offset0:4 offset1:5
	s_waitcnt lgkmcnt(3)
	v_add_co_u32_e32 v6, vcc, v6, v2
	v_addc_co_u32_e32 v7, vcc, v7, v3, vcc
	v_add_co_u32_e32 v8, vcc, v8, v4
	v_add_u32_e32 v2, 0xb10, v1
	v_addc_co_u32_e32 v9, vcc, v9, v5, vcc
	ds_read2_b64 v[2:5], v2 offset1:1
	ds_write2_b64 v1, v[6:7], v[8:9] offset1:1
	v_add_u32_e32 v6, 0xb20, v1
	ds_read2_b64 v[6:9], v6 offset1:1
	s_waitcnt lgkmcnt(2)
	v_add_co_u32_e32 v2, vcc, v10, v2
	v_addc_co_u32_e32 v3, vcc, v11, v3, vcc
	v_add_co_u32_e32 v4, vcc, v12, v4
	v_addc_co_u32_e32 v5, vcc, v13, v5, vcc
	ds_write2_b64 v1, v[2:3], v[4:5] offset0:2 offset1:3
	ds_read2_b64 v[2:5], v1 offset0:6 offset1:7
	s_waitcnt lgkmcnt(2)
	v_add_co_u32_e32 v10, vcc, v14, v6
	v_addc_co_u32_e32 v11, vcc, v15, v7, vcc
	v_add_co_u32_e32 v12, vcc, v16, v8
	v_add_u32_e32 v6, 0xb30, v1
	v_addc_co_u32_e32 v13, vcc, v17, v9, vcc
	ds_read2_b64 v[6:9], v6 offset1:1
	ds_write2_b64 v1, v[10:11], v[12:13] offset0:4 offset1:5
	v_add_u32_e32 v10, 0xb40, v1
	ds_read2_b64 v[10:13], v10 offset1:1
	ds_read2_b64 v[14:17], v1 offset0:8 offset1:9
	s_waitcnt lgkmcnt(3)
	v_add_co_u32_e32 v2, vcc, v2, v6
	v_addc_co_u32_e32 v3, vcc, v3, v7, vcc
	v_add_co_u32_e32 v4, vcc, v4, v8
	v_addc_co_u32_e32 v5, vcc, v5, v9, vcc
	ds_write2_b64 v1, v[2:3], v[4:5] offset0:6 offset1:7
	ds_read_b64 v[2:3], v1 offset:80
	s_waitcnt lgkmcnt(2)
	v_add_co_u32_e32 v4, vcc, v14, v10
	v_addc_co_u32_e32 v5, vcc, v15, v11, vcc
	v_add_co_u32_e32 v6, vcc, v16, v12
	v_addc_co_u32_e32 v7, vcc, v17, v13, vcc
	s_waitcnt lgkmcnt(0)
	v_add_co_u32_e32 v2, vcc, v2, v18
	v_addc_co_u32_e32 v3, vcc, v3, v19, vcc
	ds_write2_b64 v1, v[4:5], v[6:7] offset0:8 offset1:9
	ds_write_b64 v1, v[2:3] offset:80
.LBB132_49:
	s_or_b64 exec, exec, s[2:3]
	v_cmp_gt_u32_e32 vcc, 16, v0
	s_waitcnt lgkmcnt(0)
	s_barrier
	s_and_saveexec_b64 s[2:3], vcc
	s_cbranch_execz .LBB132_51
; %bb.50:
	ds_read2_b64 v[2:5], v1 offset0:176 offset1:177
	ds_read2_b64 v[6:9], v1 offset1:1
	ds_read2_b64 v[10:13], v1 offset0:2 offset1:3
	ds_read2_b64 v[14:17], v1 offset0:8 offset1:9
	ds_read2_b64 v[18:21], v1 offset0:178 offset1:179
	s_waitcnt lgkmcnt(3)
	v_add_co_u32_e32 v2, vcc, v6, v2
	v_addc_co_u32_e32 v3, vcc, v7, v3, vcc
	v_add_co_u32_e32 v4, vcc, v8, v4
	v_addc_co_u32_e32 v5, vcc, v9, v5, vcc
	ds_write2_b64 v1, v[2:3], v[4:5] offset1:1
	ds_read2_b64 v[2:5], v1 offset0:180 offset1:181
	s_waitcnt lgkmcnt(2)
	v_add_co_u32_e32 v10, vcc, v10, v18
	ds_read2_b64 v[6:9], v1 offset0:4 offset1:5
	v_addc_co_u32_e32 v11, vcc, v11, v19, vcc
	v_add_co_u32_e32 v12, vcc, v12, v20
	v_addc_co_u32_e32 v13, vcc, v13, v21, vcc
	ds_write2_b64 v1, v[10:11], v[12:13] offset0:2 offset1:3
	ds_read2_b64 v[10:13], v1 offset0:6 offset1:7
	ds_read2_b64 v[18:21], v1 offset0:182 offset1:183
	s_waitcnt lgkmcnt(3)
	v_add_co_u32_e32 v2, vcc, v6, v2
	v_addc_co_u32_e32 v3, vcc, v7, v3, vcc
	v_add_co_u32_e32 v4, vcc, v8, v4
	v_addc_co_u32_e32 v5, vcc, v9, v5, vcc
	ds_write2_b64 v1, v[2:3], v[4:5] offset0:4 offset1:5
	ds_read2_b64 v[2:5], v1 offset0:184 offset1:185
	s_waitcnt lgkmcnt(2)
	v_add_co_u32_e32 v6, vcc, v10, v18
	v_addc_co_u32_e32 v7, vcc, v11, v19, vcc
	v_add_co_u32_e32 v8, vcc, v12, v20
	v_addc_co_u32_e32 v9, vcc, v13, v21, vcc
	ds_write2_b64 v1, v[6:7], v[8:9] offset0:6 offset1:7
	ds_read2_b64 v[6:9], v1 offset0:10 offset1:186
	s_waitcnt lgkmcnt(2)
	v_add_co_u32_e32 v2, vcc, v14, v2
	v_addc_co_u32_e32 v3, vcc, v15, v3, vcc
	v_add_co_u32_e32 v4, vcc, v16, v4
	v_addc_co_u32_e32 v5, vcc, v17, v5, vcc
	ds_write2_b64 v1, v[2:3], v[4:5] offset0:8 offset1:9
	s_waitcnt lgkmcnt(1)
	v_add_co_u32_e32 v2, vcc, v6, v8
	v_addc_co_u32_e32 v3, vcc, v7, v9, vcc
	ds_write_b64 v1, v[2:3] offset:80
.LBB132_51:
	s_or_b64 exec, exec, s[2:3]
	v_cmp_gt_u32_e32 vcc, 8, v0
	s_waitcnt lgkmcnt(0)
	s_barrier
	s_and_saveexec_b64 s[2:3], vcc
	s_cbranch_execz .LBB132_53
; %bb.52:
	ds_read2_b64 v[2:5], v1 offset0:88 offset1:89
	ds_read2_b64 v[6:9], v1 offset1:1
	ds_read2_b64 v[10:13], v1 offset0:2 offset1:3
	ds_read2_b64 v[14:17], v1 offset0:8 offset1:9
	ds_read2_b64 v[18:21], v1 offset0:90 offset1:91
	s_waitcnt lgkmcnt(3)
	v_add_co_u32_e32 v2, vcc, v6, v2
	v_addc_co_u32_e32 v3, vcc, v7, v3, vcc
	v_add_co_u32_e32 v4, vcc, v8, v4
	v_addc_co_u32_e32 v5, vcc, v9, v5, vcc
	ds_write2_b64 v1, v[2:3], v[4:5] offset1:1
	ds_read2_b64 v[2:5], v1 offset0:92 offset1:93
	s_waitcnt lgkmcnt(2)
	v_add_co_u32_e32 v10, vcc, v10, v18
	ds_read2_b64 v[6:9], v1 offset0:4 offset1:5
	v_addc_co_u32_e32 v11, vcc, v11, v19, vcc
	v_add_co_u32_e32 v12, vcc, v12, v20
	v_addc_co_u32_e32 v13, vcc, v13, v21, vcc
	ds_write2_b64 v1, v[10:11], v[12:13] offset0:2 offset1:3
	ds_read2_b64 v[10:13], v1 offset0:6 offset1:7
	ds_read2_b64 v[18:21], v1 offset0:94 offset1:95
	s_waitcnt lgkmcnt(3)
	v_add_co_u32_e32 v2, vcc, v6, v2
	v_addc_co_u32_e32 v3, vcc, v7, v3, vcc
	v_add_co_u32_e32 v4, vcc, v8, v4
	v_addc_co_u32_e32 v5, vcc, v9, v5, vcc
	ds_write2_b64 v1, v[2:3], v[4:5] offset0:4 offset1:5
	ds_read2_b64 v[2:5], v1 offset0:96 offset1:97
	s_waitcnt lgkmcnt(2)
	v_add_co_u32_e32 v6, vcc, v10, v18
	v_addc_co_u32_e32 v7, vcc, v11, v19, vcc
	v_add_co_u32_e32 v8, vcc, v12, v20
	v_addc_co_u32_e32 v9, vcc, v13, v21, vcc
	ds_write2_b64 v1, v[6:7], v[8:9] offset0:6 offset1:7
	ds_read2_b64 v[6:9], v1 offset0:10 offset1:98
	s_waitcnt lgkmcnt(2)
	v_add_co_u32_e32 v2, vcc, v14, v2
	v_addc_co_u32_e32 v3, vcc, v15, v3, vcc
	v_add_co_u32_e32 v4, vcc, v16, v4
	v_addc_co_u32_e32 v5, vcc, v17, v5, vcc
	ds_write2_b64 v1, v[2:3], v[4:5] offset0:8 offset1:9
	s_waitcnt lgkmcnt(1)
	v_add_co_u32_e32 v2, vcc, v6, v8
	v_addc_co_u32_e32 v3, vcc, v7, v9, vcc
	ds_write_b64 v1, v[2:3] offset:80
.LBB132_53:
	;; [unrolled: 53-line block ×4, first 2 shown]
	s_or_b64 exec, exec, s[2:3]
	v_cmp_eq_u32_e32 vcc, 0, v0
	s_waitcnt lgkmcnt(0)
	s_barrier
	s_and_saveexec_b64 s[2:3], vcc
	s_cbranch_execz .LBB132_59
; %bb.58:
	v_mov_b32_e32 v1, 0
	ds_read_b128 v[2:5], v1 offset:80
	ds_read_b128 v[6:9], v1
	ds_read_b128 v[10:13], v1 offset:16
	ds_read_b128 v[14:17], v1 offset:32
	;; [unrolled: 1-line block ×5, first 2 shown]
	s_waitcnt lgkmcnt(5)
	v_add_co_u32_e32 v4, vcc, v6, v4
	v_addc_co_u32_e32 v5, vcc, v7, v5, vcc
	ds_read_b128 v[30:33], v1 offset:112
	s_waitcnt lgkmcnt(2)
	v_add_co_u32_e32 v6, vcc, v8, v22
	v_addc_co_u32_e32 v7, vcc, v9, v23, vcc
	ds_write_b128 v1, v[4:7]
	v_add_co_u32_e32 v4, vcc, v10, v24
	v_addc_co_u32_e32 v5, vcc, v11, v25, vcc
	s_waitcnt lgkmcnt(1)
	v_add_co_u32_e32 v6, vcc, v12, v30
	v_addc_co_u32_e32 v7, vcc, v13, v31, vcc
	ds_write_b128 v1, v[4:7] offset:16
	ds_read_b128 v[4:7], v1 offset:128
	v_add_co_u32_e32 v8, vcc, v14, v32
	v_addc_co_u32_e32 v9, vcc, v15, v33, vcc
	ds_read_b128 v[12:15], v1 offset:144
	s_waitcnt lgkmcnt(1)
	v_add_co_u32_e32 v10, vcc, v16, v4
	v_addc_co_u32_e32 v11, vcc, v17, v5, vcc
	v_add_co_u32_e32 v4, vcc, v18, v6
	v_addc_co_u32_e32 v5, vcc, v19, v7, vcc
	s_waitcnt lgkmcnt(0)
	v_add_co_u32_e32 v6, vcc, v20, v12
	v_addc_co_u32_e32 v7, vcc, v21, v13, vcc
	ds_write_b128 v1, v[4:7] offset:48
	ds_read_b128 v[4:7], v1 offset:160
	ds_write_b128 v1, v[8:11] offset:32
	v_add_co_u32_e32 v8, vcc, v26, v14
	v_addc_co_u32_e32 v9, vcc, v27, v15, vcc
	s_waitcnt lgkmcnt(1)
	v_add_co_u32_e32 v10, vcc, v28, v4
	v_addc_co_u32_e32 v11, vcc, v29, v5, vcc
	v_add_co_u32_e32 v2, vcc, v2, v6
	v_addc_co_u32_e32 v3, vcc, v3, v7, vcc
	ds_write_b128 v1, v[8:11] offset:64
	ds_write_b64 v1, v[2:3] offset:80
.LBB132_59:
	s_or_b64 exec, exec, s[2:3]
	v_cmp_gt_u32_e32 vcc, 11, v0
	s_waitcnt lgkmcnt(0)
	s_barrier
	s_and_saveexec_b64 s[2:3], vcc
	s_cbranch_execz .LBB132_61
; %bb.60:
	v_mad_u64_u32 v[2:3], s[2:3], s6, 11, v[0:1]
	v_lshlrev_b32_e32 v0, 3, v0
	ds_read_b64 v[0:1], v0
	v_mov_b32_e32 v3, 0
	v_lshlrev_b64 v[2:3], 3, v[2:3]
	v_mov_b32_e32 v4, s1
	v_add_co_u32_e32 v2, vcc, s0, v2
	v_addc_co_u32_e32 v3, vcc, v4, v3, vcc
	s_waitcnt lgkmcnt(0)
	global_store_dwordx2 v[2:3], v[0:1], off
.LBB132_61:
	s_endpgm
	.section	.rodata,"a",@progbits
	.p2align	6, 0x0
	.amdhsa_kernel _ZN9rocsparseL26csrgemm_group_reduce_part2ILj256ELj11E21rocsparse_complex_numIfEllEEvT3_PKT2_PS3_Pij
		.amdhsa_group_segment_fixed_size 22528
		.amdhsa_private_segment_fixed_size 0
		.amdhsa_kernarg_size 296
		.amdhsa_user_sgpr_count 6
		.amdhsa_user_sgpr_private_segment_buffer 1
		.amdhsa_user_sgpr_dispatch_ptr 0
		.amdhsa_user_sgpr_queue_ptr 0
		.amdhsa_user_sgpr_kernarg_segment_ptr 1
		.amdhsa_user_sgpr_dispatch_id 0
		.amdhsa_user_sgpr_flat_scratch_init 0
		.amdhsa_user_sgpr_kernarg_preload_length 0
		.amdhsa_user_sgpr_kernarg_preload_offset 0
		.amdhsa_user_sgpr_private_segment_size 0
		.amdhsa_uses_dynamic_stack 0
		.amdhsa_system_sgpr_private_segment_wavefront_offset 0
		.amdhsa_system_sgpr_workgroup_id_x 1
		.amdhsa_system_sgpr_workgroup_id_y 0
		.amdhsa_system_sgpr_workgroup_id_z 0
		.amdhsa_system_sgpr_workgroup_info 0
		.amdhsa_system_vgpr_workitem_id 0
		.amdhsa_next_free_vgpr 34
		.amdhsa_next_free_sgpr 64
		.amdhsa_accum_offset 36
		.amdhsa_reserve_vcc 1
		.amdhsa_reserve_flat_scratch 0
		.amdhsa_float_round_mode_32 0
		.amdhsa_float_round_mode_16_64 0
		.amdhsa_float_denorm_mode_32 3
		.amdhsa_float_denorm_mode_16_64 3
		.amdhsa_dx10_clamp 1
		.amdhsa_ieee_mode 1
		.amdhsa_fp16_overflow 0
		.amdhsa_tg_split 0
		.amdhsa_exception_fp_ieee_invalid_op 0
		.amdhsa_exception_fp_denorm_src 0
		.amdhsa_exception_fp_ieee_div_zero 0
		.amdhsa_exception_fp_ieee_overflow 0
		.amdhsa_exception_fp_ieee_underflow 0
		.amdhsa_exception_fp_ieee_inexact 0
		.amdhsa_exception_int_div_zero 0
	.end_amdhsa_kernel
	.section	.text._ZN9rocsparseL26csrgemm_group_reduce_part2ILj256ELj11E21rocsparse_complex_numIfEllEEvT3_PKT2_PS3_Pij,"axG",@progbits,_ZN9rocsparseL26csrgemm_group_reduce_part2ILj256ELj11E21rocsparse_complex_numIfEllEEvT3_PKT2_PS3_Pij,comdat
.Lfunc_end132:
	.size	_ZN9rocsparseL26csrgemm_group_reduce_part2ILj256ELj11E21rocsparse_complex_numIfEllEEvT3_PKT2_PS3_Pij, .Lfunc_end132-_ZN9rocsparseL26csrgemm_group_reduce_part2ILj256ELj11E21rocsparse_complex_numIfEllEEvT3_PKT2_PS3_Pij
                                        ; -- End function
	.section	.AMDGPU.csdata,"",@progbits
; Kernel info:
; codeLenInByte = 3600
; NumSgprs: 68
; NumVgprs: 34
; NumAgprs: 0
; TotalNumVgprs: 34
; ScratchSize: 0
; MemoryBound: 0
; FloatMode: 240
; IeeeMode: 1
; LDSByteSize: 22528 bytes/workgroup (compile time only)
; SGPRBlocks: 8
; VGPRBlocks: 4
; NumSGPRsForWavesPerEU: 68
; NumVGPRsForWavesPerEU: 34
; AccumOffset: 36
; Occupancy: 2
; WaveLimiterHint : 0
; COMPUTE_PGM_RSRC2:SCRATCH_EN: 0
; COMPUTE_PGM_RSRC2:USER_SGPR: 6
; COMPUTE_PGM_RSRC2:TRAP_HANDLER: 0
; COMPUTE_PGM_RSRC2:TGID_X_EN: 1
; COMPUTE_PGM_RSRC2:TGID_Y_EN: 0
; COMPUTE_PGM_RSRC2:TGID_Z_EN: 0
; COMPUTE_PGM_RSRC2:TIDIG_COMP_CNT: 0
; COMPUTE_PGM_RSRC3_GFX90A:ACCUM_OFFSET: 8
; COMPUTE_PGM_RSRC3_GFX90A:TG_SPLIT: 0
	.section	.text._ZN9rocsparseL23csrgemm_fill_wf_per_rowILj256ELj8ELj16ELj137Ell21rocsparse_complex_numIfEEEvT4_S3_PKS3_S5_NS_24const_host_device_scalarIT5_EEPKT3_S5_PKS7_SB_S5_SD_S8_SB_S5_SD_SB_PS3_PS7_21rocsparse_index_base_SG_SG_SG_bbb,"axG",@progbits,_ZN9rocsparseL23csrgemm_fill_wf_per_rowILj256ELj8ELj16ELj137Ell21rocsparse_complex_numIfEEEvT4_S3_PKS3_S5_NS_24const_host_device_scalarIT5_EEPKT3_S5_PKS7_SB_S5_SD_S8_SB_S5_SD_SB_PS3_PS7_21rocsparse_index_base_SG_SG_SG_bbb,comdat
	.globl	_ZN9rocsparseL23csrgemm_fill_wf_per_rowILj256ELj8ELj16ELj137Ell21rocsparse_complex_numIfEEEvT4_S3_PKS3_S5_NS_24const_host_device_scalarIT5_EEPKT3_S5_PKS7_SB_S5_SD_S8_SB_S5_SD_SB_PS3_PS7_21rocsparse_index_base_SG_SG_SG_bbb ; -- Begin function _ZN9rocsparseL23csrgemm_fill_wf_per_rowILj256ELj8ELj16ELj137Ell21rocsparse_complex_numIfEEEvT4_S3_PKS3_S5_NS_24const_host_device_scalarIT5_EEPKT3_S5_PKS7_SB_S5_SD_S8_SB_S5_SD_SB_PS3_PS7_21rocsparse_index_base_SG_SG_SG_bbb
	.p2align	8
	.type	_ZN9rocsparseL23csrgemm_fill_wf_per_rowILj256ELj8ELj16ELj137Ell21rocsparse_complex_numIfEEEvT4_S3_PKS3_S5_NS_24const_host_device_scalarIT5_EEPKT3_S5_PKS7_SB_S5_SD_S8_SB_S5_SD_SB_PS3_PS7_21rocsparse_index_base_SG_SG_SG_bbb,@function
_ZN9rocsparseL23csrgemm_fill_wf_per_rowILj256ELj8ELj16ELj137Ell21rocsparse_complex_numIfEEEvT4_S3_PKS3_S5_NS_24const_host_device_scalarIT5_EEPKT3_S5_PKS7_SB_S5_SD_S8_SB_S5_SD_SB_PS3_PS7_21rocsparse_index_base_SG_SG_SG_bbb: ; @_ZN9rocsparseL23csrgemm_fill_wf_per_rowILj256ELj8ELj16ELj137Ell21rocsparse_complex_numIfEEEvT4_S3_PKS3_S5_NS_24const_host_device_scalarIT5_EEPKT3_S5_PKS7_SB_S5_SD_S8_SB_S5_SD_SB_PS3_PS7_21rocsparse_index_base_SG_SG_SG_bbb
; %bb.0:
	s_load_dwordx8 s[8:15], s[4:5], 0x68
	s_load_dwordx8 s[16:23], s[4:5], 0x48
	s_load_dword s2, s[4:5], 0xa0
	s_load_dwordx4 s[40:43], s[4:5], 0x10
	s_load_dwordx8 s[24:31], s[4:5], 0x28
	s_load_dwordx2 s[34:35], s[4:5], 0x88
	s_load_dwordx4 s[36:39], s[4:5], 0x90
	s_waitcnt lgkmcnt(0)
	s_bitcmp1_b32 s2, 0
	s_cselect_b64 s[48:49], -1, 0
	s_bitcmp1_b32 s2, 16
	s_cselect_b64 s[0:1], -1, 0
	s_xor_b64 s[0:1], s[0:1], -1
	v_cndmask_b32_e64 v1, 0, 1, s[0:1]
	s_mov_b32 s45, 0
	s_bitcmp0_b32 s2, 0
	v_cmp_ne_u32_e64 s[0:1], 1, v1
	s_mov_b32 s52, 0
	s_cbranch_scc1 .LBB133_5
; %bb.1:
	s_load_dwordx2 s[44:45], s[4:5], 0x20
	s_and_b64 vcc, exec, s[0:1]
	s_waitcnt lgkmcnt(0)
	s_mov_b32 s52, s44
	s_cbranch_vccnz .LBB133_3
; %bb.2:
	s_load_dword s52, s[44:45], 0x0
.LBB133_3:
	s_and_b64 vcc, exec, s[0:1]
	s_cbranch_vccnz .LBB133_5
; %bb.4:
	s_load_dword s45, s[44:45], 0x4
.LBB133_5:
	s_bitcmp1_b32 s2, 8
	s_cselect_b64 s[46:47], -1, 0
	s_bfe_u32 s2, s2, 0x10008
	s_mov_b32 s44, 0
	s_cmp_eq_u32 s2, 0
	s_mov_b32 s33, 0
	s_cbranch_scc1 .LBB133_11
; %bb.6:
	s_and_b64 vcc, exec, s[0:1]
	s_mov_b32 s33, s20
	s_cbranch_vccnz .LBB133_8
; %bb.7:
	s_load_dword s33, s[20:21], 0x0
.LBB133_8:
	s_and_b64 vcc, exec, s[0:1]
	s_cbranch_vccnz .LBB133_10
; %bb.9:
	s_load_dword s21, s[20:21], 0x4
.LBB133_10:
	s_waitcnt lgkmcnt(0)
	s_mov_b32 s44, s21
.LBB133_11:
	s_load_dwordx4 s[0:3], s[4:5], 0x0
	v_and_b32_e32 v19, 7, v0
	v_lshrrev_b32_e32 v4, 3, v0
	v_lshlrev_b32_e32 v0, 3, v19
	v_or_b32_e32 v13, -8, v19
	v_lshl_or_b32 v16, v4, 7, v0
	v_mov_b32_e32 v2, 0
	s_mov_b64 s[4:5], 0
	s_waitcnt lgkmcnt(0)
	v_pk_mov_b32 v[0:1], s[2:3], s[2:3] op_sel:[0,1]
	v_mov_b32_e32 v3, v2
	v_mov_b32_e32 v5, v16
	;; [unrolled: 1-line block ×3, first 2 shown]
.LBB133_12:                             ; =>This Inner Loop Header: Depth=1
	v_add_co_u32_e32 v6, vcc, 8, v6
	s_xor_b64 s[20:21], vcc, -1
	s_and_b64 s[20:21], exec, s[20:21]
	ds_write2st64_b64 v5, v[2:3], v[0:1] offset1:8
	s_or_b64 s[4:5], s[20:21], s[4:5]
	v_add_u32_e32 v5, 64, v5
	s_andn2_b64 exec, exec, s[4:5]
	s_cbranch_execnz .LBB133_12
; %bb.13:
	s_or_b64 exec, exec, s[4:5]
	s_lshl_b32 s4, s6, 5
	s_and_b32 s4, s4, 0x1fffffe0
	v_or_b32_e32 v0, s4, v4
	v_mov_b32_e32 v1, 0
	v_cmp_gt_i64_e32 vcc, s[0:1], v[0:1]
	s_waitcnt lgkmcnt(0)
	s_and_saveexec_b64 s[0:1], vcc
	s_cbranch_execz .LBB133_57
; %bb.14:
	s_cmp_eq_u64 s[42:43], 0
	s_cbranch_scc1 .LBB133_16
; %bb.15:
	s_load_dwordx2 s[0:1], s[40:41], 0x0
	v_lshlrev_b32_e32 v0, 3, v0
	s_waitcnt lgkmcnt(0)
	s_lshl_b64 s[0:1], s[0:1], 3
	s_add_u32 s0, s42, s0
	s_addc_u32 s1, s43, s1
	global_load_dwordx2 v[0:1], v0, s[0:1]
.LBB133_16:
	v_lshlrev_b32_e32 v18, 7, v4
	v_or_b32_e32 v17, 0x1000, v18
	s_andn2_b64 vcc, exec, s[48:49]
	s_waitcnt vmcnt(0)
	v_lshlrev_b64 v[4:5], 3, v[0:1]
	s_cbranch_vccnz .LBB133_36
; %bb.17:
	v_mov_b32_e32 v1, s25
	v_add_co_u32_e32 v0, vcc, s24, v4
	v_addc_co_u32_e32 v1, vcc, v1, v5, vcc
	global_load_dwordx4 v[0:3], v[0:1], off
	v_subrev_co_u32_e32 v8, vcc, s36, v19
	v_subb_co_u32_e64 v9, s[0:1], 0, 0, vcc
	s_mov_b32 s6, 0
	s_waitcnt vmcnt(0)
	v_subrev_co_u32_e32 v6, vcc, s36, v2
	v_subbrev_co_u32_e32 v7, vcc, 0, v3, vcc
	v_add_co_u32_e32 v8, vcc, v0, v8
	v_addc_co_u32_e32 v9, vcc, v1, v9, vcc
	v_cmp_lt_i64_e32 vcc, v[8:9], v[6:7]
	s_and_saveexec_b64 s[0:1], vcc
	s_cbranch_execz .LBB133_35
; %bb.18:
	s_mov_b32 s53, s36
	s_mov_b32 s54, s37
	;; [unrolled: 1-line block ×3, first 2 shown]
	s_mov_b64 s[4:5], 0
	v_mov_b32_e32 v20, s27
	v_mov_b32_e32 v21, s6
	;; [unrolled: 1-line block ×3, first 2 shown]
	s_branch .LBB133_20
.LBB133_19:                             ;   in Loop: Header=BB133_20 Depth=1
	s_or_b64 exec, exec, s[6:7]
	v_add_co_u32_e32 v8, vcc, 8, v8
	v_addc_co_u32_e32 v9, vcc, 0, v9, vcc
	v_cmp_ge_i64_e32 vcc, v[8:9], v[6:7]
	s_or_b64 s[4:5], vcc, s[4:5]
	s_andn2_b64 exec, exec, s[4:5]
	s_cbranch_execz .LBB133_35
.LBB133_20:                             ; =>This Loop Header: Depth=1
                                        ;     Child Loop BB133_23 Depth 2
                                        ;       Child Loop BB133_25 Depth 3
	v_lshlrev_b64 v[10:11], 3, v[8:9]
	v_add_co_u32_e32 v0, vcc, s26, v10
	v_addc_co_u32_e32 v1, vcc, v20, v11, vcc
	global_load_dwordx2 v[0:1], v[0:1], off
	s_waitcnt vmcnt(0)
	v_subrev_co_u32_e32 v0, vcc, s53, v0
	v_subb_co_u32_e32 v1, vcc, v1, v21, vcc
	v_lshlrev_b64 v[0:1], 3, v[0:1]
	v_add_co_u32_e32 v0, vcc, s30, v0
	v_addc_co_u32_e32 v1, vcc, v22, v1, vcc
	global_load_dwordx4 v[0:3], v[0:1], off
	s_waitcnt vmcnt(0)
	v_cmp_lt_i64_e32 vcc, v[0:1], v[2:3]
	s_and_saveexec_b64 s[6:7], vcc
	s_cbranch_execz .LBB133_19
; %bb.21:                               ;   in Loop: Header=BB133_20 Depth=1
	v_mov_b32_e32 v12, s29
	v_add_co_u32_e32 v10, vcc, s28, v10
	v_addc_co_u32_e32 v11, vcc, v12, v11, vcc
	global_load_dwordx2 v[10:11], v[10:11], off
	v_mov_b32_e32 v12, s55
	v_subrev_co_u32_e32 v2, vcc, s54, v2
	v_subb_co_u32_e32 v3, vcc, v3, v12, vcc
	v_subrev_co_u32_e32 v0, vcc, s54, v0
	v_subb_co_u32_e32 v1, vcc, v1, v12, vcc
	s_mov_b64 s[20:21], 0
	s_waitcnt vmcnt(0)
	v_mul_f32_e64 v23, v11, -s45
	v_mul_f32_e32 v24, s52, v11
	v_fmac_f32_e32 v23, s52, v10
	v_fmac_f32_e32 v24, s45, v10
	s_branch .LBB133_23
.LBB133_22:                             ;   in Loop: Header=BB133_23 Depth=2
	s_or_b64 exec, exec, s[24:25]
	v_add_co_u32_e32 v0, vcc, 1, v0
	v_addc_co_u32_e32 v1, vcc, 0, v1, vcc
	v_cmp_ge_i64_e32 vcc, v[0:1], v[2:3]
	s_or_b64 s[20:21], vcc, s[20:21]
	s_andn2_b64 exec, exec, s[20:21]
	s_cbranch_execz .LBB133_19
.LBB133_23:                             ;   Parent Loop BB133_20 Depth=1
                                        ; =>  This Loop Header: Depth=2
                                        ;       Child Loop BB133_25 Depth 3
	v_lshlrev_b64 v[10:11], 3, v[0:1]
	v_mov_b32_e32 v12, s17
	v_add_co_u32_e32 v14, vcc, s16, v10
	v_addc_co_u32_e32 v15, vcc, v12, v11, vcc
	v_mov_b32_e32 v12, s19
	v_add_co_u32_e32 v10, vcc, s18, v10
	global_load_dwordx2 v[14:15], v[14:15], off
	v_addc_co_u32_e32 v11, vcc, v12, v11, vcc
	global_load_dwordx2 v[28:29], v[10:11], off
	v_mov_b32_e32 v11, s55
	s_mov_b64 s[24:25], 0
	s_waitcnt vmcnt(1)
	v_subrev_co_u32_e32 v10, vcc, s54, v14
	v_lshl_add_u32 v12, v10, 3, v10
	s_waitcnt vmcnt(0)
	v_mul_f32_e64 v25, v29, -v24
	v_mul_f32_e32 v26, v23, v29
	v_subb_co_u32_e32 v11, vcc, v15, v11, vcc
	v_fmac_f32_e32 v25, v23, v28
	v_fmac_f32_e32 v26, v24, v28
	v_and_b32_e32 v12, 15, v12
	s_branch .LBB133_25
.LBB133_24:                             ;   in Loop: Header=BB133_25 Depth=3
	s_or_b64 exec, exec, s[36:37]
	s_xor_b64 s[36:37], s[40:41], -1
	s_and_b64 s[36:37], exec, s[36:37]
	s_or_b64 s[24:25], s[36:37], s[24:25]
	s_andn2_b64 exec, exec, s[24:25]
	s_cbranch_execz .LBB133_22
.LBB133_25:                             ;   Parent Loop BB133_20 Depth=1
                                        ;     Parent Loop BB133_23 Depth=2
                                        ; =>    This Inner Loop Header: Depth=3
	v_lshl_add_u32 v27, v12, 3, v17
	ds_read_b64 v[14:15], v27
                                        ; implicit-def: $sgpr40_sgpr41
	s_waitcnt lgkmcnt(0)
	v_cmp_ne_u64_e32 vcc, v[14:15], v[10:11]
	s_and_saveexec_b64 s[36:37], vcc
	s_xor_b64 s[36:37], exec, s[36:37]
	s_cbranch_execz .LBB133_33
; %bb.26:                               ;   in Loop: Header=BB133_25 Depth=3
	v_cmp_ne_u64_e32 vcc, s[2:3], v[14:15]
                                        ; implicit-def: $sgpr40_sgpr41
	s_and_saveexec_b64 s[42:43], vcc
	s_xor_b64 s[42:43], exec, s[42:43]
; %bb.27:                               ;   in Loop: Header=BB133_25 Depth=3
	v_add_u32_e32 v12, 1, v12
	v_and_b32_e32 v12, 15, v12
	s_mov_b64 s[40:41], -1
                                        ; implicit-def: $vgpr27
; %bb.28:                               ;   in Loop: Header=BB133_25 Depth=3
	s_andn2_saveexec_b64 s[42:43], s[42:43]
	s_cbranch_execz .LBB133_32
; %bb.29:                               ;   in Loop: Header=BB133_25 Depth=3
	v_pk_mov_b32 v[14:15], s[2:3], s[2:3] op_sel:[0,1]
	ds_cmpst_rtn_b64 v[14:15], v27, v[14:15], v[10:11]
	s_mov_b64 s[48:49], -1
	s_waitcnt lgkmcnt(0)
	v_cmp_eq_u64_e32 vcc, s[2:3], v[14:15]
	s_and_saveexec_b64 s[50:51], vcc
	s_cbranch_execz .LBB133_31
; %bb.30:                               ;   in Loop: Header=BB133_25 Depth=3
	v_lshl_add_u32 v14, v12, 3, v18
	ds_add_f32 v14, v25
	ds_add_f32 v14, v26 offset:4
	s_xor_b64 s[48:49], exec, -1
.LBB133_31:                             ;   in Loop: Header=BB133_25 Depth=3
	s_or_b64 exec, exec, s[50:51]
	s_andn2_b64 s[40:41], s[40:41], exec
	s_and_b64 s[48:49], s[48:49], exec
	s_or_b64 s[40:41], s[40:41], s[48:49]
.LBB133_32:                             ;   in Loop: Header=BB133_25 Depth=3
	s_or_b64 exec, exec, s[42:43]
	s_and_b64 s[40:41], s[40:41], exec
.LBB133_33:                             ;   in Loop: Header=BB133_25 Depth=3
	s_andn2_saveexec_b64 s[36:37], s[36:37]
	s_cbranch_execz .LBB133_24
; %bb.34:                               ;   in Loop: Header=BB133_25 Depth=3
	v_lshl_add_u32 v14, v12, 3, v18
	ds_add_f32 v14, v25
	ds_add_f32 v14, v26 offset:4
	s_andn2_b64 s[40:41], s[40:41], exec
	s_branch .LBB133_24
.LBB133_35:
	s_or_b64 exec, exec, s[0:1]
.LBB133_36:
	s_andn2_b64 vcc, exec, s[46:47]
	s_cbranch_vccnz .LBB133_53
; %bb.37:
	v_mov_b32_e32 v1, s23
	v_add_co_u32_e32 v0, vcc, s22, v4
	v_addc_co_u32_e32 v1, vcc, v1, v5, vcc
	global_load_dwordx4 v[6:9], v[0:1], off
	v_subrev_co_u32_e32 v2, vcc, s39, v19
	v_subb_co_u32_e64 v3, s[0:1], 0, 0, vcc
	s_mov_b32 s6, 0
	s_waitcnt vmcnt(0)
	v_subrev_co_u32_e32 v0, vcc, s39, v8
	v_subbrev_co_u32_e32 v1, vcc, 0, v9, vcc
	v_add_co_u32_e32 v2, vcc, v6, v2
	v_addc_co_u32_e32 v3, vcc, v7, v3, vcc
	v_cmp_lt_i64_e32 vcc, v[2:3], v[0:1]
	s_and_saveexec_b64 s[0:1], vcc
	s_cbranch_execz .LBB133_52
; %bb.38:
	s_mov_b32 s26, s39
	s_mov_b64 s[4:5], 0
	v_mov_b32_e32 v9, s9
	v_mov_b32_e32 v12, s6
	;; [unrolled: 1-line block ×3, first 2 shown]
	s_branch .LBB133_40
.LBB133_39:                             ;   in Loop: Header=BB133_40 Depth=1
	s_or_b64 exec, exec, s[6:7]
	v_add_co_u32_e32 v2, vcc, 8, v2
	v_addc_co_u32_e32 v3, vcc, 0, v3, vcc
	v_cmp_ge_i64_e32 vcc, v[2:3], v[0:1]
	s_or_b64 s[4:5], vcc, s[4:5]
	s_andn2_b64 exec, exec, s[4:5]
	s_cbranch_execz .LBB133_52
.LBB133_40:                             ; =>This Loop Header: Depth=1
                                        ;     Child Loop BB133_42 Depth 2
	v_lshlrev_b64 v[6:7], 3, v[2:3]
	v_add_co_u32_e32 v10, vcc, s8, v6
	v_addc_co_u32_e32 v11, vcc, v9, v7, vcc
	v_add_co_u32_e32 v6, vcc, s10, v6
	global_load_dwordx2 v[10:11], v[10:11], off
	v_addc_co_u32_e32 v7, vcc, v14, v7, vcc
	global_load_dwordx2 v[20:21], v[6:7], off
	s_mov_b64 s[6:7], 0
	s_waitcnt vmcnt(1)
	v_subrev_co_u32_e32 v6, vcc, s26, v10
	v_lshl_add_u32 v8, v6, 3, v6
	s_waitcnt vmcnt(0)
	v_mul_f32_e64 v15, v21, -s44
	v_mul_f32_e32 v19, s33, v21
	v_subb_co_u32_e32 v7, vcc, v11, v12, vcc
	v_fmac_f32_e32 v15, s33, v20
	v_fmac_f32_e32 v19, s44, v20
	v_and_b32_e32 v8, 15, v8
	s_branch .LBB133_42
.LBB133_41:                             ;   in Loop: Header=BB133_42 Depth=2
	s_or_b64 exec, exec, s[16:17]
	s_xor_b64 s[16:17], s[18:19], -1
	s_and_b64 s[16:17], exec, s[16:17]
	s_or_b64 s[6:7], s[16:17], s[6:7]
	s_andn2_b64 exec, exec, s[6:7]
	s_cbranch_execz .LBB133_39
.LBB133_42:                             ;   Parent Loop BB133_40 Depth=1
                                        ; =>  This Inner Loop Header: Depth=2
	v_lshl_add_u32 v20, v8, 3, v17
	ds_read_b64 v[10:11], v20
                                        ; implicit-def: $sgpr18_sgpr19
	s_waitcnt lgkmcnt(0)
	v_cmp_ne_u64_e32 vcc, v[10:11], v[6:7]
	s_and_saveexec_b64 s[16:17], vcc
	s_xor_b64 s[16:17], exec, s[16:17]
	s_cbranch_execz .LBB133_50
; %bb.43:                               ;   in Loop: Header=BB133_42 Depth=2
	v_cmp_ne_u64_e32 vcc, s[2:3], v[10:11]
                                        ; implicit-def: $sgpr18_sgpr19
	s_and_saveexec_b64 s[20:21], vcc
	s_xor_b64 s[20:21], exec, s[20:21]
; %bb.44:                               ;   in Loop: Header=BB133_42 Depth=2
	v_add_u32_e32 v8, 1, v8
	v_and_b32_e32 v8, 15, v8
	s_mov_b64 s[18:19], -1
                                        ; implicit-def: $vgpr20
; %bb.45:                               ;   in Loop: Header=BB133_42 Depth=2
	s_andn2_saveexec_b64 s[20:21], s[20:21]
	s_cbranch_execz .LBB133_49
; %bb.46:                               ;   in Loop: Header=BB133_42 Depth=2
	v_pk_mov_b32 v[10:11], s[2:3], s[2:3] op_sel:[0,1]
	ds_cmpst_rtn_b64 v[10:11], v20, v[10:11], v[6:7]
	s_mov_b64 s[22:23], -1
	s_waitcnt lgkmcnt(0)
	v_cmp_eq_u64_e32 vcc, s[2:3], v[10:11]
	s_and_saveexec_b64 s[24:25], vcc
	s_cbranch_execz .LBB133_48
; %bb.47:                               ;   in Loop: Header=BB133_42 Depth=2
	v_lshl_add_u32 v10, v8, 3, v18
	ds_add_f32 v10, v15
	ds_add_f32 v10, v19 offset:4
	s_xor_b64 s[22:23], exec, -1
.LBB133_48:                             ;   in Loop: Header=BB133_42 Depth=2
	s_or_b64 exec, exec, s[24:25]
	s_andn2_b64 s[18:19], s[18:19], exec
	s_and_b64 s[22:23], s[22:23], exec
	s_or_b64 s[18:19], s[18:19], s[22:23]
.LBB133_49:                             ;   in Loop: Header=BB133_42 Depth=2
	s_or_b64 exec, exec, s[20:21]
	s_and_b64 s[18:19], s[18:19], exec
.LBB133_50:                             ;   in Loop: Header=BB133_42 Depth=2
	s_andn2_saveexec_b64 s[16:17], s[16:17]
	s_cbranch_execz .LBB133_41
; %bb.51:                               ;   in Loop: Header=BB133_42 Depth=2
	v_lshl_add_u32 v10, v8, 3, v18
	ds_add_f32 v10, v15
	ds_add_f32 v10, v19 offset:4
	s_andn2_b64 s[18:19], s[18:19], exec
	s_branch .LBB133_41
.LBB133_52:
	s_or_b64 exec, exec, s[0:1]
.LBB133_53:
	v_mov_b32_e32 v1, s13
	v_add_co_u32_e32 v0, vcc, s12, v4
	v_addc_co_u32_e32 v1, vcc, v1, v5, vcc
	s_waitcnt lgkmcnt(0)
	global_load_dwordx2 v[0:1], v[0:1], off
	s_mov_b32 s6, 0
	s_mov_b64 s[0:1], 0
	s_waitcnt vmcnt(0)
	v_subrev_co_u32_e32 v2, vcc, s38, v0
	v_subbrev_co_u32_e32 v3, vcc, 0, v1, vcc
	s_branch .LBB133_55
.LBB133_54:                             ;   in Loop: Header=BB133_55 Depth=1
	s_or_b64 exec, exec, s[4:5]
	v_add_co_u32_e32 v13, vcc, 8, v13
	s_xor_b64 s[4:5], vcc, -1
	s_and_b64 s[4:5], exec, s[4:5]
	s_or_b64 s[0:1], s[4:5], s[0:1]
	v_add_u32_e32 v16, 64, v16
	s_andn2_b64 exec, exec, s[0:1]
	s_cbranch_execz .LBB133_57
.LBB133_55:                             ; =>This Inner Loop Header: Depth=1
	ds_read_b64 v[0:1], v16 offset:4096
	s_waitcnt lgkmcnt(0)
	v_cmp_gt_i64_e32 vcc, s[2:3], v[0:1]
	s_and_saveexec_b64 s[4:5], vcc
	s_cbranch_execz .LBB133_54
; %bb.56:                               ;   in Loop: Header=BB133_55 Depth=1
	ds_read_b128 v[4:7], v17
	ds_read_b128 v[8:11], v17 offset:16
	ds_read_b128 v[18:21], v17 offset:32
	;; [unrolled: 1-line block ×3, first 2 shown]
	s_waitcnt lgkmcnt(3)
	v_cmp_gt_i64_e32 vcc, v[0:1], v[4:5]
	v_cndmask_b32_e64 v4, 0, 1, vcc
	v_add_co_u32_e32 v4, vcc, v2, v4
	v_addc_co_u32_e32 v5, vcc, 0, v3, vcc
	v_cmp_gt_i64_e32 vcc, v[0:1], v[6:7]
	v_cndmask_b32_e64 v6, 0, 1, vcc
	v_add_co_u32_e32 v4, vcc, v4, v6
	v_addc_co_u32_e32 v5, vcc, 0, v5, vcc
	s_waitcnt lgkmcnt(2)
	v_cmp_gt_i64_e32 vcc, v[0:1], v[8:9]
	v_cndmask_b32_e64 v6, 0, 1, vcc
	v_add_co_u32_e32 v4, vcc, v4, v6
	v_addc_co_u32_e32 v5, vcc, 0, v5, vcc
	v_cmp_gt_i64_e32 vcc, v[0:1], v[10:11]
	v_cndmask_b32_e64 v6, 0, 1, vcc
	v_add_co_u32_e32 v4, vcc, v4, v6
	v_addc_co_u32_e32 v5, vcc, 0, v5, vcc
	;; [unrolled: 9-line block ×3, first 2 shown]
	s_waitcnt lgkmcnt(0)
	v_cmp_gt_i64_e32 vcc, v[0:1], v[22:23]
	v_cndmask_b32_e64 v6, 0, 1, vcc
	v_add_co_u32_e32 v8, vcc, v4, v6
	v_addc_co_u32_e32 v9, vcc, 0, v5, vcc
	ds_read_b128 v[4:7], v17 offset:64
	v_cmp_gt_i64_e32 vcc, v[0:1], v[24:25]
	v_cndmask_b32_e64 v10, 0, 1, vcc
	v_add_co_u32_e32 v12, vcc, v8, v10
	v_addc_co_u32_e32 v14, vcc, 0, v9, vcc
	ds_read_b128 v[8:11], v17 offset:80
	s_waitcnt lgkmcnt(1)
	v_cmp_gt_i64_e32 vcc, v[0:1], v[4:5]
	v_cndmask_b32_e64 v4, 0, 1, vcc
	v_add_co_u32_e32 v4, vcc, v12, v4
	v_addc_co_u32_e32 v5, vcc, 0, v14, vcc
	v_cmp_gt_i64_e32 vcc, v[0:1], v[6:7]
	v_cndmask_b32_e64 v6, 0, 1, vcc
	v_add_co_u32_e32 v4, vcc, v4, v6
	v_addc_co_u32_e32 v5, vcc, 0, v5, vcc
	s_waitcnt lgkmcnt(0)
	v_cmp_gt_i64_e32 vcc, v[0:1], v[8:9]
	v_cndmask_b32_e64 v6, 0, 1, vcc
	v_add_co_u32_e32 v8, vcc, v4, v6
	v_addc_co_u32_e32 v9, vcc, 0, v5, vcc
	ds_read_b128 v[4:7], v17 offset:96
	v_cmp_gt_i64_e32 vcc, v[0:1], v[10:11]
	v_cndmask_b32_e64 v10, 0, 1, vcc
	v_add_co_u32_e32 v12, vcc, v8, v10
	v_addc_co_u32_e32 v14, vcc, 0, v9, vcc
	ds_read_b128 v[8:11], v17 offset:112
	s_waitcnt lgkmcnt(1)
	v_cmp_gt_i64_e32 vcc, v[0:1], v[4:5]
	v_cndmask_b32_e64 v4, 0, 1, vcc
	v_add_co_u32_e32 v4, vcc, v12, v4
	v_addc_co_u32_e32 v5, vcc, 0, v14, vcc
	v_cmp_gt_i64_e32 vcc, v[0:1], v[6:7]
	v_cndmask_b32_e64 v6, 0, 1, vcc
	v_add_co_u32_e32 v4, vcc, v4, v6
	v_addc_co_u32_e32 v5, vcc, 0, v5, vcc
	s_waitcnt lgkmcnt(0)
	v_cmp_gt_i64_e32 vcc, v[0:1], v[8:9]
	v_cndmask_b32_e64 v6, 0, 1, vcc
	v_add_co_u32_e32 v4, vcc, v4, v6
	v_addc_co_u32_e32 v5, vcc, 0, v5, vcc
	v_cmp_gt_i64_e32 vcc, v[0:1], v[10:11]
	v_cndmask_b32_e64 v6, 0, 1, vcc
	v_add_co_u32_e32 v4, vcc, v4, v6
	v_addc_co_u32_e32 v5, vcc, 0, v5, vcc
	v_mov_b32_e32 v6, s6
	v_add_co_u32_e32 v0, vcc, s38, v0
	v_addc_co_u32_e32 v1, vcc, v1, v6, vcc
	v_lshlrev_b64 v[4:5], 3, v[4:5]
	v_mov_b32_e32 v7, s15
	v_add_co_u32_e32 v6, vcc, s14, v4
	v_addc_co_u32_e32 v7, vcc, v7, v5, vcc
	global_store_dwordx2 v[6:7], v[0:1], off
	ds_read_b64 v[0:1], v16
	v_mov_b32_e32 v6, s35
	v_add_co_u32_e32 v4, vcc, s34, v4
	v_addc_co_u32_e32 v5, vcc, v6, v5, vcc
	s_waitcnt lgkmcnt(0)
	global_store_dwordx2 v[4:5], v[0:1], off
	s_branch .LBB133_54
.LBB133_57:
	s_endpgm
	.section	.rodata,"a",@progbits
	.p2align	6, 0x0
	.amdhsa_kernel _ZN9rocsparseL23csrgemm_fill_wf_per_rowILj256ELj8ELj16ELj137Ell21rocsparse_complex_numIfEEEvT4_S3_PKS3_S5_NS_24const_host_device_scalarIT5_EEPKT3_S5_PKS7_SB_S5_SD_S8_SB_S5_SD_SB_PS3_PS7_21rocsparse_index_base_SG_SG_SG_bbb
		.amdhsa_group_segment_fixed_size 8192
		.amdhsa_private_segment_fixed_size 0
		.amdhsa_kernarg_size 164
		.amdhsa_user_sgpr_count 6
		.amdhsa_user_sgpr_private_segment_buffer 1
		.amdhsa_user_sgpr_dispatch_ptr 0
		.amdhsa_user_sgpr_queue_ptr 0
		.amdhsa_user_sgpr_kernarg_segment_ptr 1
		.amdhsa_user_sgpr_dispatch_id 0
		.amdhsa_user_sgpr_flat_scratch_init 0
		.amdhsa_user_sgpr_kernarg_preload_length 0
		.amdhsa_user_sgpr_kernarg_preload_offset 0
		.amdhsa_user_sgpr_private_segment_size 0
		.amdhsa_uses_dynamic_stack 0
		.amdhsa_system_sgpr_private_segment_wavefront_offset 0
		.amdhsa_system_sgpr_workgroup_id_x 1
		.amdhsa_system_sgpr_workgroup_id_y 0
		.amdhsa_system_sgpr_workgroup_id_z 0
		.amdhsa_system_sgpr_workgroup_info 0
		.amdhsa_system_vgpr_workitem_id 0
		.amdhsa_next_free_vgpr 30
		.amdhsa_next_free_sgpr 56
		.amdhsa_accum_offset 32
		.amdhsa_reserve_vcc 1
		.amdhsa_reserve_flat_scratch 0
		.amdhsa_float_round_mode_32 0
		.amdhsa_float_round_mode_16_64 0
		.amdhsa_float_denorm_mode_32 3
		.amdhsa_float_denorm_mode_16_64 3
		.amdhsa_dx10_clamp 1
		.amdhsa_ieee_mode 1
		.amdhsa_fp16_overflow 0
		.amdhsa_tg_split 0
		.amdhsa_exception_fp_ieee_invalid_op 0
		.amdhsa_exception_fp_denorm_src 0
		.amdhsa_exception_fp_ieee_div_zero 0
		.amdhsa_exception_fp_ieee_overflow 0
		.amdhsa_exception_fp_ieee_underflow 0
		.amdhsa_exception_fp_ieee_inexact 0
		.amdhsa_exception_int_div_zero 0
	.end_amdhsa_kernel
	.section	.text._ZN9rocsparseL23csrgemm_fill_wf_per_rowILj256ELj8ELj16ELj137Ell21rocsparse_complex_numIfEEEvT4_S3_PKS3_S5_NS_24const_host_device_scalarIT5_EEPKT3_S5_PKS7_SB_S5_SD_S8_SB_S5_SD_SB_PS3_PS7_21rocsparse_index_base_SG_SG_SG_bbb,"axG",@progbits,_ZN9rocsparseL23csrgemm_fill_wf_per_rowILj256ELj8ELj16ELj137Ell21rocsparse_complex_numIfEEEvT4_S3_PKS3_S5_NS_24const_host_device_scalarIT5_EEPKT3_S5_PKS7_SB_S5_SD_S8_SB_S5_SD_SB_PS3_PS7_21rocsparse_index_base_SG_SG_SG_bbb,comdat
.Lfunc_end133:
	.size	_ZN9rocsparseL23csrgemm_fill_wf_per_rowILj256ELj8ELj16ELj137Ell21rocsparse_complex_numIfEEEvT4_S3_PKS3_S5_NS_24const_host_device_scalarIT5_EEPKT3_S5_PKS7_SB_S5_SD_S8_SB_S5_SD_SB_PS3_PS7_21rocsparse_index_base_SG_SG_SG_bbb, .Lfunc_end133-_ZN9rocsparseL23csrgemm_fill_wf_per_rowILj256ELj8ELj16ELj137Ell21rocsparse_complex_numIfEEEvT4_S3_PKS3_S5_NS_24const_host_device_scalarIT5_EEPKT3_S5_PKS7_SB_S5_SD_S8_SB_S5_SD_SB_PS3_PS7_21rocsparse_index_base_SG_SG_SG_bbb
                                        ; -- End function
	.section	.AMDGPU.csdata,"",@progbits
; Kernel info:
; codeLenInByte = 2136
; NumSgprs: 60
; NumVgprs: 30
; NumAgprs: 0
; TotalNumVgprs: 30
; ScratchSize: 0
; MemoryBound: 0
; FloatMode: 240
; IeeeMode: 1
; LDSByteSize: 8192 bytes/workgroup (compile time only)
; SGPRBlocks: 7
; VGPRBlocks: 3
; NumSGPRsForWavesPerEU: 60
; NumVGPRsForWavesPerEU: 30
; AccumOffset: 32
; Occupancy: 8
; WaveLimiterHint : 1
; COMPUTE_PGM_RSRC2:SCRATCH_EN: 0
; COMPUTE_PGM_RSRC2:USER_SGPR: 6
; COMPUTE_PGM_RSRC2:TRAP_HANDLER: 0
; COMPUTE_PGM_RSRC2:TGID_X_EN: 1
; COMPUTE_PGM_RSRC2:TGID_Y_EN: 0
; COMPUTE_PGM_RSRC2:TGID_Z_EN: 0
; COMPUTE_PGM_RSRC2:TIDIG_COMP_CNT: 0
; COMPUTE_PGM_RSRC3_GFX90A:ACCUM_OFFSET: 7
; COMPUTE_PGM_RSRC3_GFX90A:TG_SPLIT: 0
	.section	.text._ZN9rocsparseL23csrgemm_fill_wf_per_rowILj256ELj16ELj32ELj137Ell21rocsparse_complex_numIfEEEvT4_S3_PKS3_S5_NS_24const_host_device_scalarIT5_EEPKT3_S5_PKS7_SB_S5_SD_S8_SB_S5_SD_SB_PS3_PS7_21rocsparse_index_base_SG_SG_SG_bbb,"axG",@progbits,_ZN9rocsparseL23csrgemm_fill_wf_per_rowILj256ELj16ELj32ELj137Ell21rocsparse_complex_numIfEEEvT4_S3_PKS3_S5_NS_24const_host_device_scalarIT5_EEPKT3_S5_PKS7_SB_S5_SD_S8_SB_S5_SD_SB_PS3_PS7_21rocsparse_index_base_SG_SG_SG_bbb,comdat
	.globl	_ZN9rocsparseL23csrgemm_fill_wf_per_rowILj256ELj16ELj32ELj137Ell21rocsparse_complex_numIfEEEvT4_S3_PKS3_S5_NS_24const_host_device_scalarIT5_EEPKT3_S5_PKS7_SB_S5_SD_S8_SB_S5_SD_SB_PS3_PS7_21rocsparse_index_base_SG_SG_SG_bbb ; -- Begin function _ZN9rocsparseL23csrgemm_fill_wf_per_rowILj256ELj16ELj32ELj137Ell21rocsparse_complex_numIfEEEvT4_S3_PKS3_S5_NS_24const_host_device_scalarIT5_EEPKT3_S5_PKS7_SB_S5_SD_S8_SB_S5_SD_SB_PS3_PS7_21rocsparse_index_base_SG_SG_SG_bbb
	.p2align	8
	.type	_ZN9rocsparseL23csrgemm_fill_wf_per_rowILj256ELj16ELj32ELj137Ell21rocsparse_complex_numIfEEEvT4_S3_PKS3_S5_NS_24const_host_device_scalarIT5_EEPKT3_S5_PKS7_SB_S5_SD_S8_SB_S5_SD_SB_PS3_PS7_21rocsparse_index_base_SG_SG_SG_bbb,@function
_ZN9rocsparseL23csrgemm_fill_wf_per_rowILj256ELj16ELj32ELj137Ell21rocsparse_complex_numIfEEEvT4_S3_PKS3_S5_NS_24const_host_device_scalarIT5_EEPKT3_S5_PKS7_SB_S5_SD_S8_SB_S5_SD_SB_PS3_PS7_21rocsparse_index_base_SG_SG_SG_bbb: ; @_ZN9rocsparseL23csrgemm_fill_wf_per_rowILj256ELj16ELj32ELj137Ell21rocsparse_complex_numIfEEEvT4_S3_PKS3_S5_NS_24const_host_device_scalarIT5_EEPKT3_S5_PKS7_SB_S5_SD_S8_SB_S5_SD_SB_PS3_PS7_21rocsparse_index_base_SG_SG_SG_bbb
; %bb.0:
	s_load_dwordx8 s[8:15], s[4:5], 0x68
	s_load_dwordx8 s[16:23], s[4:5], 0x48
	s_load_dword s2, s[4:5], 0xa0
	s_load_dwordx4 s[40:43], s[4:5], 0x10
	s_load_dwordx8 s[24:31], s[4:5], 0x28
	s_load_dwordx2 s[34:35], s[4:5], 0x88
	s_load_dwordx4 s[36:39], s[4:5], 0x90
	s_waitcnt lgkmcnt(0)
	s_bitcmp1_b32 s2, 0
	s_cselect_b64 s[48:49], -1, 0
	s_bitcmp1_b32 s2, 16
	s_cselect_b64 s[0:1], -1, 0
	s_xor_b64 s[0:1], s[0:1], -1
	v_cndmask_b32_e64 v1, 0, 1, s[0:1]
	s_mov_b32 s45, 0
	s_bitcmp0_b32 s2, 0
	v_cmp_ne_u32_e64 s[0:1], 1, v1
	s_mov_b32 s52, 0
	s_cbranch_scc1 .LBB134_5
; %bb.1:
	s_load_dwordx2 s[44:45], s[4:5], 0x20
	s_and_b64 vcc, exec, s[0:1]
	s_waitcnt lgkmcnt(0)
	s_mov_b32 s52, s44
	s_cbranch_vccnz .LBB134_3
; %bb.2:
	s_load_dword s52, s[44:45], 0x0
.LBB134_3:
	s_and_b64 vcc, exec, s[0:1]
	s_cbranch_vccnz .LBB134_5
; %bb.4:
	s_load_dword s45, s[44:45], 0x4
.LBB134_5:
	s_bitcmp1_b32 s2, 8
	s_cselect_b64 s[46:47], -1, 0
	s_bfe_u32 s2, s2, 0x10008
	s_mov_b32 s44, 0
	s_cmp_eq_u32 s2, 0
	s_mov_b32 s33, 0
	s_cbranch_scc1 .LBB134_11
; %bb.6:
	s_and_b64 vcc, exec, s[0:1]
	s_mov_b32 s33, s20
	s_cbranch_vccnz .LBB134_8
; %bb.7:
	s_load_dword s33, s[20:21], 0x0
.LBB134_8:
	s_and_b64 vcc, exec, s[0:1]
	s_cbranch_vccnz .LBB134_10
; %bb.9:
	s_load_dword s21, s[20:21], 0x4
.LBB134_10:
	s_waitcnt lgkmcnt(0)
	s_mov_b32 s44, s21
.LBB134_11:
	s_load_dwordx4 s[0:3], s[4:5], 0x0
	v_and_b32_e32 v19, 15, v0
	v_lshrrev_b32_e32 v4, 4, v0
	v_lshlrev_b32_e32 v0, 3, v19
	v_or_b32_e32 v13, -16, v19
	v_lshl_or_b32 v16, v4, 8, v0
	v_mov_b32_e32 v2, 0
	s_mov_b64 s[4:5], 0
	s_waitcnt lgkmcnt(0)
	v_pk_mov_b32 v[0:1], s[2:3], s[2:3] op_sel:[0,1]
	v_mov_b32_e32 v3, v2
	v_mov_b32_e32 v5, v16
	;; [unrolled: 1-line block ×3, first 2 shown]
.LBB134_12:                             ; =>This Inner Loop Header: Depth=1
	v_add_co_u32_e32 v6, vcc, 16, v6
	s_xor_b64 s[20:21], vcc, -1
	s_and_b64 s[20:21], exec, s[20:21]
	ds_write2st64_b64 v5, v[2:3], v[0:1] offset1:8
	s_or_b64 s[4:5], s[20:21], s[4:5]
	v_add_u32_e32 v5, 0x80, v5
	s_andn2_b64 exec, exec, s[4:5]
	s_cbranch_execnz .LBB134_12
; %bb.13:
	s_or_b64 exec, exec, s[4:5]
	s_lshl_b32 s4, s6, 4
	s_and_b32 s4, s4, 0xffffff0
	v_or_b32_e32 v0, s4, v4
	v_mov_b32_e32 v1, 0
	v_cmp_gt_i64_e32 vcc, s[0:1], v[0:1]
	s_waitcnt lgkmcnt(0)
	s_and_saveexec_b64 s[0:1], vcc
	s_cbranch_execz .LBB134_57
; %bb.14:
	s_cmp_eq_u64 s[42:43], 0
	s_cbranch_scc1 .LBB134_16
; %bb.15:
	s_load_dwordx2 s[0:1], s[40:41], 0x0
	v_lshlrev_b32_e32 v0, 3, v0
	s_waitcnt lgkmcnt(0)
	s_lshl_b64 s[0:1], s[0:1], 3
	s_add_u32 s0, s42, s0
	s_addc_u32 s1, s43, s1
	global_load_dwordx2 v[0:1], v0, s[0:1]
.LBB134_16:
	v_lshlrev_b32_e32 v18, 8, v4
	v_or_b32_e32 v17, 0x1000, v18
	s_andn2_b64 vcc, exec, s[48:49]
	s_waitcnt vmcnt(0)
	v_lshlrev_b64 v[4:5], 3, v[0:1]
	s_cbranch_vccnz .LBB134_36
; %bb.17:
	v_mov_b32_e32 v1, s25
	v_add_co_u32_e32 v0, vcc, s24, v4
	v_addc_co_u32_e32 v1, vcc, v1, v5, vcc
	global_load_dwordx4 v[0:3], v[0:1], off
	v_subrev_co_u32_e32 v8, vcc, s36, v19
	v_subb_co_u32_e64 v9, s[0:1], 0, 0, vcc
	s_mov_b32 s6, 0
	s_waitcnt vmcnt(0)
	v_subrev_co_u32_e32 v6, vcc, s36, v2
	v_subbrev_co_u32_e32 v7, vcc, 0, v3, vcc
	v_add_co_u32_e32 v8, vcc, v0, v8
	v_addc_co_u32_e32 v9, vcc, v1, v9, vcc
	v_cmp_lt_i64_e32 vcc, v[8:9], v[6:7]
	s_and_saveexec_b64 s[0:1], vcc
	s_cbranch_execz .LBB134_35
; %bb.18:
	s_mov_b32 s53, s36
	s_mov_b32 s54, s37
	;; [unrolled: 1-line block ×3, first 2 shown]
	s_mov_b64 s[4:5], 0
	v_mov_b32_e32 v20, s27
	v_mov_b32_e32 v21, s6
	;; [unrolled: 1-line block ×3, first 2 shown]
	s_branch .LBB134_20
.LBB134_19:                             ;   in Loop: Header=BB134_20 Depth=1
	s_or_b64 exec, exec, s[6:7]
	v_add_co_u32_e32 v8, vcc, 16, v8
	v_addc_co_u32_e32 v9, vcc, 0, v9, vcc
	v_cmp_ge_i64_e32 vcc, v[8:9], v[6:7]
	s_or_b64 s[4:5], vcc, s[4:5]
	s_andn2_b64 exec, exec, s[4:5]
	s_cbranch_execz .LBB134_35
.LBB134_20:                             ; =>This Loop Header: Depth=1
                                        ;     Child Loop BB134_23 Depth 2
                                        ;       Child Loop BB134_25 Depth 3
	v_lshlrev_b64 v[10:11], 3, v[8:9]
	v_add_co_u32_e32 v0, vcc, s26, v10
	v_addc_co_u32_e32 v1, vcc, v20, v11, vcc
	global_load_dwordx2 v[0:1], v[0:1], off
	s_waitcnt vmcnt(0)
	v_subrev_co_u32_e32 v0, vcc, s53, v0
	v_subb_co_u32_e32 v1, vcc, v1, v21, vcc
	v_lshlrev_b64 v[0:1], 3, v[0:1]
	v_add_co_u32_e32 v0, vcc, s30, v0
	v_addc_co_u32_e32 v1, vcc, v22, v1, vcc
	global_load_dwordx4 v[0:3], v[0:1], off
	s_waitcnt vmcnt(0)
	v_cmp_lt_i64_e32 vcc, v[0:1], v[2:3]
	s_and_saveexec_b64 s[6:7], vcc
	s_cbranch_execz .LBB134_19
; %bb.21:                               ;   in Loop: Header=BB134_20 Depth=1
	v_mov_b32_e32 v12, s29
	v_add_co_u32_e32 v10, vcc, s28, v10
	v_addc_co_u32_e32 v11, vcc, v12, v11, vcc
	global_load_dwordx2 v[10:11], v[10:11], off
	v_mov_b32_e32 v12, s55
	v_subrev_co_u32_e32 v2, vcc, s54, v2
	v_subb_co_u32_e32 v3, vcc, v3, v12, vcc
	v_subrev_co_u32_e32 v0, vcc, s54, v0
	v_subb_co_u32_e32 v1, vcc, v1, v12, vcc
	s_mov_b64 s[20:21], 0
	s_waitcnt vmcnt(0)
	v_mul_f32_e64 v23, v11, -s45
	v_mul_f32_e32 v24, s52, v11
	v_fmac_f32_e32 v23, s52, v10
	v_fmac_f32_e32 v24, s45, v10
	s_branch .LBB134_23
.LBB134_22:                             ;   in Loop: Header=BB134_23 Depth=2
	s_or_b64 exec, exec, s[24:25]
	v_add_co_u32_e32 v0, vcc, 1, v0
	v_addc_co_u32_e32 v1, vcc, 0, v1, vcc
	v_cmp_ge_i64_e32 vcc, v[0:1], v[2:3]
	s_or_b64 s[20:21], vcc, s[20:21]
	s_andn2_b64 exec, exec, s[20:21]
	s_cbranch_execz .LBB134_19
.LBB134_23:                             ;   Parent Loop BB134_20 Depth=1
                                        ; =>  This Loop Header: Depth=2
                                        ;       Child Loop BB134_25 Depth 3
	v_lshlrev_b64 v[10:11], 3, v[0:1]
	v_mov_b32_e32 v12, s17
	v_add_co_u32_e32 v14, vcc, s16, v10
	v_addc_co_u32_e32 v15, vcc, v12, v11, vcc
	v_mov_b32_e32 v12, s19
	v_add_co_u32_e32 v10, vcc, s18, v10
	global_load_dwordx2 v[14:15], v[14:15], off
	v_addc_co_u32_e32 v11, vcc, v12, v11, vcc
	global_load_dwordx2 v[28:29], v[10:11], off
	v_mov_b32_e32 v11, s55
	s_mov_b64 s[24:25], 0
	s_waitcnt vmcnt(1)
	v_subrev_co_u32_e32 v10, vcc, s54, v14
	v_lshl_add_u32 v12, v10, 3, v10
	s_waitcnt vmcnt(0)
	v_mul_f32_e64 v25, v29, -v24
	v_mul_f32_e32 v26, v23, v29
	v_subb_co_u32_e32 v11, vcc, v15, v11, vcc
	v_fmac_f32_e32 v25, v23, v28
	v_fmac_f32_e32 v26, v24, v28
	v_and_b32_e32 v12, 31, v12
	s_branch .LBB134_25
.LBB134_24:                             ;   in Loop: Header=BB134_25 Depth=3
	s_or_b64 exec, exec, s[36:37]
	s_xor_b64 s[36:37], s[40:41], -1
	s_and_b64 s[36:37], exec, s[36:37]
	s_or_b64 s[24:25], s[36:37], s[24:25]
	s_andn2_b64 exec, exec, s[24:25]
	s_cbranch_execz .LBB134_22
.LBB134_25:                             ;   Parent Loop BB134_20 Depth=1
                                        ;     Parent Loop BB134_23 Depth=2
                                        ; =>    This Inner Loop Header: Depth=3
	v_lshl_add_u32 v27, v12, 3, v17
	ds_read_b64 v[14:15], v27
                                        ; implicit-def: $sgpr40_sgpr41
	s_waitcnt lgkmcnt(0)
	v_cmp_ne_u64_e32 vcc, v[14:15], v[10:11]
	s_and_saveexec_b64 s[36:37], vcc
	s_xor_b64 s[36:37], exec, s[36:37]
	s_cbranch_execz .LBB134_33
; %bb.26:                               ;   in Loop: Header=BB134_25 Depth=3
	v_cmp_ne_u64_e32 vcc, s[2:3], v[14:15]
                                        ; implicit-def: $sgpr40_sgpr41
	s_and_saveexec_b64 s[42:43], vcc
	s_xor_b64 s[42:43], exec, s[42:43]
; %bb.27:                               ;   in Loop: Header=BB134_25 Depth=3
	v_add_u32_e32 v12, 1, v12
	v_and_b32_e32 v12, 31, v12
	s_mov_b64 s[40:41], -1
                                        ; implicit-def: $vgpr27
; %bb.28:                               ;   in Loop: Header=BB134_25 Depth=3
	s_andn2_saveexec_b64 s[42:43], s[42:43]
	s_cbranch_execz .LBB134_32
; %bb.29:                               ;   in Loop: Header=BB134_25 Depth=3
	v_pk_mov_b32 v[14:15], s[2:3], s[2:3] op_sel:[0,1]
	ds_cmpst_rtn_b64 v[14:15], v27, v[14:15], v[10:11]
	s_mov_b64 s[48:49], -1
	s_waitcnt lgkmcnt(0)
	v_cmp_eq_u64_e32 vcc, s[2:3], v[14:15]
	s_and_saveexec_b64 s[50:51], vcc
	s_cbranch_execz .LBB134_31
; %bb.30:                               ;   in Loop: Header=BB134_25 Depth=3
	v_lshl_add_u32 v14, v12, 3, v18
	ds_add_f32 v14, v25
	ds_add_f32 v14, v26 offset:4
	s_xor_b64 s[48:49], exec, -1
.LBB134_31:                             ;   in Loop: Header=BB134_25 Depth=3
	s_or_b64 exec, exec, s[50:51]
	s_andn2_b64 s[40:41], s[40:41], exec
	s_and_b64 s[48:49], s[48:49], exec
	s_or_b64 s[40:41], s[40:41], s[48:49]
.LBB134_32:                             ;   in Loop: Header=BB134_25 Depth=3
	s_or_b64 exec, exec, s[42:43]
	s_and_b64 s[40:41], s[40:41], exec
.LBB134_33:                             ;   in Loop: Header=BB134_25 Depth=3
	s_andn2_saveexec_b64 s[36:37], s[36:37]
	s_cbranch_execz .LBB134_24
; %bb.34:                               ;   in Loop: Header=BB134_25 Depth=3
	v_lshl_add_u32 v14, v12, 3, v18
	ds_add_f32 v14, v25
	ds_add_f32 v14, v26 offset:4
	s_andn2_b64 s[40:41], s[40:41], exec
	s_branch .LBB134_24
.LBB134_35:
	s_or_b64 exec, exec, s[0:1]
.LBB134_36:
	s_andn2_b64 vcc, exec, s[46:47]
	s_cbranch_vccnz .LBB134_53
; %bb.37:
	v_mov_b32_e32 v1, s23
	v_add_co_u32_e32 v0, vcc, s22, v4
	v_addc_co_u32_e32 v1, vcc, v1, v5, vcc
	global_load_dwordx4 v[6:9], v[0:1], off
	v_subrev_co_u32_e32 v2, vcc, s39, v19
	v_subb_co_u32_e64 v3, s[0:1], 0, 0, vcc
	s_mov_b32 s6, 0
	s_waitcnt vmcnt(0)
	v_subrev_co_u32_e32 v0, vcc, s39, v8
	v_subbrev_co_u32_e32 v1, vcc, 0, v9, vcc
	v_add_co_u32_e32 v2, vcc, v6, v2
	v_addc_co_u32_e32 v3, vcc, v7, v3, vcc
	v_cmp_lt_i64_e32 vcc, v[2:3], v[0:1]
	s_and_saveexec_b64 s[0:1], vcc
	s_cbranch_execz .LBB134_52
; %bb.38:
	s_mov_b32 s26, s39
	s_mov_b64 s[4:5], 0
	v_mov_b32_e32 v9, s9
	v_mov_b32_e32 v12, s6
	;; [unrolled: 1-line block ×3, first 2 shown]
	s_branch .LBB134_40
.LBB134_39:                             ;   in Loop: Header=BB134_40 Depth=1
	s_or_b64 exec, exec, s[6:7]
	v_add_co_u32_e32 v2, vcc, 16, v2
	v_addc_co_u32_e32 v3, vcc, 0, v3, vcc
	v_cmp_ge_i64_e32 vcc, v[2:3], v[0:1]
	s_or_b64 s[4:5], vcc, s[4:5]
	s_andn2_b64 exec, exec, s[4:5]
	s_cbranch_execz .LBB134_52
.LBB134_40:                             ; =>This Loop Header: Depth=1
                                        ;     Child Loop BB134_42 Depth 2
	v_lshlrev_b64 v[6:7], 3, v[2:3]
	v_add_co_u32_e32 v10, vcc, s8, v6
	v_addc_co_u32_e32 v11, vcc, v9, v7, vcc
	v_add_co_u32_e32 v6, vcc, s10, v6
	global_load_dwordx2 v[10:11], v[10:11], off
	v_addc_co_u32_e32 v7, vcc, v14, v7, vcc
	global_load_dwordx2 v[20:21], v[6:7], off
	s_mov_b64 s[6:7], 0
	s_waitcnt vmcnt(1)
	v_subrev_co_u32_e32 v6, vcc, s26, v10
	v_lshl_add_u32 v8, v6, 3, v6
	s_waitcnt vmcnt(0)
	v_mul_f32_e64 v15, v21, -s44
	v_mul_f32_e32 v19, s33, v21
	v_subb_co_u32_e32 v7, vcc, v11, v12, vcc
	v_fmac_f32_e32 v15, s33, v20
	v_fmac_f32_e32 v19, s44, v20
	v_and_b32_e32 v8, 31, v8
	s_branch .LBB134_42
.LBB134_41:                             ;   in Loop: Header=BB134_42 Depth=2
	s_or_b64 exec, exec, s[16:17]
	s_xor_b64 s[16:17], s[18:19], -1
	s_and_b64 s[16:17], exec, s[16:17]
	s_or_b64 s[6:7], s[16:17], s[6:7]
	s_andn2_b64 exec, exec, s[6:7]
	s_cbranch_execz .LBB134_39
.LBB134_42:                             ;   Parent Loop BB134_40 Depth=1
                                        ; =>  This Inner Loop Header: Depth=2
	v_lshl_add_u32 v20, v8, 3, v17
	ds_read_b64 v[10:11], v20
                                        ; implicit-def: $sgpr18_sgpr19
	s_waitcnt lgkmcnt(0)
	v_cmp_ne_u64_e32 vcc, v[10:11], v[6:7]
	s_and_saveexec_b64 s[16:17], vcc
	s_xor_b64 s[16:17], exec, s[16:17]
	s_cbranch_execz .LBB134_50
; %bb.43:                               ;   in Loop: Header=BB134_42 Depth=2
	v_cmp_ne_u64_e32 vcc, s[2:3], v[10:11]
                                        ; implicit-def: $sgpr18_sgpr19
	s_and_saveexec_b64 s[20:21], vcc
	s_xor_b64 s[20:21], exec, s[20:21]
; %bb.44:                               ;   in Loop: Header=BB134_42 Depth=2
	v_add_u32_e32 v8, 1, v8
	v_and_b32_e32 v8, 31, v8
	s_mov_b64 s[18:19], -1
                                        ; implicit-def: $vgpr20
; %bb.45:                               ;   in Loop: Header=BB134_42 Depth=2
	s_andn2_saveexec_b64 s[20:21], s[20:21]
	s_cbranch_execz .LBB134_49
; %bb.46:                               ;   in Loop: Header=BB134_42 Depth=2
	v_pk_mov_b32 v[10:11], s[2:3], s[2:3] op_sel:[0,1]
	ds_cmpst_rtn_b64 v[10:11], v20, v[10:11], v[6:7]
	s_mov_b64 s[22:23], -1
	s_waitcnt lgkmcnt(0)
	v_cmp_eq_u64_e32 vcc, s[2:3], v[10:11]
	s_and_saveexec_b64 s[24:25], vcc
	s_cbranch_execz .LBB134_48
; %bb.47:                               ;   in Loop: Header=BB134_42 Depth=2
	v_lshl_add_u32 v10, v8, 3, v18
	ds_add_f32 v10, v15
	ds_add_f32 v10, v19 offset:4
	s_xor_b64 s[22:23], exec, -1
.LBB134_48:                             ;   in Loop: Header=BB134_42 Depth=2
	s_or_b64 exec, exec, s[24:25]
	s_andn2_b64 s[18:19], s[18:19], exec
	s_and_b64 s[22:23], s[22:23], exec
	s_or_b64 s[18:19], s[18:19], s[22:23]
.LBB134_49:                             ;   in Loop: Header=BB134_42 Depth=2
	s_or_b64 exec, exec, s[20:21]
	s_and_b64 s[18:19], s[18:19], exec
.LBB134_50:                             ;   in Loop: Header=BB134_42 Depth=2
	s_andn2_saveexec_b64 s[16:17], s[16:17]
	s_cbranch_execz .LBB134_41
; %bb.51:                               ;   in Loop: Header=BB134_42 Depth=2
	v_lshl_add_u32 v10, v8, 3, v18
	ds_add_f32 v10, v15
	ds_add_f32 v10, v19 offset:4
	s_andn2_b64 s[18:19], s[18:19], exec
	s_branch .LBB134_41
.LBB134_52:
	s_or_b64 exec, exec, s[0:1]
.LBB134_53:
	v_mov_b32_e32 v1, s13
	v_add_co_u32_e32 v0, vcc, s12, v4
	v_addc_co_u32_e32 v1, vcc, v1, v5, vcc
	s_waitcnt lgkmcnt(0)
	global_load_dwordx2 v[0:1], v[0:1], off
	s_mov_b32 s6, 0
	s_mov_b64 s[0:1], 0
	s_waitcnt vmcnt(0)
	v_subrev_co_u32_e32 v2, vcc, s38, v0
	v_subbrev_co_u32_e32 v3, vcc, 0, v1, vcc
	s_branch .LBB134_55
.LBB134_54:                             ;   in Loop: Header=BB134_55 Depth=1
	s_or_b64 exec, exec, s[4:5]
	v_add_co_u32_e32 v13, vcc, 16, v13
	s_xor_b64 s[4:5], vcc, -1
	s_and_b64 s[4:5], exec, s[4:5]
	s_or_b64 s[0:1], s[4:5], s[0:1]
	v_add_u32_e32 v16, 0x80, v16
	s_andn2_b64 exec, exec, s[0:1]
	s_cbranch_execz .LBB134_57
.LBB134_55:                             ; =>This Inner Loop Header: Depth=1
	ds_read_b64 v[0:1], v16 offset:4096
	s_waitcnt lgkmcnt(0)
	v_cmp_gt_i64_e32 vcc, s[2:3], v[0:1]
	s_and_saveexec_b64 s[4:5], vcc
	s_cbranch_execz .LBB134_54
; %bb.56:                               ;   in Loop: Header=BB134_55 Depth=1
	ds_read_b128 v[4:7], v17
	ds_read_b128 v[8:11], v17 offset:16
	ds_read_b128 v[18:21], v17 offset:32
	;; [unrolled: 1-line block ×3, first 2 shown]
	s_waitcnt lgkmcnt(3)
	v_cmp_gt_i64_e32 vcc, v[0:1], v[4:5]
	v_cndmask_b32_e64 v4, 0, 1, vcc
	v_add_co_u32_e32 v4, vcc, v2, v4
	v_addc_co_u32_e32 v5, vcc, 0, v3, vcc
	v_cmp_gt_i64_e32 vcc, v[0:1], v[6:7]
	v_cndmask_b32_e64 v6, 0, 1, vcc
	v_add_co_u32_e32 v4, vcc, v4, v6
	v_addc_co_u32_e32 v5, vcc, 0, v5, vcc
	s_waitcnt lgkmcnt(2)
	v_cmp_gt_i64_e32 vcc, v[0:1], v[8:9]
	v_cndmask_b32_e64 v6, 0, 1, vcc
	v_add_co_u32_e32 v4, vcc, v4, v6
	v_addc_co_u32_e32 v5, vcc, 0, v5, vcc
	v_cmp_gt_i64_e32 vcc, v[0:1], v[10:11]
	v_cndmask_b32_e64 v6, 0, 1, vcc
	v_add_co_u32_e32 v4, vcc, v4, v6
	v_addc_co_u32_e32 v5, vcc, 0, v5, vcc
	;; [unrolled: 9-line block ×3, first 2 shown]
	s_waitcnt lgkmcnt(0)
	v_cmp_gt_i64_e32 vcc, v[0:1], v[22:23]
	v_cndmask_b32_e64 v6, 0, 1, vcc
	v_add_co_u32_e32 v8, vcc, v4, v6
	v_addc_co_u32_e32 v9, vcc, 0, v5, vcc
	ds_read_b128 v[4:7], v17 offset:64
	v_cmp_gt_i64_e32 vcc, v[0:1], v[24:25]
	v_cndmask_b32_e64 v10, 0, 1, vcc
	v_add_co_u32_e32 v12, vcc, v8, v10
	v_addc_co_u32_e32 v14, vcc, 0, v9, vcc
	ds_read_b128 v[8:11], v17 offset:80
	s_waitcnt lgkmcnt(1)
	v_cmp_gt_i64_e32 vcc, v[0:1], v[4:5]
	v_cndmask_b32_e64 v4, 0, 1, vcc
	v_add_co_u32_e32 v4, vcc, v12, v4
	v_addc_co_u32_e32 v5, vcc, 0, v14, vcc
	v_cmp_gt_i64_e32 vcc, v[0:1], v[6:7]
	v_cndmask_b32_e64 v6, 0, 1, vcc
	v_add_co_u32_e32 v4, vcc, v4, v6
	v_addc_co_u32_e32 v5, vcc, 0, v5, vcc
	s_waitcnt lgkmcnt(0)
	v_cmp_gt_i64_e32 vcc, v[0:1], v[8:9]
	v_cndmask_b32_e64 v6, 0, 1, vcc
	v_add_co_u32_e32 v8, vcc, v4, v6
	v_addc_co_u32_e32 v9, vcc, 0, v5, vcc
	ds_read_b128 v[4:7], v17 offset:96
	v_cmp_gt_i64_e32 vcc, v[0:1], v[10:11]
	v_cndmask_b32_e64 v10, 0, 1, vcc
	v_add_co_u32_e32 v12, vcc, v8, v10
	v_addc_co_u32_e32 v14, vcc, 0, v9, vcc
	ds_read_b128 v[8:11], v17 offset:112
	s_waitcnt lgkmcnt(1)
	v_cmp_gt_i64_e32 vcc, v[0:1], v[4:5]
	v_cndmask_b32_e64 v4, 0, 1, vcc
	v_add_co_u32_e32 v4, vcc, v12, v4
	v_addc_co_u32_e32 v5, vcc, 0, v14, vcc
	v_cmp_gt_i64_e32 vcc, v[0:1], v[6:7]
	v_cndmask_b32_e64 v6, 0, 1, vcc
	v_add_co_u32_e32 v4, vcc, v4, v6
	v_addc_co_u32_e32 v5, vcc, 0, v5, vcc
	;; [unrolled: 20-line block ×6, first 2 shown]
	s_waitcnt lgkmcnt(0)
	v_cmp_gt_i64_e32 vcc, v[0:1], v[8:9]
	v_cndmask_b32_e64 v6, 0, 1, vcc
	v_add_co_u32_e32 v4, vcc, v4, v6
	v_addc_co_u32_e32 v5, vcc, 0, v5, vcc
	v_cmp_gt_i64_e32 vcc, v[0:1], v[10:11]
	v_cndmask_b32_e64 v6, 0, 1, vcc
	v_add_co_u32_e32 v4, vcc, v4, v6
	v_addc_co_u32_e32 v5, vcc, 0, v5, vcc
	v_mov_b32_e32 v6, s6
	v_add_co_u32_e32 v0, vcc, s38, v0
	v_addc_co_u32_e32 v1, vcc, v1, v6, vcc
	v_lshlrev_b64 v[4:5], 3, v[4:5]
	v_mov_b32_e32 v7, s15
	v_add_co_u32_e32 v6, vcc, s14, v4
	v_addc_co_u32_e32 v7, vcc, v7, v5, vcc
	global_store_dwordx2 v[6:7], v[0:1], off
	ds_read_b64 v[0:1], v16
	v_mov_b32_e32 v6, s35
	v_add_co_u32_e32 v4, vcc, s34, v4
	v_addc_co_u32_e32 v5, vcc, v6, v5, vcc
	s_waitcnt lgkmcnt(0)
	global_store_dwordx2 v[4:5], v[0:1], off
	s_branch .LBB134_54
.LBB134_57:
	s_endpgm
	.section	.rodata,"a",@progbits
	.p2align	6, 0x0
	.amdhsa_kernel _ZN9rocsparseL23csrgemm_fill_wf_per_rowILj256ELj16ELj32ELj137Ell21rocsparse_complex_numIfEEEvT4_S3_PKS3_S5_NS_24const_host_device_scalarIT5_EEPKT3_S5_PKS7_SB_S5_SD_S8_SB_S5_SD_SB_PS3_PS7_21rocsparse_index_base_SG_SG_SG_bbb
		.amdhsa_group_segment_fixed_size 8192
		.amdhsa_private_segment_fixed_size 0
		.amdhsa_kernarg_size 164
		.amdhsa_user_sgpr_count 6
		.amdhsa_user_sgpr_private_segment_buffer 1
		.amdhsa_user_sgpr_dispatch_ptr 0
		.amdhsa_user_sgpr_queue_ptr 0
		.amdhsa_user_sgpr_kernarg_segment_ptr 1
		.amdhsa_user_sgpr_dispatch_id 0
		.amdhsa_user_sgpr_flat_scratch_init 0
		.amdhsa_user_sgpr_kernarg_preload_length 0
		.amdhsa_user_sgpr_kernarg_preload_offset 0
		.amdhsa_user_sgpr_private_segment_size 0
		.amdhsa_uses_dynamic_stack 0
		.amdhsa_system_sgpr_private_segment_wavefront_offset 0
		.amdhsa_system_sgpr_workgroup_id_x 1
		.amdhsa_system_sgpr_workgroup_id_y 0
		.amdhsa_system_sgpr_workgroup_id_z 0
		.amdhsa_system_sgpr_workgroup_info 0
		.amdhsa_system_vgpr_workitem_id 0
		.amdhsa_next_free_vgpr 30
		.amdhsa_next_free_sgpr 56
		.amdhsa_accum_offset 32
		.amdhsa_reserve_vcc 1
		.amdhsa_reserve_flat_scratch 0
		.amdhsa_float_round_mode_32 0
		.amdhsa_float_round_mode_16_64 0
		.amdhsa_float_denorm_mode_32 3
		.amdhsa_float_denorm_mode_16_64 3
		.amdhsa_dx10_clamp 1
		.amdhsa_ieee_mode 1
		.amdhsa_fp16_overflow 0
		.amdhsa_tg_split 0
		.amdhsa_exception_fp_ieee_invalid_op 0
		.amdhsa_exception_fp_denorm_src 0
		.amdhsa_exception_fp_ieee_div_zero 0
		.amdhsa_exception_fp_ieee_overflow 0
		.amdhsa_exception_fp_ieee_underflow 0
		.amdhsa_exception_fp_ieee_inexact 0
		.amdhsa_exception_int_div_zero 0
	.end_amdhsa_kernel
	.section	.text._ZN9rocsparseL23csrgemm_fill_wf_per_rowILj256ELj16ELj32ELj137Ell21rocsparse_complex_numIfEEEvT4_S3_PKS3_S5_NS_24const_host_device_scalarIT5_EEPKT3_S5_PKS7_SB_S5_SD_S8_SB_S5_SD_SB_PS3_PS7_21rocsparse_index_base_SG_SG_SG_bbb,"axG",@progbits,_ZN9rocsparseL23csrgemm_fill_wf_per_rowILj256ELj16ELj32ELj137Ell21rocsparse_complex_numIfEEEvT4_S3_PKS3_S5_NS_24const_host_device_scalarIT5_EEPKT3_S5_PKS7_SB_S5_SD_S8_SB_S5_SD_SB_PS3_PS7_21rocsparse_index_base_SG_SG_SG_bbb,comdat
.Lfunc_end134:
	.size	_ZN9rocsparseL23csrgemm_fill_wf_per_rowILj256ELj16ELj32ELj137Ell21rocsparse_complex_numIfEEEvT4_S3_PKS3_S5_NS_24const_host_device_scalarIT5_EEPKT3_S5_PKS7_SB_S5_SD_S8_SB_S5_SD_SB_PS3_PS7_21rocsparse_index_base_SG_SG_SG_bbb, .Lfunc_end134-_ZN9rocsparseL23csrgemm_fill_wf_per_rowILj256ELj16ELj32ELj137Ell21rocsparse_complex_numIfEEEvT4_S3_PKS3_S5_NS_24const_host_device_scalarIT5_EEPKT3_S5_PKS7_SB_S5_SD_S8_SB_S5_SD_SB_PS3_PS7_21rocsparse_index_base_SG_SG_SG_bbb
                                        ; -- End function
	.section	.AMDGPU.csdata,"",@progbits
; Kernel info:
; codeLenInByte = 2560
; NumSgprs: 60
; NumVgprs: 30
; NumAgprs: 0
; TotalNumVgprs: 30
; ScratchSize: 0
; MemoryBound: 0
; FloatMode: 240
; IeeeMode: 1
; LDSByteSize: 8192 bytes/workgroup (compile time only)
; SGPRBlocks: 7
; VGPRBlocks: 3
; NumSGPRsForWavesPerEU: 60
; NumVGPRsForWavesPerEU: 30
; AccumOffset: 32
; Occupancy: 8
; WaveLimiterHint : 1
; COMPUTE_PGM_RSRC2:SCRATCH_EN: 0
; COMPUTE_PGM_RSRC2:USER_SGPR: 6
; COMPUTE_PGM_RSRC2:TRAP_HANDLER: 0
; COMPUTE_PGM_RSRC2:TGID_X_EN: 1
; COMPUTE_PGM_RSRC2:TGID_Y_EN: 0
; COMPUTE_PGM_RSRC2:TGID_Z_EN: 0
; COMPUTE_PGM_RSRC2:TIDIG_COMP_CNT: 0
; COMPUTE_PGM_RSRC3_GFX90A:ACCUM_OFFSET: 7
; COMPUTE_PGM_RSRC3_GFX90A:TG_SPLIT: 0
	.section	.text._ZN9rocsparseL26csrgemm_fill_block_per_rowILj128ELj16ELj256ELj137ELj32Ell21rocsparse_complex_numIfEEEvT5_PKS3_S5_NS_24const_host_device_scalarIT6_EEPKT4_S5_PKS7_SB_S5_SD_S8_SB_S5_SD_SB_PS3_PS7_21rocsparse_index_base_SG_SG_SG_bbb,"axG",@progbits,_ZN9rocsparseL26csrgemm_fill_block_per_rowILj128ELj16ELj256ELj137ELj32Ell21rocsparse_complex_numIfEEEvT5_PKS3_S5_NS_24const_host_device_scalarIT6_EEPKT4_S5_PKS7_SB_S5_SD_S8_SB_S5_SD_SB_PS3_PS7_21rocsparse_index_base_SG_SG_SG_bbb,comdat
	.globl	_ZN9rocsparseL26csrgemm_fill_block_per_rowILj128ELj16ELj256ELj137ELj32Ell21rocsparse_complex_numIfEEEvT5_PKS3_S5_NS_24const_host_device_scalarIT6_EEPKT4_S5_PKS7_SB_S5_SD_S8_SB_S5_SD_SB_PS3_PS7_21rocsparse_index_base_SG_SG_SG_bbb ; -- Begin function _ZN9rocsparseL26csrgemm_fill_block_per_rowILj128ELj16ELj256ELj137ELj32Ell21rocsparse_complex_numIfEEEvT5_PKS3_S5_NS_24const_host_device_scalarIT6_EEPKT4_S5_PKS7_SB_S5_SD_S8_SB_S5_SD_SB_PS3_PS7_21rocsparse_index_base_SG_SG_SG_bbb
	.p2align	8
	.type	_ZN9rocsparseL26csrgemm_fill_block_per_rowILj128ELj16ELj256ELj137ELj32Ell21rocsparse_complex_numIfEEEvT5_PKS3_S5_NS_24const_host_device_scalarIT6_EEPKT4_S5_PKS7_SB_S5_SD_S8_SB_S5_SD_SB_PS3_PS7_21rocsparse_index_base_SG_SG_SG_bbb,@function
_ZN9rocsparseL26csrgemm_fill_block_per_rowILj128ELj16ELj256ELj137ELj32Ell21rocsparse_complex_numIfEEEvT5_PKS3_S5_NS_24const_host_device_scalarIT6_EEPKT4_S5_PKS7_SB_S5_SD_S8_SB_S5_SD_SB_PS3_PS7_21rocsparse_index_base_SG_SG_SG_bbb: ; @_ZN9rocsparseL26csrgemm_fill_block_per_rowILj128ELj16ELj256ELj137ELj32Ell21rocsparse_complex_numIfEEEvT5_PKS3_S5_NS_24const_host_device_scalarIT6_EEPKT4_S5_PKS7_SB_S5_SD_S8_SB_S5_SD_SB_PS3_PS7_21rocsparse_index_base_SG_SG_SG_bbb
; %bb.0:
	s_load_dwordx8 s[8:15], s[4:5], 0x60
	s_load_dwordx8 s[16:23], s[4:5], 0x40
	s_load_dword s7, s[4:5], 0x98
	s_load_dwordx4 s[40:43], s[4:5], 0x8
	s_load_dwordx8 s[24:31], s[4:5], 0x20
	s_load_dwordx2 s[34:35], s[4:5], 0x80
	s_load_dwordx4 s[36:39], s[4:5], 0x88
	s_waitcnt lgkmcnt(0)
	s_bitcmp1_b32 s7, 0
	s_cselect_b64 s[46:47], -1, 0
	s_bitcmp1_b32 s7, 16
	s_cselect_b64 s[0:1], -1, 0
	s_xor_b64 s[0:1], s[0:1], -1
	v_cndmask_b32_e64 v1, 0, 1, s[0:1]
	s_mov_b32 s3, 0
	s_bitcmp0_b32 s7, 0
	v_cmp_ne_u32_e64 s[0:1], 1, v1
	s_mov_b32 s59, 0
	s_cbranch_scc1 .LBB135_5
; %bb.1:
	s_load_dwordx2 s[2:3], s[4:5], 0x18
	s_and_b64 vcc, exec, s[0:1]
	s_waitcnt lgkmcnt(0)
	s_mov_b32 s59, s2
	s_cbranch_vccnz .LBB135_3
; %bb.2:
	s_load_dword s59, s[2:3], 0x0
.LBB135_3:
	s_and_b64 vcc, exec, s[0:1]
	s_cbranch_vccnz .LBB135_5
; %bb.4:
	s_load_dword s3, s[2:3], 0x4
.LBB135_5:
	s_bitcmp1_b32 s7, 8
	s_cselect_b64 s[44:45], -1, 0
	s_bfe_u32 s2, s7, 0x10008
	s_mov_b32 s58, 0
	s_cmp_eq_u32 s2, 0
	s_mov_b32 s33, 0
	s_cbranch_scc1 .LBB135_11
; %bb.6:
	s_and_b64 vcc, exec, s[0:1]
	s_mov_b32 s33, s20
	s_cbranch_vccnz .LBB135_8
; %bb.7:
	s_load_dword s33, s[20:21], 0x0
.LBB135_8:
	s_and_b64 vcc, exec, s[0:1]
	s_cbranch_vccnz .LBB135_10
; %bb.9:
	s_load_dword s21, s[20:21], 0x4
.LBB135_10:
	s_waitcnt lgkmcnt(0)
	s_mov_b32 s58, s21
.LBB135_11:
	s_load_dwordx2 s[20:21], s[4:5], 0x0
	s_movk_i32 s0, 0x100
	v_cmp_gt_u32_e64 s[0:1], s0, v0
	v_lshl_add_u32 v1, v0, 3, 0
	s_and_saveexec_b64 s[4:5], s[0:1]
	s_cbranch_execz .LBB135_14
; %bb.12:
	v_or_b32_e32 v4, 0xffffff80, v0
	v_lshl_add_u32 v5, v0, 3, 0
	s_mov_b64 s[48:49], 0
	s_waitcnt lgkmcnt(0)
	v_pk_mov_b32 v[2:3], s[20:21], s[20:21] op_sel:[0,1]
	v_mov_b32_e32 v6, 0
.LBB135_13:                             ; =>This Inner Loop Header: Depth=1
	v_add_co_u32_e32 v4, vcc, 0x80, v4
	s_xor_b64 s[50:51], vcc, -1
	s_and_b64 s[50:51], exec, s[50:51]
	ds_write_b64 v5, v[2:3]
	v_add_u32_e32 v7, 0x800, v5
	v_add_u32_e32 v5, 0x400, v5
	s_or_b64 s[48:49], s[50:51], s[48:49]
	ds_write2_b32 v7, v6, v6 offset1:1
	s_andn2_b64 exec, exec, s[48:49]
	s_cbranch_execnz .LBB135_13
.LBB135_14:
	s_or_b64 exec, exec, s[4:5]
	s_waitcnt lgkmcnt(0)
	s_barrier
	s_load_dwordx2 s[4:5], s[40:41], 0x0
	s_mov_b32 s7, 0
	s_waitcnt lgkmcnt(0)
	s_lshl_b64 s[4:5], s[4:5], 3
	s_add_u32 s2, s42, s4
	s_addc_u32 s40, s43, s5
	s_lshl_b64 s[4:5], s[6:7], 3
	s_add_u32 s4, s2, s4
	s_addc_u32 s5, s40, s5
	s_load_dwordx2 s[40:41], s[4:5], 0x0
	s_and_b64 vcc, exec, s[46:47]
	s_cbranch_vccz .LBB135_34
; %bb.15:
	s_waitcnt lgkmcnt(0)
	s_lshl_b64 s[4:5], s[40:41], 3
	s_add_u32 s4, s24, s4
	s_addc_u32 s5, s25, s5
	s_load_dwordx4 s[48:51], s[4:5], 0x0
	v_lshrrev_b32_e32 v2, 4, v0
	v_subrev_co_u32_e32 v2, vcc, s36, v2
	v_subb_co_u32_e64 v3, s[24:25], 0, 0, vcc
	s_waitcnt lgkmcnt(0)
	s_sub_u32 s4, s50, s36
	v_mov_b32_e32 v4, s49
	v_add_co_u32_e32 v2, vcc, s48, v2
	s_subb_u32 s5, s51, 0
	v_addc_co_u32_e32 v3, vcc, v4, v3, vcc
	v_cmp_gt_i64_e32 vcc, s[4:5], v[2:3]
	s_and_saveexec_b64 s[24:25], vcc
	s_cbranch_execz .LBB135_33
; %bb.16:
	v_and_b32_e32 v4, 15, v0
	v_subrev_co_u32_e32 v11, vcc, s37, v4
	s_mov_b32 s2, s36
	s_mov_b32 s6, 0
	;; [unrolled: 1-line block ×3, first 2 shown]
	v_subb_co_u32_e64 v14, s[36:37], 0, 0, vcc
	s_mov_b64 s[36:37], 0
	v_mov_b32_e32 v15, s27
	v_mov_b32_e32 v16, s7
	;; [unrolled: 1-line block ×4, first 2 shown]
	s_movk_i32 s27, 0x89
	s_branch .LBB135_18
.LBB135_17:                             ;   in Loop: Header=BB135_18 Depth=1
	s_or_b64 exec, exec, s[6:7]
	v_add_co_u32_e32 v2, vcc, 8, v2
	v_addc_co_u32_e32 v3, vcc, 0, v3, vcc
	v_cmp_le_i64_e32 vcc, s[4:5], v[2:3]
	s_or_b64 s[36:37], vcc, s[36:37]
	s_andn2_b64 exec, exec, s[36:37]
	s_cbranch_execz .LBB135_33
.LBB135_18:                             ; =>This Loop Header: Depth=1
                                        ;     Child Loop BB135_21 Depth 2
                                        ;       Child Loop BB135_23 Depth 3
	v_lshlrev_b64 v[8:9], 3, v[2:3]
	v_add_co_u32_e32 v4, vcc, s26, v8
	v_addc_co_u32_e32 v5, vcc, v15, v9, vcc
	global_load_dwordx2 v[4:5], v[4:5], off
	s_waitcnt vmcnt(0)
	v_subrev_co_u32_e32 v4, vcc, s2, v4
	v_subb_co_u32_e32 v5, vcc, v5, v16, vcc
	v_lshlrev_b64 v[4:5], 3, v[4:5]
	v_add_co_u32_e32 v4, vcc, s30, v4
	v_addc_co_u32_e32 v5, vcc, v17, v5, vcc
	global_load_dwordx4 v[20:23], v[4:5], off
	s_waitcnt vmcnt(0)
	v_subrev_co_u32_e32 v4, vcc, s60, v22
	v_subb_co_u32_e32 v5, vcc, v23, v18, vcc
	v_add_co_u32_e32 v6, vcc, v20, v11
	v_addc_co_u32_e32 v7, vcc, v21, v14, vcc
	v_cmp_lt_i64_e32 vcc, v[6:7], v[4:5]
	s_and_saveexec_b64 s[6:7], vcc
	s_cbranch_execz .LBB135_17
; %bb.19:                               ;   in Loop: Header=BB135_18 Depth=1
	v_mov_b32_e32 v10, s29
	v_add_co_u32_e32 v8, vcc, s28, v8
	v_addc_co_u32_e32 v9, vcc, v10, v9, vcc
	global_load_dwordx2 v[8:9], v[8:9], off
	s_mov_b64 s[42:43], 0
	s_waitcnt vmcnt(0)
	v_mul_f32_e64 v19, v9, -s3
	v_mul_f32_e32 v20, s59, v9
	v_fmac_f32_e32 v19, s59, v8
	v_fmac_f32_e32 v20, s3, v8
	s_branch .LBB135_21
.LBB135_20:                             ;   in Loop: Header=BB135_21 Depth=2
	s_or_b64 exec, exec, s[46:47]
	v_add_co_u32_e32 v6, vcc, 16, v6
	v_addc_co_u32_e32 v7, vcc, 0, v7, vcc
	v_cmp_ge_i64_e32 vcc, v[6:7], v[4:5]
	s_or_b64 s[42:43], vcc, s[42:43]
	s_andn2_b64 exec, exec, s[42:43]
	s_cbranch_execz .LBB135_17
.LBB135_21:                             ;   Parent Loop BB135_18 Depth=1
                                        ; =>  This Loop Header: Depth=2
                                        ;       Child Loop BB135_23 Depth 3
	v_lshlrev_b64 v[8:9], 3, v[6:7]
	v_mov_b32_e32 v10, s17
	v_add_co_u32_e32 v12, vcc, s16, v8
	v_addc_co_u32_e32 v13, vcc, v10, v9, vcc
	v_mov_b32_e32 v10, s19
	v_add_co_u32_e32 v8, vcc, s18, v8
	global_load_dwordx2 v[12:13], v[12:13], off
	v_addc_co_u32_e32 v9, vcc, v10, v9, vcc
	global_load_dwordx2 v[24:25], v[8:9], off
	s_mov_b64 s[46:47], 0
	s_waitcnt vmcnt(1)
	v_subrev_co_u32_e32 v8, vcc, s60, v12
	v_mul_lo_u32 v10, v8, s27
	s_waitcnt vmcnt(0)
	v_mul_f32_e64 v21, v25, -v20
	v_mul_f32_e32 v22, v19, v25
	v_subb_co_u32_e32 v9, vcc, v13, v18, vcc
	v_fmac_f32_e32 v21, v19, v24
	v_fmac_f32_e32 v22, v20, v24
	v_and_b32_e32 v10, 0xff, v10
	s_branch .LBB135_23
.LBB135_22:                             ;   in Loop: Header=BB135_23 Depth=3
	s_or_b64 exec, exec, s[48:49]
	s_xor_b64 s[48:49], s[50:51], -1
	s_and_b64 s[48:49], exec, s[48:49]
	s_or_b64 s[46:47], s[48:49], s[46:47]
	s_andn2_b64 exec, exec, s[46:47]
	s_cbranch_execz .LBB135_20
.LBB135_23:                             ;   Parent Loop BB135_18 Depth=1
                                        ;     Parent Loop BB135_21 Depth=2
                                        ; =>    This Inner Loop Header: Depth=3
	v_lshl_add_u32 v23, v10, 3, 0
	ds_read_b64 v[12:13], v23
                                        ; implicit-def: $sgpr50_sgpr51
	s_waitcnt lgkmcnt(0)
	v_cmp_ne_u64_e32 vcc, v[12:13], v[8:9]
	s_and_saveexec_b64 s[48:49], vcc
	s_xor_b64 s[48:49], exec, s[48:49]
	s_cbranch_execz .LBB135_31
; %bb.24:                               ;   in Loop: Header=BB135_23 Depth=3
	v_cmp_ne_u64_e32 vcc, s[20:21], v[12:13]
                                        ; implicit-def: $sgpr50_sgpr51
	s_and_saveexec_b64 s[52:53], vcc
	s_xor_b64 s[52:53], exec, s[52:53]
; %bb.25:                               ;   in Loop: Header=BB135_23 Depth=3
	v_add_u32_e32 v10, 1, v10
	v_and_b32_e32 v10, 0xff, v10
	s_mov_b64 s[50:51], -1
                                        ; implicit-def: $vgpr23
; %bb.26:                               ;   in Loop: Header=BB135_23 Depth=3
	s_andn2_saveexec_b64 s[52:53], s[52:53]
	s_cbranch_execz .LBB135_30
; %bb.27:                               ;   in Loop: Header=BB135_23 Depth=3
	v_pk_mov_b32 v[12:13], s[20:21], s[20:21] op_sel:[0,1]
	ds_cmpst_rtn_b64 v[12:13], v23, v[12:13], v[8:9]
	s_mov_b64 s[54:55], -1
	s_waitcnt lgkmcnt(0)
	v_cmp_eq_u64_e32 vcc, s[20:21], v[12:13]
	s_and_saveexec_b64 s[56:57], vcc
	s_cbranch_execz .LBB135_29
; %bb.28:                               ;   in Loop: Header=BB135_23 Depth=3
	ds_add_f32 v23, v21 offset:2048
	ds_add_f32 v23, v22 offset:2052
	s_xor_b64 s[54:55], exec, -1
.LBB135_29:                             ;   in Loop: Header=BB135_23 Depth=3
	s_or_b64 exec, exec, s[56:57]
	s_andn2_b64 s[50:51], s[50:51], exec
	s_and_b64 s[54:55], s[54:55], exec
	s_or_b64 s[50:51], s[50:51], s[54:55]
.LBB135_30:                             ;   in Loop: Header=BB135_23 Depth=3
	s_or_b64 exec, exec, s[52:53]
	s_and_b64 s[50:51], s[50:51], exec
                                        ; implicit-def: $vgpr23
.LBB135_31:                             ;   in Loop: Header=BB135_23 Depth=3
	s_andn2_saveexec_b64 s[48:49], s[48:49]
	s_cbranch_execz .LBB135_22
; %bb.32:                               ;   in Loop: Header=BB135_23 Depth=3
	ds_add_f32 v23, v21 offset:2048
	ds_add_f32 v23, v22 offset:2052
	s_andn2_b64 s[50:51], s[50:51], exec
	s_branch .LBB135_22
.LBB135_33:
	s_or_b64 exec, exec, s[24:25]
.LBB135_34:
	s_andn2_b64 vcc, exec, s[44:45]
	s_cbranch_vccnz .LBB135_51
; %bb.35:
	s_waitcnt lgkmcnt(0)
	s_lshl_b64 s[2:3], s[40:41], 3
	s_add_u32 s2, s22, s2
	s_addc_u32 s3, s23, s3
	s_load_dwordx4 s[4:7], s[2:3], 0x0
	v_subrev_co_u32_e32 v2, vcc, s39, v0
	s_mov_b32 s16, 0
	s_waitcnt lgkmcnt(0)
	s_sub_u32 s2, s6, s39
	s_subb_u32 s3, s7, 0
	v_subb_co_u32_e64 v3, s[6:7], 0, 0, vcc
	v_mov_b32_e32 v4, s5
	v_add_co_u32_e32 v2, vcc, s4, v2
	v_addc_co_u32_e32 v3, vcc, v4, v3, vcc
	v_cmp_gt_i64_e32 vcc, s[2:3], v[2:3]
	s_and_saveexec_b64 s[4:5], vcc
	s_cbranch_execz .LBB135_50
; %bb.36:
	s_mov_b32 s30, s39
	s_mov_b64 s[6:7], 0
	v_mov_b32_e32 v7, s9
	v_mov_b32_e32 v10, s16
	;; [unrolled: 1-line block ×3, first 2 shown]
	s_movk_i32 s9, 0x89
	s_branch .LBB135_38
.LBB135_37:                             ;   in Loop: Header=BB135_38 Depth=1
	s_or_b64 exec, exec, s[16:17]
	v_add_co_u32_e32 v2, vcc, 0x80, v2
	v_addc_co_u32_e32 v3, vcc, 0, v3, vcc
	v_cmp_le_i64_e32 vcc, s[2:3], v[2:3]
	s_or_b64 s[6:7], vcc, s[6:7]
	s_andn2_b64 exec, exec, s[6:7]
	s_cbranch_execz .LBB135_50
.LBB135_38:                             ; =>This Loop Header: Depth=1
                                        ;     Child Loop BB135_40 Depth 2
	v_lshlrev_b64 v[4:5], 3, v[2:3]
	v_add_co_u32_e32 v8, vcc, s8, v4
	v_addc_co_u32_e32 v9, vcc, v7, v5, vcc
	v_add_co_u32_e32 v4, vcc, s10, v4
	global_load_dwordx2 v[8:9], v[8:9], off
	v_addc_co_u32_e32 v5, vcc, v11, v5, vcc
	global_load_dwordx2 v[14:15], v[4:5], off
	s_mov_b64 s[16:17], 0
	s_waitcnt vmcnt(1)
	v_subrev_co_u32_e32 v4, vcc, s30, v8
	v_mul_lo_u32 v6, v4, s9
	s_waitcnt vmcnt(0)
	v_mul_f32_e64 v12, v15, -s58
	v_mul_f32_e32 v13, s33, v15
	v_subb_co_u32_e32 v5, vcc, v9, v10, vcc
	v_fmac_f32_e32 v12, s33, v14
	v_fmac_f32_e32 v13, s58, v14
	v_and_b32_e32 v6, 0xff, v6
	s_branch .LBB135_40
.LBB135_39:                             ;   in Loop: Header=BB135_40 Depth=2
	s_or_b64 exec, exec, s[18:19]
	s_xor_b64 s[18:19], s[22:23], -1
	s_and_b64 s[18:19], exec, s[18:19]
	s_or_b64 s[16:17], s[18:19], s[16:17]
	s_andn2_b64 exec, exec, s[16:17]
	s_cbranch_execz .LBB135_37
.LBB135_40:                             ;   Parent Loop BB135_38 Depth=1
                                        ; =>  This Inner Loop Header: Depth=2
	v_lshl_add_u32 v14, v6, 3, 0
	ds_read_b64 v[8:9], v14
                                        ; implicit-def: $sgpr22_sgpr23
	s_waitcnt lgkmcnt(0)
	v_cmp_ne_u64_e32 vcc, v[8:9], v[4:5]
	s_and_saveexec_b64 s[18:19], vcc
	s_xor_b64 s[18:19], exec, s[18:19]
	s_cbranch_execz .LBB135_48
; %bb.41:                               ;   in Loop: Header=BB135_40 Depth=2
	v_cmp_ne_u64_e32 vcc, s[20:21], v[8:9]
                                        ; implicit-def: $sgpr22_sgpr23
	s_and_saveexec_b64 s[24:25], vcc
	s_xor_b64 s[24:25], exec, s[24:25]
; %bb.42:                               ;   in Loop: Header=BB135_40 Depth=2
	v_add_u32_e32 v6, 1, v6
	v_and_b32_e32 v6, 0xff, v6
	s_mov_b64 s[22:23], -1
                                        ; implicit-def: $vgpr14
; %bb.43:                               ;   in Loop: Header=BB135_40 Depth=2
	s_andn2_saveexec_b64 s[24:25], s[24:25]
	s_cbranch_execz .LBB135_47
; %bb.44:                               ;   in Loop: Header=BB135_40 Depth=2
	v_pk_mov_b32 v[8:9], s[20:21], s[20:21] op_sel:[0,1]
	ds_cmpst_rtn_b64 v[8:9], v14, v[8:9], v[4:5]
	s_mov_b64 s[26:27], -1
	s_waitcnt lgkmcnt(0)
	v_cmp_eq_u64_e32 vcc, s[20:21], v[8:9]
	s_and_saveexec_b64 s[28:29], vcc
	s_cbranch_execz .LBB135_46
; %bb.45:                               ;   in Loop: Header=BB135_40 Depth=2
	ds_add_f32 v14, v12 offset:2048
	ds_add_f32 v14, v13 offset:2052
	s_xor_b64 s[26:27], exec, -1
.LBB135_46:                             ;   in Loop: Header=BB135_40 Depth=2
	s_or_b64 exec, exec, s[28:29]
	s_andn2_b64 s[22:23], s[22:23], exec
	s_and_b64 s[26:27], s[26:27], exec
	s_or_b64 s[22:23], s[22:23], s[26:27]
.LBB135_47:                             ;   in Loop: Header=BB135_40 Depth=2
	s_or_b64 exec, exec, s[24:25]
	s_and_b64 s[22:23], s[22:23], exec
                                        ; implicit-def: $vgpr14
.LBB135_48:                             ;   in Loop: Header=BB135_40 Depth=2
	s_andn2_saveexec_b64 s[18:19], s[18:19]
	s_cbranch_execz .LBB135_39
; %bb.49:                               ;   in Loop: Header=BB135_40 Depth=2
	ds_add_f32 v14, v12 offset:2048
	ds_add_f32 v14, v13 offset:2052
	s_andn2_b64 s[22:23], s[22:23], exec
	s_branch .LBB135_39
.LBB135_50:
	s_or_b64 exec, exec, s[4:5]
.LBB135_51:
	s_waitcnt lgkmcnt(0)
	s_barrier
	s_and_saveexec_b64 s[8:9], s[0:1]
	s_cbranch_execz .LBB135_64
; %bb.52:
	v_mbcnt_lo_u32_b32 v2, -1, 0
	v_mbcnt_hi_u32_b32 v2, -1, v2
	v_sub_u32_e32 v2, 63, v2
	v_lshrrev_b64 v[4:5], v2, -1
	v_lshrrev_b32_e32 v2, 2, v0
	v_and_b32_e32 v2, 24, v2
	s_movk_i32 s0, 0x7f
	s_movk_i32 s6, 0x5f
	v_mov_b32_e32 v3, 0
	v_add_u32_e32 v14, 0, v2
	v_cmp_eq_u32_e64 s[0:1], s0, v0
	v_cmp_lt_u32_e64 s[2:3], 31, v0
	v_cmp_lt_u32_e64 s[4:5], 63, v0
	;; [unrolled: 1-line block ×3, first 2 shown]
	v_or_b32_e32 v15, 0xffffff80, v0
	s_mov_b64 s[10:11], 0
	v_pk_mov_b32 v[6:7], 0, 0
	s_branch .LBB135_54
.LBB135_53:                             ;   in Loop: Header=BB135_54 Depth=1
	s_or_b64 exec, exec, s[16:17]
	s_waitcnt lgkmcnt(0)
	s_barrier
	ds_read_b64 v[8:9], v3 offset:4120
	v_add_u32_e32 v1, 0x400, v1
	s_waitcnt lgkmcnt(0)
	v_add_co_u32_e32 v6, vcc, v8, v6
	v_addc_co_u32_e32 v7, vcc, v9, v7, vcc
	v_add_co_u32_e32 v15, vcc, 0x80, v15
	s_xor_b64 s[16:17], vcc, -1
	s_and_b64 s[16:17], exec, s[16:17]
	s_or_b64 s[10:11], s[16:17], s[10:11]
	s_andn2_b64 exec, exec, s[10:11]
	s_cbranch_execz .LBB135_64
.LBB135_54:                             ; =>This Inner Loop Header: Depth=1
	ds_read_b64 v[8:9], v1
	v_add_u32_e32 v2, 0x800, v1
	ds_read2_b32 v[10:11], v2 offset1:1
	s_waitcnt lgkmcnt(0)
	s_barrier
	v_cmp_gt_i64_e32 vcc, s[20:21], v[8:9]
	v_and_b32_e32 v13, vcc_lo, v4
	s_bcnt1_i32_b64 s16, vcc
	v_and_b32_e32 v12, vcc_hi, v5
	v_bcnt_u32_b32 v13, v13, 0
	v_mov_b32_e32 v2, s16
	v_bcnt_u32_b32 v12, v12, v13
	ds_write_b64 v14, v[2:3] offset:4096
	s_waitcnt lgkmcnt(0)
	s_barrier
	s_and_saveexec_b64 s[16:17], s[2:3]
	s_cbranch_execnz .LBB135_59
; %bb.55:                               ;   in Loop: Header=BB135_54 Depth=1
	s_or_b64 exec, exec, s[16:17]
	s_and_saveexec_b64 s[16:17], s[4:5]
	s_cbranch_execnz .LBB135_60
.LBB135_56:                             ;   in Loop: Header=BB135_54 Depth=1
	s_or_b64 exec, exec, s[16:17]
	s_and_saveexec_b64 s[16:17], s[6:7]
	s_cbranch_execnz .LBB135_61
.LBB135_57:                             ;   in Loop: Header=BB135_54 Depth=1
	s_or_b64 exec, exec, s[16:17]
	v_ashrrev_i32_e32 v13, 31, v12
	s_and_saveexec_b64 s[16:17], vcc
	s_cbranch_execnz .LBB135_62
.LBB135_58:                             ;   in Loop: Header=BB135_54 Depth=1
	s_or_b64 exec, exec, s[16:17]
	s_and_saveexec_b64 s[16:17], s[0:1]
	s_cbranch_execz .LBB135_53
	s_branch .LBB135_63
.LBB135_59:                             ;   in Loop: Header=BB135_54 Depth=1
	ds_read_b32 v2, v3 offset:4096
	s_waitcnt lgkmcnt(0)
	v_add_u32_e32 v12, v2, v12
	s_or_b64 exec, exec, s[16:17]
	s_and_saveexec_b64 s[16:17], s[4:5]
	s_cbranch_execz .LBB135_56
.LBB135_60:                             ;   in Loop: Header=BB135_54 Depth=1
	ds_read_b32 v2, v3 offset:4104
	s_waitcnt lgkmcnt(0)
	v_add_u32_e32 v12, v12, v2
	s_or_b64 exec, exec, s[16:17]
	s_and_saveexec_b64 s[16:17], s[6:7]
	s_cbranch_execz .LBB135_57
.LBB135_61:                             ;   in Loop: Header=BB135_54 Depth=1
	ds_read_b32 v2, v3 offset:4112
	s_waitcnt lgkmcnt(0)
	v_add_u32_e32 v12, v12, v2
	s_or_b64 exec, exec, s[16:17]
	v_ashrrev_i32_e32 v13, 31, v12
	s_and_saveexec_b64 s[16:17], vcc
	s_cbranch_execz .LBB135_58
.LBB135_62:                             ;   in Loop: Header=BB135_54 Depth=1
	v_add3_u32 v2, v6, -1, v12
	v_lshl_add_u32 v2, v2, 3, 0
	v_add_u32_e32 v16, 0x800, v2
	ds_write_b64 v2, v[8:9]
	ds_write2_b32 v16, v10, v11 offset1:1
	s_or_b64 exec, exec, s[16:17]
	s_and_saveexec_b64 s[16:17], s[0:1]
	s_cbranch_execz .LBB135_53
.LBB135_63:                             ;   in Loop: Header=BB135_54 Depth=1
	ds_write_b64 v3, v[12:13] offset:4120
	s_branch .LBB135_53
.LBB135_64:
	s_or_b64 exec, exec, s[8:9]
	s_lshl_b64 s[0:1], s[40:41], 3
	s_add_u32 s0, s12, s0
	s_addc_u32 s1, s13, s1
	s_load_dwordx4 s[0:3], s[0:1], 0x0
	v_mov_b32_e32 v1, 0
	s_waitcnt lgkmcnt(0)
	s_sub_u32 s4, s2, s0
	s_subb_u32 s5, s3, s1
	v_cmp_gt_i64_e32 vcc, s[4:5], v[0:1]
	s_and_saveexec_b64 s[6:7], vcc
	s_cbranch_execz .LBB135_74
; %bb.65:
	s_sub_u32 s6, s0, s38
	s_subb_u32 s7, s1, 0
	s_and_b32 s8, s4, 7
	s_sub_u32 s0, s0, s2
	s_mov_b32 s18, 0
	s_subb_u32 s1, s1, s3
	s_mov_b32 s9, s18
	s_and_b32 s2, s4, -8
	v_cmp_lt_u64_e64 s[0:1], s[0:1], -7
	s_cmp_lg_u64 s[8:9], 0
	v_cndmask_b32_e64 v2, 0, 1, s[0:1]
	s_mov_b32 s3, s5
	s_mov_b64 s[10:11], 0
	s_cselect_b64 s[12:13], -1, 0
	v_cmp_ne_u32_e64 s[0:1], 1, v2
	s_branch .LBB135_67
.LBB135_66:                             ;   in Loop: Header=BB135_67 Depth=1
	v_mov_b32_e32 v8, s18
	s_waitcnt lgkmcnt(1)
	v_add_co_u32_e32 v4, vcc, s38, v4
	v_addc_co_u32_e32 v5, vcc, v5, v8, vcc
	v_lshlrev_b64 v[6:7], 3, v[6:7]
	v_mov_b32_e32 v9, s15
	v_add_co_u32_e32 v8, vcc, s14, v6
	v_addc_co_u32_e32 v9, vcc, v9, v7, vcc
	global_store_dwordx2 v[8:9], v[4:5], off
	v_mov_b32_e32 v5, s35
	v_add_co_u32_e32 v4, vcc, s34, v6
	v_addc_co_u32_e32 v5, vcc, v5, v7, vcc
	v_add_co_u32_e32 v0, vcc, 0x80, v0
	v_addc_co_u32_e32 v1, vcc, 0, v1, vcc
	v_cmp_le_i64_e32 vcc, s[4:5], v[0:1]
	s_or_b64 s[10:11], vcc, s[10:11]
	s_waitcnt lgkmcnt(0)
	global_store_dwordx2 v[4:5], v[2:3], off
	s_andn2_b64 exec, exec, s[10:11]
	s_cbranch_execz .LBB135_74
.LBB135_67:                             ; =>This Loop Header: Depth=1
                                        ;     Child Loop BB135_69 Depth 2
                                        ;     Child Loop BB135_73 Depth 2
	v_lshl_add_u32 v2, v0, 3, 0
	v_add_u32_e32 v3, 0x800, v2
	ds_read_b64 v[4:5], v2
	ds_read2_b32 v[2:3], v3 offset1:1
	s_and_b64 vcc, exec, s[0:1]
	v_pk_mov_b32 v[6:7], s[6:7], s[6:7] op_sel:[0,1]
	s_mov_b64 s[16:17], 0
	s_cbranch_vccnz .LBB135_71
; %bb.68:                               ;   in Loop: Header=BB135_67 Depth=1
	s_mov_b32 s19, 0
	v_pk_mov_b32 v[6:7], s[6:7], s[6:7] op_sel:[0,1]
.LBB135_69:                             ;   Parent Loop BB135_67 Depth=1
                                        ; =>  This Inner Loop Header: Depth=2
	v_mov_b32_e32 v20, s19
	ds_read2_b64 v[8:11], v20 offset1:1
	ds_read2_b64 v[12:15], v20 offset0:2 offset1:3
	ds_read2_b64 v[16:19], v20 offset0:4 offset1:5
	;; [unrolled: 1-line block ×3, first 2 shown]
	s_add_u32 s16, s16, 8
	s_waitcnt lgkmcnt(3)
	v_cmp_gt_i64_e32 vcc, v[4:5], v[8:9]
	v_cndmask_b32_e64 v8, 0, 1, vcc
	v_cmp_gt_i64_e32 vcc, v[4:5], v[10:11]
	v_cndmask_b32_e64 v9, 0, 1, vcc
	s_waitcnt lgkmcnt(2)
	v_cmp_gt_i64_e32 vcc, v[4:5], v[12:13]
	v_cndmask_b32_e64 v10, 0, 1, vcc
	v_cmp_gt_i64_e32 vcc, v[4:5], v[14:15]
	v_cndmask_b32_e64 v11, 0, 1, vcc
	;; [unrolled: 5-line block ×4, first 2 shown]
	v_add_co_u32_e32 v6, vcc, v6, v8
	v_addc_co_u32_e32 v7, vcc, 0, v7, vcc
	v_add_co_u32_e32 v6, vcc, v6, v9
	v_addc_co_u32_e32 v7, vcc, 0, v7, vcc
	;; [unrolled: 2-line block ×7, first 2 shown]
	s_addc_u32 s17, s17, 0
	s_add_i32 s19, s19, 64
	v_add_co_u32_e32 v6, vcc, v6, v15
	s_cmp_eq_u64 s[2:3], s[16:17]
	v_addc_co_u32_e32 v7, vcc, 0, v7, vcc
	s_cbranch_scc0 .LBB135_69
; %bb.70:                               ;   in Loop: Header=BB135_67 Depth=1
	s_mov_b64 s[16:17], s[2:3]
.LBB135_71:                             ;   in Loop: Header=BB135_67 Depth=1
	s_andn2_b64 vcc, exec, s[12:13]
	s_cbranch_vccnz .LBB135_66
; %bb.72:                               ;   in Loop: Header=BB135_67 Depth=1
	s_lshl_b32 s16, s16, 3
	s_add_i32 s19, s16, 0
	s_mov_b64 s[16:17], s[8:9]
.LBB135_73:                             ;   Parent Loop BB135_67 Depth=1
                                        ; =>  This Inner Loop Header: Depth=2
	v_mov_b32_e32 v8, s19
	ds_read_b64 v[8:9], v8
	s_add_i32 s19, s19, 8
	s_add_u32 s16, s16, -1
	s_addc_u32 s17, s17, -1
	s_cmp_lg_u64 s[16:17], 0
	s_waitcnt lgkmcnt(0)
	v_cmp_gt_i64_e32 vcc, v[4:5], v[8:9]
	v_cndmask_b32_e64 v8, 0, 1, vcc
	v_add_co_u32_e32 v6, vcc, v6, v8
	v_addc_co_u32_e32 v7, vcc, 0, v7, vcc
	s_cbranch_scc1 .LBB135_73
	s_branch .LBB135_66
.LBB135_74:
	s_endpgm
	.section	.rodata,"a",@progbits
	.p2align	6, 0x0
	.amdhsa_kernel _ZN9rocsparseL26csrgemm_fill_block_per_rowILj128ELj16ELj256ELj137ELj32Ell21rocsparse_complex_numIfEEEvT5_PKS3_S5_NS_24const_host_device_scalarIT6_EEPKT4_S5_PKS7_SB_S5_SD_S8_SB_S5_SD_SB_PS3_PS7_21rocsparse_index_base_SG_SG_SG_bbb
		.amdhsa_group_segment_fixed_size 0
		.amdhsa_private_segment_fixed_size 0
		.amdhsa_kernarg_size 156
		.amdhsa_user_sgpr_count 6
		.amdhsa_user_sgpr_private_segment_buffer 1
		.amdhsa_user_sgpr_dispatch_ptr 0
		.amdhsa_user_sgpr_queue_ptr 0
		.amdhsa_user_sgpr_kernarg_segment_ptr 1
		.amdhsa_user_sgpr_dispatch_id 0
		.amdhsa_user_sgpr_flat_scratch_init 0
		.amdhsa_user_sgpr_kernarg_preload_length 0
		.amdhsa_user_sgpr_kernarg_preload_offset 0
		.amdhsa_user_sgpr_private_segment_size 0
		.amdhsa_uses_dynamic_stack 0
		.amdhsa_system_sgpr_private_segment_wavefront_offset 0
		.amdhsa_system_sgpr_workgroup_id_x 1
		.amdhsa_system_sgpr_workgroup_id_y 0
		.amdhsa_system_sgpr_workgroup_id_z 0
		.amdhsa_system_sgpr_workgroup_info 0
		.amdhsa_system_vgpr_workitem_id 0
		.amdhsa_next_free_vgpr 26
		.amdhsa_next_free_sgpr 61
		.amdhsa_accum_offset 28
		.amdhsa_reserve_vcc 1
		.amdhsa_reserve_flat_scratch 0
		.amdhsa_float_round_mode_32 0
		.amdhsa_float_round_mode_16_64 0
		.amdhsa_float_denorm_mode_32 3
		.amdhsa_float_denorm_mode_16_64 3
		.amdhsa_dx10_clamp 1
		.amdhsa_ieee_mode 1
		.amdhsa_fp16_overflow 0
		.amdhsa_tg_split 0
		.amdhsa_exception_fp_ieee_invalid_op 0
		.amdhsa_exception_fp_denorm_src 0
		.amdhsa_exception_fp_ieee_div_zero 0
		.amdhsa_exception_fp_ieee_overflow 0
		.amdhsa_exception_fp_ieee_underflow 0
		.amdhsa_exception_fp_ieee_inexact 0
		.amdhsa_exception_int_div_zero 0
	.end_amdhsa_kernel
	.section	.text._ZN9rocsparseL26csrgemm_fill_block_per_rowILj128ELj16ELj256ELj137ELj32Ell21rocsparse_complex_numIfEEEvT5_PKS3_S5_NS_24const_host_device_scalarIT6_EEPKT4_S5_PKS7_SB_S5_SD_S8_SB_S5_SD_SB_PS3_PS7_21rocsparse_index_base_SG_SG_SG_bbb,"axG",@progbits,_ZN9rocsparseL26csrgemm_fill_block_per_rowILj128ELj16ELj256ELj137ELj32Ell21rocsparse_complex_numIfEEEvT5_PKS3_S5_NS_24const_host_device_scalarIT6_EEPKT4_S5_PKS7_SB_S5_SD_S8_SB_S5_SD_SB_PS3_PS7_21rocsparse_index_base_SG_SG_SG_bbb,comdat
.Lfunc_end135:
	.size	_ZN9rocsparseL26csrgemm_fill_block_per_rowILj128ELj16ELj256ELj137ELj32Ell21rocsparse_complex_numIfEEEvT5_PKS3_S5_NS_24const_host_device_scalarIT6_EEPKT4_S5_PKS7_SB_S5_SD_S8_SB_S5_SD_SB_PS3_PS7_21rocsparse_index_base_SG_SG_SG_bbb, .Lfunc_end135-_ZN9rocsparseL26csrgemm_fill_block_per_rowILj128ELj16ELj256ELj137ELj32Ell21rocsparse_complex_numIfEEEvT5_PKS3_S5_NS_24const_host_device_scalarIT6_EEPKT4_S5_PKS7_SB_S5_SD_S8_SB_S5_SD_SB_PS3_PS7_21rocsparse_index_base_SG_SG_SG_bbb
                                        ; -- End function
	.section	.AMDGPU.csdata,"",@progbits
; Kernel info:
; codeLenInByte = 2644
; NumSgprs: 65
; NumVgprs: 26
; NumAgprs: 0
; TotalNumVgprs: 26
; ScratchSize: 0
; MemoryBound: 0
; FloatMode: 240
; IeeeMode: 1
; LDSByteSize: 0 bytes/workgroup (compile time only)
; SGPRBlocks: 8
; VGPRBlocks: 3
; NumSGPRsForWavesPerEU: 65
; NumVGPRsForWavesPerEU: 26
; AccumOffset: 28
; Occupancy: 8
; WaveLimiterHint : 1
; COMPUTE_PGM_RSRC2:SCRATCH_EN: 0
; COMPUTE_PGM_RSRC2:USER_SGPR: 6
; COMPUTE_PGM_RSRC2:TRAP_HANDLER: 0
; COMPUTE_PGM_RSRC2:TGID_X_EN: 1
; COMPUTE_PGM_RSRC2:TGID_Y_EN: 0
; COMPUTE_PGM_RSRC2:TGID_Z_EN: 0
; COMPUTE_PGM_RSRC2:TIDIG_COMP_CNT: 0
; COMPUTE_PGM_RSRC3_GFX90A:ACCUM_OFFSET: 6
; COMPUTE_PGM_RSRC3_GFX90A:TG_SPLIT: 0
	.section	.text._ZN9rocsparseL26csrgemm_fill_block_per_rowILj128ELj16ELj256ELj137ELj64Ell21rocsparse_complex_numIfEEEvT5_PKS3_S5_NS_24const_host_device_scalarIT6_EEPKT4_S5_PKS7_SB_S5_SD_S8_SB_S5_SD_SB_PS3_PS7_21rocsparse_index_base_SG_SG_SG_bbb,"axG",@progbits,_ZN9rocsparseL26csrgemm_fill_block_per_rowILj128ELj16ELj256ELj137ELj64Ell21rocsparse_complex_numIfEEEvT5_PKS3_S5_NS_24const_host_device_scalarIT6_EEPKT4_S5_PKS7_SB_S5_SD_S8_SB_S5_SD_SB_PS3_PS7_21rocsparse_index_base_SG_SG_SG_bbb,comdat
	.globl	_ZN9rocsparseL26csrgemm_fill_block_per_rowILj128ELj16ELj256ELj137ELj64Ell21rocsparse_complex_numIfEEEvT5_PKS3_S5_NS_24const_host_device_scalarIT6_EEPKT4_S5_PKS7_SB_S5_SD_S8_SB_S5_SD_SB_PS3_PS7_21rocsparse_index_base_SG_SG_SG_bbb ; -- Begin function _ZN9rocsparseL26csrgemm_fill_block_per_rowILj128ELj16ELj256ELj137ELj64Ell21rocsparse_complex_numIfEEEvT5_PKS3_S5_NS_24const_host_device_scalarIT6_EEPKT4_S5_PKS7_SB_S5_SD_S8_SB_S5_SD_SB_PS3_PS7_21rocsparse_index_base_SG_SG_SG_bbb
	.p2align	8
	.type	_ZN9rocsparseL26csrgemm_fill_block_per_rowILj128ELj16ELj256ELj137ELj64Ell21rocsparse_complex_numIfEEEvT5_PKS3_S5_NS_24const_host_device_scalarIT6_EEPKT4_S5_PKS7_SB_S5_SD_S8_SB_S5_SD_SB_PS3_PS7_21rocsparse_index_base_SG_SG_SG_bbb,@function
_ZN9rocsparseL26csrgemm_fill_block_per_rowILj128ELj16ELj256ELj137ELj64Ell21rocsparse_complex_numIfEEEvT5_PKS3_S5_NS_24const_host_device_scalarIT6_EEPKT4_S5_PKS7_SB_S5_SD_S8_SB_S5_SD_SB_PS3_PS7_21rocsparse_index_base_SG_SG_SG_bbb: ; @_ZN9rocsparseL26csrgemm_fill_block_per_rowILj128ELj16ELj256ELj137ELj64Ell21rocsparse_complex_numIfEEEvT5_PKS3_S5_NS_24const_host_device_scalarIT6_EEPKT4_S5_PKS7_SB_S5_SD_S8_SB_S5_SD_SB_PS3_PS7_21rocsparse_index_base_SG_SG_SG_bbb
; %bb.0:
	s_load_dwordx8 s[8:15], s[4:5], 0x60
	s_load_dwordx8 s[16:23], s[4:5], 0x40
	s_load_dword s7, s[4:5], 0x98
	s_load_dwordx4 s[40:43], s[4:5], 0x8
	s_load_dwordx8 s[24:31], s[4:5], 0x20
	s_load_dwordx2 s[34:35], s[4:5], 0x80
	s_load_dwordx4 s[36:39], s[4:5], 0x88
	s_waitcnt lgkmcnt(0)
	s_bitcmp1_b32 s7, 0
	s_cselect_b64 s[46:47], -1, 0
	s_bitcmp1_b32 s7, 16
	s_cselect_b64 s[0:1], -1, 0
	s_xor_b64 s[0:1], s[0:1], -1
	v_cndmask_b32_e64 v1, 0, 1, s[0:1]
	s_mov_b32 s3, 0
	s_bitcmp0_b32 s7, 0
	v_cmp_ne_u32_e64 s[0:1], 1, v1
	s_mov_b32 s59, 0
	s_cbranch_scc1 .LBB136_5
; %bb.1:
	s_load_dwordx2 s[2:3], s[4:5], 0x18
	s_and_b64 vcc, exec, s[0:1]
	s_waitcnt lgkmcnt(0)
	s_mov_b32 s59, s2
	s_cbranch_vccnz .LBB136_3
; %bb.2:
	s_load_dword s59, s[2:3], 0x0
.LBB136_3:
	s_and_b64 vcc, exec, s[0:1]
	s_cbranch_vccnz .LBB136_5
; %bb.4:
	s_load_dword s3, s[2:3], 0x4
.LBB136_5:
	s_bitcmp1_b32 s7, 8
	s_cselect_b64 s[44:45], -1, 0
	s_bfe_u32 s2, s7, 0x10008
	s_mov_b32 s58, 0
	s_cmp_eq_u32 s2, 0
	s_mov_b32 s33, 0
	s_cbranch_scc1 .LBB136_11
; %bb.6:
	s_and_b64 vcc, exec, s[0:1]
	s_mov_b32 s33, s20
	s_cbranch_vccnz .LBB136_8
; %bb.7:
	s_load_dword s33, s[20:21], 0x0
.LBB136_8:
	s_and_b64 vcc, exec, s[0:1]
	s_cbranch_vccnz .LBB136_10
; %bb.9:
	s_load_dword s21, s[20:21], 0x4
.LBB136_10:
	s_waitcnt lgkmcnt(0)
	s_mov_b32 s58, s21
.LBB136_11:
	s_load_dwordx2 s[20:21], s[4:5], 0x0
	s_movk_i32 s0, 0x100
	v_cmp_gt_u32_e64 s[0:1], s0, v0
	v_lshl_add_u32 v1, v0, 3, 0
	s_and_saveexec_b64 s[4:5], s[0:1]
	s_cbranch_execz .LBB136_14
; %bb.12:
	v_or_b32_e32 v4, 0xffffff80, v0
	v_lshl_add_u32 v5, v0, 3, 0
	s_mov_b64 s[48:49], 0
	s_waitcnt lgkmcnt(0)
	v_pk_mov_b32 v[2:3], s[20:21], s[20:21] op_sel:[0,1]
	v_mov_b32_e32 v6, 0
.LBB136_13:                             ; =>This Inner Loop Header: Depth=1
	v_add_co_u32_e32 v4, vcc, 0x80, v4
	s_xor_b64 s[50:51], vcc, -1
	s_and_b64 s[50:51], exec, s[50:51]
	ds_write_b64 v5, v[2:3]
	v_add_u32_e32 v7, 0x800, v5
	v_add_u32_e32 v5, 0x400, v5
	s_or_b64 s[48:49], s[50:51], s[48:49]
	ds_write2_b32 v7, v6, v6 offset1:1
	s_andn2_b64 exec, exec, s[48:49]
	s_cbranch_execnz .LBB136_13
.LBB136_14:
	s_or_b64 exec, exec, s[4:5]
	s_waitcnt lgkmcnt(0)
	s_barrier
	s_load_dwordx2 s[4:5], s[40:41], 0x0
	s_mov_b32 s7, 0
	s_waitcnt lgkmcnt(0)
	s_lshl_b64 s[4:5], s[4:5], 3
	s_add_u32 s2, s42, s4
	s_addc_u32 s40, s43, s5
	s_lshl_b64 s[4:5], s[6:7], 3
	s_add_u32 s4, s2, s4
	s_addc_u32 s5, s40, s5
	s_load_dwordx2 s[40:41], s[4:5], 0x0
	s_and_b64 vcc, exec, s[46:47]
	s_cbranch_vccz .LBB136_34
; %bb.15:
	s_waitcnt lgkmcnt(0)
	s_lshl_b64 s[4:5], s[40:41], 3
	s_add_u32 s4, s24, s4
	s_addc_u32 s5, s25, s5
	s_load_dwordx4 s[48:51], s[4:5], 0x0
	v_lshrrev_b32_e32 v2, 4, v0
	v_subrev_co_u32_e32 v2, vcc, s36, v2
	v_subb_co_u32_e64 v3, s[24:25], 0, 0, vcc
	s_waitcnt lgkmcnt(0)
	s_sub_u32 s4, s50, s36
	v_mov_b32_e32 v4, s49
	v_add_co_u32_e32 v2, vcc, s48, v2
	s_subb_u32 s5, s51, 0
	v_addc_co_u32_e32 v3, vcc, v4, v3, vcc
	v_cmp_gt_i64_e32 vcc, s[4:5], v[2:3]
	s_and_saveexec_b64 s[24:25], vcc
	s_cbranch_execz .LBB136_33
; %bb.16:
	v_and_b32_e32 v4, 15, v0
	v_subrev_co_u32_e32 v11, vcc, s37, v4
	s_mov_b32 s2, s36
	s_mov_b32 s6, 0
	;; [unrolled: 1-line block ×3, first 2 shown]
	v_subb_co_u32_e64 v14, s[36:37], 0, 0, vcc
	s_mov_b64 s[36:37], 0
	v_mov_b32_e32 v15, s27
	v_mov_b32_e32 v16, s7
	;; [unrolled: 1-line block ×4, first 2 shown]
	s_movk_i32 s27, 0x89
	s_branch .LBB136_18
.LBB136_17:                             ;   in Loop: Header=BB136_18 Depth=1
	s_or_b64 exec, exec, s[6:7]
	v_add_co_u32_e32 v2, vcc, 8, v2
	v_addc_co_u32_e32 v3, vcc, 0, v3, vcc
	v_cmp_le_i64_e32 vcc, s[4:5], v[2:3]
	s_or_b64 s[36:37], vcc, s[36:37]
	s_andn2_b64 exec, exec, s[36:37]
	s_cbranch_execz .LBB136_33
.LBB136_18:                             ; =>This Loop Header: Depth=1
                                        ;     Child Loop BB136_21 Depth 2
                                        ;       Child Loop BB136_23 Depth 3
	v_lshlrev_b64 v[8:9], 3, v[2:3]
	v_add_co_u32_e32 v4, vcc, s26, v8
	v_addc_co_u32_e32 v5, vcc, v15, v9, vcc
	global_load_dwordx2 v[4:5], v[4:5], off
	s_waitcnt vmcnt(0)
	v_subrev_co_u32_e32 v4, vcc, s2, v4
	v_subb_co_u32_e32 v5, vcc, v5, v16, vcc
	v_lshlrev_b64 v[4:5], 3, v[4:5]
	v_add_co_u32_e32 v4, vcc, s30, v4
	v_addc_co_u32_e32 v5, vcc, v17, v5, vcc
	global_load_dwordx4 v[20:23], v[4:5], off
	s_waitcnt vmcnt(0)
	v_subrev_co_u32_e32 v4, vcc, s60, v22
	v_subb_co_u32_e32 v5, vcc, v23, v18, vcc
	v_add_co_u32_e32 v6, vcc, v20, v11
	v_addc_co_u32_e32 v7, vcc, v21, v14, vcc
	v_cmp_lt_i64_e32 vcc, v[6:7], v[4:5]
	s_and_saveexec_b64 s[6:7], vcc
	s_cbranch_execz .LBB136_17
; %bb.19:                               ;   in Loop: Header=BB136_18 Depth=1
	v_mov_b32_e32 v10, s29
	v_add_co_u32_e32 v8, vcc, s28, v8
	v_addc_co_u32_e32 v9, vcc, v10, v9, vcc
	global_load_dwordx2 v[8:9], v[8:9], off
	s_mov_b64 s[42:43], 0
	s_waitcnt vmcnt(0)
	v_mul_f32_e64 v19, v9, -s3
	v_mul_f32_e32 v20, s59, v9
	v_fmac_f32_e32 v19, s59, v8
	v_fmac_f32_e32 v20, s3, v8
	s_branch .LBB136_21
.LBB136_20:                             ;   in Loop: Header=BB136_21 Depth=2
	s_or_b64 exec, exec, s[46:47]
	v_add_co_u32_e32 v6, vcc, 16, v6
	v_addc_co_u32_e32 v7, vcc, 0, v7, vcc
	v_cmp_ge_i64_e32 vcc, v[6:7], v[4:5]
	s_or_b64 s[42:43], vcc, s[42:43]
	s_andn2_b64 exec, exec, s[42:43]
	s_cbranch_execz .LBB136_17
.LBB136_21:                             ;   Parent Loop BB136_18 Depth=1
                                        ; =>  This Loop Header: Depth=2
                                        ;       Child Loop BB136_23 Depth 3
	v_lshlrev_b64 v[8:9], 3, v[6:7]
	v_mov_b32_e32 v10, s17
	v_add_co_u32_e32 v12, vcc, s16, v8
	v_addc_co_u32_e32 v13, vcc, v10, v9, vcc
	v_mov_b32_e32 v10, s19
	v_add_co_u32_e32 v8, vcc, s18, v8
	global_load_dwordx2 v[12:13], v[12:13], off
	v_addc_co_u32_e32 v9, vcc, v10, v9, vcc
	global_load_dwordx2 v[24:25], v[8:9], off
	s_mov_b64 s[46:47], 0
	s_waitcnt vmcnt(1)
	v_subrev_co_u32_e32 v8, vcc, s60, v12
	v_mul_lo_u32 v10, v8, s27
	s_waitcnt vmcnt(0)
	v_mul_f32_e64 v21, v25, -v20
	v_mul_f32_e32 v22, v19, v25
	v_subb_co_u32_e32 v9, vcc, v13, v18, vcc
	v_fmac_f32_e32 v21, v19, v24
	v_fmac_f32_e32 v22, v20, v24
	v_and_b32_e32 v10, 0xff, v10
	s_branch .LBB136_23
.LBB136_22:                             ;   in Loop: Header=BB136_23 Depth=3
	s_or_b64 exec, exec, s[48:49]
	s_xor_b64 s[48:49], s[50:51], -1
	s_and_b64 s[48:49], exec, s[48:49]
	s_or_b64 s[46:47], s[48:49], s[46:47]
	s_andn2_b64 exec, exec, s[46:47]
	s_cbranch_execz .LBB136_20
.LBB136_23:                             ;   Parent Loop BB136_18 Depth=1
                                        ;     Parent Loop BB136_21 Depth=2
                                        ; =>    This Inner Loop Header: Depth=3
	v_lshl_add_u32 v23, v10, 3, 0
	ds_read_b64 v[12:13], v23
                                        ; implicit-def: $sgpr50_sgpr51
	s_waitcnt lgkmcnt(0)
	v_cmp_ne_u64_e32 vcc, v[12:13], v[8:9]
	s_and_saveexec_b64 s[48:49], vcc
	s_xor_b64 s[48:49], exec, s[48:49]
	s_cbranch_execz .LBB136_31
; %bb.24:                               ;   in Loop: Header=BB136_23 Depth=3
	v_cmp_ne_u64_e32 vcc, s[20:21], v[12:13]
                                        ; implicit-def: $sgpr50_sgpr51
	s_and_saveexec_b64 s[52:53], vcc
	s_xor_b64 s[52:53], exec, s[52:53]
; %bb.25:                               ;   in Loop: Header=BB136_23 Depth=3
	v_add_u32_e32 v10, 1, v10
	v_and_b32_e32 v10, 0xff, v10
	s_mov_b64 s[50:51], -1
                                        ; implicit-def: $vgpr23
; %bb.26:                               ;   in Loop: Header=BB136_23 Depth=3
	s_andn2_saveexec_b64 s[52:53], s[52:53]
	s_cbranch_execz .LBB136_30
; %bb.27:                               ;   in Loop: Header=BB136_23 Depth=3
	v_pk_mov_b32 v[12:13], s[20:21], s[20:21] op_sel:[0,1]
	ds_cmpst_rtn_b64 v[12:13], v23, v[12:13], v[8:9]
	s_mov_b64 s[54:55], -1
	s_waitcnt lgkmcnt(0)
	v_cmp_eq_u64_e32 vcc, s[20:21], v[12:13]
	s_and_saveexec_b64 s[56:57], vcc
	s_cbranch_execz .LBB136_29
; %bb.28:                               ;   in Loop: Header=BB136_23 Depth=3
	ds_add_f32 v23, v21 offset:2048
	ds_add_f32 v23, v22 offset:2052
	s_xor_b64 s[54:55], exec, -1
.LBB136_29:                             ;   in Loop: Header=BB136_23 Depth=3
	s_or_b64 exec, exec, s[56:57]
	s_andn2_b64 s[50:51], s[50:51], exec
	s_and_b64 s[54:55], s[54:55], exec
	s_or_b64 s[50:51], s[50:51], s[54:55]
.LBB136_30:                             ;   in Loop: Header=BB136_23 Depth=3
	s_or_b64 exec, exec, s[52:53]
	s_and_b64 s[50:51], s[50:51], exec
                                        ; implicit-def: $vgpr23
.LBB136_31:                             ;   in Loop: Header=BB136_23 Depth=3
	s_andn2_saveexec_b64 s[48:49], s[48:49]
	s_cbranch_execz .LBB136_22
; %bb.32:                               ;   in Loop: Header=BB136_23 Depth=3
	ds_add_f32 v23, v21 offset:2048
	ds_add_f32 v23, v22 offset:2052
	s_andn2_b64 s[50:51], s[50:51], exec
	s_branch .LBB136_22
.LBB136_33:
	s_or_b64 exec, exec, s[24:25]
.LBB136_34:
	s_andn2_b64 vcc, exec, s[44:45]
	s_cbranch_vccnz .LBB136_51
; %bb.35:
	s_waitcnt lgkmcnt(0)
	s_lshl_b64 s[2:3], s[40:41], 3
	s_add_u32 s2, s22, s2
	s_addc_u32 s3, s23, s3
	s_load_dwordx4 s[4:7], s[2:3], 0x0
	v_subrev_co_u32_e32 v2, vcc, s39, v0
	s_mov_b32 s16, 0
	s_waitcnt lgkmcnt(0)
	s_sub_u32 s2, s6, s39
	s_subb_u32 s3, s7, 0
	v_subb_co_u32_e64 v3, s[6:7], 0, 0, vcc
	v_mov_b32_e32 v4, s5
	v_add_co_u32_e32 v2, vcc, s4, v2
	v_addc_co_u32_e32 v3, vcc, v4, v3, vcc
	v_cmp_gt_i64_e32 vcc, s[2:3], v[2:3]
	s_and_saveexec_b64 s[4:5], vcc
	s_cbranch_execz .LBB136_50
; %bb.36:
	s_mov_b32 s30, s39
	s_mov_b64 s[6:7], 0
	v_mov_b32_e32 v7, s9
	v_mov_b32_e32 v10, s16
	;; [unrolled: 1-line block ×3, first 2 shown]
	s_movk_i32 s9, 0x89
	s_branch .LBB136_38
.LBB136_37:                             ;   in Loop: Header=BB136_38 Depth=1
	s_or_b64 exec, exec, s[16:17]
	v_add_co_u32_e32 v2, vcc, 0x80, v2
	v_addc_co_u32_e32 v3, vcc, 0, v3, vcc
	v_cmp_le_i64_e32 vcc, s[2:3], v[2:3]
	s_or_b64 s[6:7], vcc, s[6:7]
	s_andn2_b64 exec, exec, s[6:7]
	s_cbranch_execz .LBB136_50
.LBB136_38:                             ; =>This Loop Header: Depth=1
                                        ;     Child Loop BB136_40 Depth 2
	v_lshlrev_b64 v[4:5], 3, v[2:3]
	v_add_co_u32_e32 v8, vcc, s8, v4
	v_addc_co_u32_e32 v9, vcc, v7, v5, vcc
	v_add_co_u32_e32 v4, vcc, s10, v4
	global_load_dwordx2 v[8:9], v[8:9], off
	v_addc_co_u32_e32 v5, vcc, v11, v5, vcc
	global_load_dwordx2 v[14:15], v[4:5], off
	s_mov_b64 s[16:17], 0
	s_waitcnt vmcnt(1)
	v_subrev_co_u32_e32 v4, vcc, s30, v8
	v_mul_lo_u32 v6, v4, s9
	s_waitcnt vmcnt(0)
	v_mul_f32_e64 v12, v15, -s58
	v_mul_f32_e32 v13, s33, v15
	v_subb_co_u32_e32 v5, vcc, v9, v10, vcc
	v_fmac_f32_e32 v12, s33, v14
	v_fmac_f32_e32 v13, s58, v14
	v_and_b32_e32 v6, 0xff, v6
	s_branch .LBB136_40
.LBB136_39:                             ;   in Loop: Header=BB136_40 Depth=2
	s_or_b64 exec, exec, s[18:19]
	s_xor_b64 s[18:19], s[22:23], -1
	s_and_b64 s[18:19], exec, s[18:19]
	s_or_b64 s[16:17], s[18:19], s[16:17]
	s_andn2_b64 exec, exec, s[16:17]
	s_cbranch_execz .LBB136_37
.LBB136_40:                             ;   Parent Loop BB136_38 Depth=1
                                        ; =>  This Inner Loop Header: Depth=2
	v_lshl_add_u32 v14, v6, 3, 0
	ds_read_b64 v[8:9], v14
                                        ; implicit-def: $sgpr22_sgpr23
	s_waitcnt lgkmcnt(0)
	v_cmp_ne_u64_e32 vcc, v[8:9], v[4:5]
	s_and_saveexec_b64 s[18:19], vcc
	s_xor_b64 s[18:19], exec, s[18:19]
	s_cbranch_execz .LBB136_48
; %bb.41:                               ;   in Loop: Header=BB136_40 Depth=2
	v_cmp_ne_u64_e32 vcc, s[20:21], v[8:9]
                                        ; implicit-def: $sgpr22_sgpr23
	s_and_saveexec_b64 s[24:25], vcc
	s_xor_b64 s[24:25], exec, s[24:25]
; %bb.42:                               ;   in Loop: Header=BB136_40 Depth=2
	v_add_u32_e32 v6, 1, v6
	v_and_b32_e32 v6, 0xff, v6
	s_mov_b64 s[22:23], -1
                                        ; implicit-def: $vgpr14
; %bb.43:                               ;   in Loop: Header=BB136_40 Depth=2
	s_andn2_saveexec_b64 s[24:25], s[24:25]
	s_cbranch_execz .LBB136_47
; %bb.44:                               ;   in Loop: Header=BB136_40 Depth=2
	v_pk_mov_b32 v[8:9], s[20:21], s[20:21] op_sel:[0,1]
	ds_cmpst_rtn_b64 v[8:9], v14, v[8:9], v[4:5]
	s_mov_b64 s[26:27], -1
	s_waitcnt lgkmcnt(0)
	v_cmp_eq_u64_e32 vcc, s[20:21], v[8:9]
	s_and_saveexec_b64 s[28:29], vcc
	s_cbranch_execz .LBB136_46
; %bb.45:                               ;   in Loop: Header=BB136_40 Depth=2
	ds_add_f32 v14, v12 offset:2048
	ds_add_f32 v14, v13 offset:2052
	s_xor_b64 s[26:27], exec, -1
.LBB136_46:                             ;   in Loop: Header=BB136_40 Depth=2
	s_or_b64 exec, exec, s[28:29]
	s_andn2_b64 s[22:23], s[22:23], exec
	s_and_b64 s[26:27], s[26:27], exec
	s_or_b64 s[22:23], s[22:23], s[26:27]
.LBB136_47:                             ;   in Loop: Header=BB136_40 Depth=2
	s_or_b64 exec, exec, s[24:25]
	s_and_b64 s[22:23], s[22:23], exec
                                        ; implicit-def: $vgpr14
.LBB136_48:                             ;   in Loop: Header=BB136_40 Depth=2
	s_andn2_saveexec_b64 s[18:19], s[18:19]
	s_cbranch_execz .LBB136_39
; %bb.49:                               ;   in Loop: Header=BB136_40 Depth=2
	ds_add_f32 v14, v12 offset:2048
	ds_add_f32 v14, v13 offset:2052
	s_andn2_b64 s[22:23], s[22:23], exec
	s_branch .LBB136_39
.LBB136_50:
	s_or_b64 exec, exec, s[4:5]
.LBB136_51:
	s_waitcnt lgkmcnt(0)
	s_barrier
	s_and_saveexec_b64 s[6:7], s[0:1]
	s_cbranch_execz .LBB136_60
; %bb.52:
	v_mbcnt_lo_u32_b32 v2, -1, 0
	v_mbcnt_hi_u32_b32 v2, -1, v2
	v_sub_u32_e32 v2, 63, v2
	v_lshrrev_b64 v[4:5], v2, -1
	v_lshrrev_b32_e32 v2, 3, v0
	v_and_b32_e32 v2, 8, v2
	s_movk_i32 s2, 0x7f
	v_mov_b32_e32 v3, 0
	v_add_u32_e32 v14, 0, v2
	v_cmp_lt_u32_e64 s[0:1], 63, v0
	v_cmp_eq_u32_e64 s[2:3], s2, v0
	v_or_b32_e32 v15, 0xffffff80, v0
	s_mov_b64 s[8:9], 0
	v_pk_mov_b32 v[6:7], 0, 0
	s_branch .LBB136_54
.LBB136_53:                             ;   in Loop: Header=BB136_54 Depth=1
	s_or_b64 exec, exec, s[4:5]
	s_waitcnt lgkmcnt(0)
	s_barrier
	ds_read_b64 v[8:9], v3 offset:4104
	v_add_u32_e32 v1, 0x400, v1
	s_waitcnt lgkmcnt(0)
	v_add_co_u32_e32 v6, vcc, v8, v6
	v_addc_co_u32_e32 v7, vcc, v9, v7, vcc
	v_add_co_u32_e32 v15, vcc, 0x80, v15
	s_xor_b64 s[4:5], vcc, -1
	s_and_b64 s[4:5], exec, s[4:5]
	s_or_b64 s[8:9], s[4:5], s[8:9]
	s_andn2_b64 exec, exec, s[8:9]
	s_cbranch_execz .LBB136_60
.LBB136_54:                             ; =>This Inner Loop Header: Depth=1
	ds_read_b64 v[10:11], v1
	v_add_u32_e32 v2, 0x800, v1
	ds_read2_b32 v[12:13], v2 offset1:1
	s_waitcnt lgkmcnt(0)
	s_barrier
	v_cmp_gt_i64_e32 vcc, s[20:21], v[10:11]
	v_and_b32_e32 v9, vcc_lo, v4
	s_bcnt1_i32_b64 s4, vcc
	v_and_b32_e32 v8, vcc_hi, v5
	v_bcnt_u32_b32 v9, v9, 0
	v_mov_b32_e32 v2, s4
	v_bcnt_u32_b32 v8, v8, v9
	ds_write_b64 v14, v[2:3] offset:4096
	s_waitcnt lgkmcnt(0)
	s_barrier
	s_and_saveexec_b64 s[10:11], s[0:1]
	s_cbranch_execnz .LBB136_57
; %bb.55:                               ;   in Loop: Header=BB136_54 Depth=1
	s_or_b64 exec, exec, s[10:11]
	s_and_saveexec_b64 s[4:5], vcc
	s_cbranch_execnz .LBB136_58
.LBB136_56:                             ;   in Loop: Header=BB136_54 Depth=1
	s_or_b64 exec, exec, s[4:5]
	s_and_saveexec_b64 s[4:5], s[2:3]
	s_cbranch_execz .LBB136_53
	s_branch .LBB136_59
.LBB136_57:                             ;   in Loop: Header=BB136_54 Depth=1
	ds_read_b64 v[16:17], v3 offset:4096
	s_waitcnt lgkmcnt(0)
	v_add_co_u32_e64 v8, s[4:5], v16, v8
	s_or_b64 exec, exec, s[10:11]
	s_and_saveexec_b64 s[4:5], vcc
	s_cbranch_execz .LBB136_56
.LBB136_58:                             ;   in Loop: Header=BB136_54 Depth=1
	v_add3_u32 v2, v6, -1, v8
	v_lshl_add_u32 v2, v2, 3, 0
	v_add_u32_e32 v9, 0x800, v2
	ds_write_b64 v2, v[10:11]
	ds_write2_b32 v9, v12, v13 offset1:1
	s_or_b64 exec, exec, s[4:5]
	s_and_saveexec_b64 s[4:5], s[2:3]
	s_cbranch_execz .LBB136_53
.LBB136_59:                             ;   in Loop: Header=BB136_54 Depth=1
	v_ashrrev_i32_e32 v9, 31, v8
	ds_write_b64 v3, v[8:9] offset:4104
	s_branch .LBB136_53
.LBB136_60:
	s_or_b64 exec, exec, s[6:7]
	s_lshl_b64 s[0:1], s[40:41], 3
	s_add_u32 s0, s12, s0
	s_addc_u32 s1, s13, s1
	s_load_dwordx4 s[0:3], s[0:1], 0x0
	v_mov_b32_e32 v1, 0
	s_waitcnt lgkmcnt(0)
	s_sub_u32 s4, s2, s0
	s_subb_u32 s5, s3, s1
	v_cmp_gt_i64_e32 vcc, s[4:5], v[0:1]
	s_and_saveexec_b64 s[6:7], vcc
	s_cbranch_execz .LBB136_70
; %bb.61:
	s_sub_u32 s6, s0, s38
	s_subb_u32 s7, s1, 0
	s_and_b32 s8, s4, 7
	s_sub_u32 s0, s0, s2
	s_mov_b32 s18, 0
	s_subb_u32 s1, s1, s3
	s_mov_b32 s9, s18
	s_and_b32 s2, s4, -8
	v_cmp_lt_u64_e64 s[0:1], s[0:1], -7
	s_cmp_lg_u64 s[8:9], 0
	v_cndmask_b32_e64 v2, 0, 1, s[0:1]
	s_mov_b32 s3, s5
	s_mov_b64 s[10:11], 0
	s_cselect_b64 s[12:13], -1, 0
	v_cmp_ne_u32_e64 s[0:1], 1, v2
	s_branch .LBB136_63
.LBB136_62:                             ;   in Loop: Header=BB136_63 Depth=1
	v_mov_b32_e32 v8, s18
	s_waitcnt lgkmcnt(1)
	v_add_co_u32_e32 v4, vcc, s38, v4
	v_addc_co_u32_e32 v5, vcc, v5, v8, vcc
	v_lshlrev_b64 v[6:7], 3, v[6:7]
	v_mov_b32_e32 v9, s15
	v_add_co_u32_e32 v8, vcc, s14, v6
	v_addc_co_u32_e32 v9, vcc, v9, v7, vcc
	global_store_dwordx2 v[8:9], v[4:5], off
	v_mov_b32_e32 v5, s35
	v_add_co_u32_e32 v4, vcc, s34, v6
	v_addc_co_u32_e32 v5, vcc, v5, v7, vcc
	v_add_co_u32_e32 v0, vcc, 0x80, v0
	v_addc_co_u32_e32 v1, vcc, 0, v1, vcc
	v_cmp_le_i64_e32 vcc, s[4:5], v[0:1]
	s_or_b64 s[10:11], vcc, s[10:11]
	s_waitcnt lgkmcnt(0)
	global_store_dwordx2 v[4:5], v[2:3], off
	s_andn2_b64 exec, exec, s[10:11]
	s_cbranch_execz .LBB136_70
.LBB136_63:                             ; =>This Loop Header: Depth=1
                                        ;     Child Loop BB136_65 Depth 2
                                        ;     Child Loop BB136_69 Depth 2
	v_lshl_add_u32 v2, v0, 3, 0
	v_add_u32_e32 v3, 0x800, v2
	ds_read_b64 v[4:5], v2
	ds_read2_b32 v[2:3], v3 offset1:1
	s_and_b64 vcc, exec, s[0:1]
	v_pk_mov_b32 v[6:7], s[6:7], s[6:7] op_sel:[0,1]
	s_mov_b64 s[16:17], 0
	s_cbranch_vccnz .LBB136_67
; %bb.64:                               ;   in Loop: Header=BB136_63 Depth=1
	s_mov_b32 s19, 0
	v_pk_mov_b32 v[6:7], s[6:7], s[6:7] op_sel:[0,1]
.LBB136_65:                             ;   Parent Loop BB136_63 Depth=1
                                        ; =>  This Inner Loop Header: Depth=2
	v_mov_b32_e32 v20, s19
	ds_read2_b64 v[8:11], v20 offset1:1
	ds_read2_b64 v[12:15], v20 offset0:2 offset1:3
	ds_read2_b64 v[16:19], v20 offset0:4 offset1:5
	;; [unrolled: 1-line block ×3, first 2 shown]
	s_add_u32 s16, s16, 8
	s_waitcnt lgkmcnt(3)
	v_cmp_gt_i64_e32 vcc, v[4:5], v[8:9]
	v_cndmask_b32_e64 v8, 0, 1, vcc
	v_cmp_gt_i64_e32 vcc, v[4:5], v[10:11]
	v_cndmask_b32_e64 v9, 0, 1, vcc
	s_waitcnt lgkmcnt(2)
	v_cmp_gt_i64_e32 vcc, v[4:5], v[12:13]
	v_cndmask_b32_e64 v10, 0, 1, vcc
	v_cmp_gt_i64_e32 vcc, v[4:5], v[14:15]
	v_cndmask_b32_e64 v11, 0, 1, vcc
	;; [unrolled: 5-line block ×4, first 2 shown]
	v_add_co_u32_e32 v6, vcc, v6, v8
	v_addc_co_u32_e32 v7, vcc, 0, v7, vcc
	v_add_co_u32_e32 v6, vcc, v6, v9
	v_addc_co_u32_e32 v7, vcc, 0, v7, vcc
	;; [unrolled: 2-line block ×7, first 2 shown]
	s_addc_u32 s17, s17, 0
	s_add_i32 s19, s19, 64
	v_add_co_u32_e32 v6, vcc, v6, v15
	s_cmp_eq_u64 s[2:3], s[16:17]
	v_addc_co_u32_e32 v7, vcc, 0, v7, vcc
	s_cbranch_scc0 .LBB136_65
; %bb.66:                               ;   in Loop: Header=BB136_63 Depth=1
	s_mov_b64 s[16:17], s[2:3]
.LBB136_67:                             ;   in Loop: Header=BB136_63 Depth=1
	s_andn2_b64 vcc, exec, s[12:13]
	s_cbranch_vccnz .LBB136_62
; %bb.68:                               ;   in Loop: Header=BB136_63 Depth=1
	s_lshl_b32 s16, s16, 3
	s_add_i32 s19, s16, 0
	s_mov_b64 s[16:17], s[8:9]
.LBB136_69:                             ;   Parent Loop BB136_63 Depth=1
                                        ; =>  This Inner Loop Header: Depth=2
	v_mov_b32_e32 v8, s19
	ds_read_b64 v[8:9], v8
	s_add_i32 s19, s19, 8
	s_add_u32 s16, s16, -1
	s_addc_u32 s17, s17, -1
	s_cmp_lg_u64 s[16:17], 0
	s_waitcnt lgkmcnt(0)
	v_cmp_gt_i64_e32 vcc, v[4:5], v[8:9]
	v_cndmask_b32_e64 v8, 0, 1, vcc
	v_add_co_u32_e32 v6, vcc, v6, v8
	v_addc_co_u32_e32 v7, vcc, 0, v7, vcc
	s_cbranch_scc1 .LBB136_69
	s_branch .LBB136_62
.LBB136_70:
	s_endpgm
	.section	.rodata,"a",@progbits
	.p2align	6, 0x0
	.amdhsa_kernel _ZN9rocsparseL26csrgemm_fill_block_per_rowILj128ELj16ELj256ELj137ELj64Ell21rocsparse_complex_numIfEEEvT5_PKS3_S5_NS_24const_host_device_scalarIT6_EEPKT4_S5_PKS7_SB_S5_SD_S8_SB_S5_SD_SB_PS3_PS7_21rocsparse_index_base_SG_SG_SG_bbb
		.amdhsa_group_segment_fixed_size 0
		.amdhsa_private_segment_fixed_size 0
		.amdhsa_kernarg_size 156
		.amdhsa_user_sgpr_count 6
		.amdhsa_user_sgpr_private_segment_buffer 1
		.amdhsa_user_sgpr_dispatch_ptr 0
		.amdhsa_user_sgpr_queue_ptr 0
		.amdhsa_user_sgpr_kernarg_segment_ptr 1
		.amdhsa_user_sgpr_dispatch_id 0
		.amdhsa_user_sgpr_flat_scratch_init 0
		.amdhsa_user_sgpr_kernarg_preload_length 0
		.amdhsa_user_sgpr_kernarg_preload_offset 0
		.amdhsa_user_sgpr_private_segment_size 0
		.amdhsa_uses_dynamic_stack 0
		.amdhsa_system_sgpr_private_segment_wavefront_offset 0
		.amdhsa_system_sgpr_workgroup_id_x 1
		.amdhsa_system_sgpr_workgroup_id_y 0
		.amdhsa_system_sgpr_workgroup_id_z 0
		.amdhsa_system_sgpr_workgroup_info 0
		.amdhsa_system_vgpr_workitem_id 0
		.amdhsa_next_free_vgpr 26
		.amdhsa_next_free_sgpr 61
		.amdhsa_accum_offset 28
		.amdhsa_reserve_vcc 1
		.amdhsa_reserve_flat_scratch 0
		.amdhsa_float_round_mode_32 0
		.amdhsa_float_round_mode_16_64 0
		.amdhsa_float_denorm_mode_32 3
		.amdhsa_float_denorm_mode_16_64 3
		.amdhsa_dx10_clamp 1
		.amdhsa_ieee_mode 1
		.amdhsa_fp16_overflow 0
		.amdhsa_tg_split 0
		.amdhsa_exception_fp_ieee_invalid_op 0
		.amdhsa_exception_fp_denorm_src 0
		.amdhsa_exception_fp_ieee_div_zero 0
		.amdhsa_exception_fp_ieee_overflow 0
		.amdhsa_exception_fp_ieee_underflow 0
		.amdhsa_exception_fp_ieee_inexact 0
		.amdhsa_exception_int_div_zero 0
	.end_amdhsa_kernel
	.section	.text._ZN9rocsparseL26csrgemm_fill_block_per_rowILj128ELj16ELj256ELj137ELj64Ell21rocsparse_complex_numIfEEEvT5_PKS3_S5_NS_24const_host_device_scalarIT6_EEPKT4_S5_PKS7_SB_S5_SD_S8_SB_S5_SD_SB_PS3_PS7_21rocsparse_index_base_SG_SG_SG_bbb,"axG",@progbits,_ZN9rocsparseL26csrgemm_fill_block_per_rowILj128ELj16ELj256ELj137ELj64Ell21rocsparse_complex_numIfEEEvT5_PKS3_S5_NS_24const_host_device_scalarIT6_EEPKT4_S5_PKS7_SB_S5_SD_S8_SB_S5_SD_SB_PS3_PS7_21rocsparse_index_base_SG_SG_SG_bbb,comdat
.Lfunc_end136:
	.size	_ZN9rocsparseL26csrgemm_fill_block_per_rowILj128ELj16ELj256ELj137ELj64Ell21rocsparse_complex_numIfEEEvT5_PKS3_S5_NS_24const_host_device_scalarIT6_EEPKT4_S5_PKS7_SB_S5_SD_S8_SB_S5_SD_SB_PS3_PS7_21rocsparse_index_base_SG_SG_SG_bbb, .Lfunc_end136-_ZN9rocsparseL26csrgemm_fill_block_per_rowILj128ELj16ELj256ELj137ELj64Ell21rocsparse_complex_numIfEEEvT5_PKS3_S5_NS_24const_host_device_scalarIT6_EEPKT4_S5_PKS7_SB_S5_SD_S8_SB_S5_SD_SB_PS3_PS7_21rocsparse_index_base_SG_SG_SG_bbb
                                        ; -- End function
	.section	.AMDGPU.csdata,"",@progbits
; Kernel info:
; codeLenInByte = 2544
; NumSgprs: 65
; NumVgprs: 26
; NumAgprs: 0
; TotalNumVgprs: 26
; ScratchSize: 0
; MemoryBound: 0
; FloatMode: 240
; IeeeMode: 1
; LDSByteSize: 0 bytes/workgroup (compile time only)
; SGPRBlocks: 8
; VGPRBlocks: 3
; NumSGPRsForWavesPerEU: 65
; NumVGPRsForWavesPerEU: 26
; AccumOffset: 28
; Occupancy: 8
; WaveLimiterHint : 1
; COMPUTE_PGM_RSRC2:SCRATCH_EN: 0
; COMPUTE_PGM_RSRC2:USER_SGPR: 6
; COMPUTE_PGM_RSRC2:TRAP_HANDLER: 0
; COMPUTE_PGM_RSRC2:TGID_X_EN: 1
; COMPUTE_PGM_RSRC2:TGID_Y_EN: 0
; COMPUTE_PGM_RSRC2:TGID_Z_EN: 0
; COMPUTE_PGM_RSRC2:TIDIG_COMP_CNT: 0
; COMPUTE_PGM_RSRC3_GFX90A:ACCUM_OFFSET: 6
; COMPUTE_PGM_RSRC3_GFX90A:TG_SPLIT: 0
	.section	.text._ZN9rocsparseL26csrgemm_fill_block_per_rowILj256ELj32ELj512ELj137ELj32Ell21rocsparse_complex_numIfEEEvT5_PKS3_S5_NS_24const_host_device_scalarIT6_EEPKT4_S5_PKS7_SB_S5_SD_S8_SB_S5_SD_SB_PS3_PS7_21rocsparse_index_base_SG_SG_SG_bbb,"axG",@progbits,_ZN9rocsparseL26csrgemm_fill_block_per_rowILj256ELj32ELj512ELj137ELj32Ell21rocsparse_complex_numIfEEEvT5_PKS3_S5_NS_24const_host_device_scalarIT6_EEPKT4_S5_PKS7_SB_S5_SD_S8_SB_S5_SD_SB_PS3_PS7_21rocsparse_index_base_SG_SG_SG_bbb,comdat
	.globl	_ZN9rocsparseL26csrgemm_fill_block_per_rowILj256ELj32ELj512ELj137ELj32Ell21rocsparse_complex_numIfEEEvT5_PKS3_S5_NS_24const_host_device_scalarIT6_EEPKT4_S5_PKS7_SB_S5_SD_S8_SB_S5_SD_SB_PS3_PS7_21rocsparse_index_base_SG_SG_SG_bbb ; -- Begin function _ZN9rocsparseL26csrgemm_fill_block_per_rowILj256ELj32ELj512ELj137ELj32Ell21rocsparse_complex_numIfEEEvT5_PKS3_S5_NS_24const_host_device_scalarIT6_EEPKT4_S5_PKS7_SB_S5_SD_S8_SB_S5_SD_SB_PS3_PS7_21rocsparse_index_base_SG_SG_SG_bbb
	.p2align	8
	.type	_ZN9rocsparseL26csrgemm_fill_block_per_rowILj256ELj32ELj512ELj137ELj32Ell21rocsparse_complex_numIfEEEvT5_PKS3_S5_NS_24const_host_device_scalarIT6_EEPKT4_S5_PKS7_SB_S5_SD_S8_SB_S5_SD_SB_PS3_PS7_21rocsparse_index_base_SG_SG_SG_bbb,@function
_ZN9rocsparseL26csrgemm_fill_block_per_rowILj256ELj32ELj512ELj137ELj32Ell21rocsparse_complex_numIfEEEvT5_PKS3_S5_NS_24const_host_device_scalarIT6_EEPKT4_S5_PKS7_SB_S5_SD_S8_SB_S5_SD_SB_PS3_PS7_21rocsparse_index_base_SG_SG_SG_bbb: ; @_ZN9rocsparseL26csrgemm_fill_block_per_rowILj256ELj32ELj512ELj137ELj32Ell21rocsparse_complex_numIfEEEvT5_PKS3_S5_NS_24const_host_device_scalarIT6_EEPKT4_S5_PKS7_SB_S5_SD_S8_SB_S5_SD_SB_PS3_PS7_21rocsparse_index_base_SG_SG_SG_bbb
; %bb.0:
	s_load_dwordx8 s[12:19], s[4:5], 0x60
	s_load_dwordx8 s[20:27], s[4:5], 0x40
	s_load_dword s7, s[4:5], 0x98
	s_load_dwordx4 s[8:11], s[4:5], 0x8
	s_load_dwordx8 s[36:43], s[4:5], 0x20
	s_load_dwordx2 s[34:35], s[4:5], 0x80
	s_load_dwordx4 s[28:31], s[4:5], 0x88
	s_waitcnt lgkmcnt(0)
	s_bitcmp1_b32 s7, 0
	s_cselect_b64 s[48:49], -1, 0
	s_bitcmp1_b32 s7, 16
	s_cselect_b64 s[0:1], -1, 0
	s_xor_b64 s[0:1], s[0:1], -1
	v_cndmask_b32_e64 v1, 0, 1, s[0:1]
	s_mov_b32 s3, 0
	s_bitcmp0_b32 s7, 0
	v_cmp_ne_u32_e64 s[0:1], 1, v1
	s_mov_b32 s59, 0
	s_cbranch_scc1 .LBB137_5
; %bb.1:
	s_load_dwordx2 s[2:3], s[4:5], 0x18
	s_and_b64 vcc, exec, s[0:1]
	s_waitcnt lgkmcnt(0)
	s_mov_b32 s59, s2
	s_cbranch_vccnz .LBB137_3
; %bb.2:
	s_load_dword s59, s[2:3], 0x0
.LBB137_3:
	s_and_b64 vcc, exec, s[0:1]
	s_cbranch_vccnz .LBB137_5
; %bb.4:
	s_load_dword s3, s[2:3], 0x4
.LBB137_5:
	s_bitcmp1_b32 s7, 8
	s_cselect_b64 s[46:47], -1, 0
	s_bfe_u32 s2, s7, 0x10008
	s_mov_b32 s58, 0
	s_cmp_eq_u32 s2, 0
	s_mov_b32 s33, 0
	s_cbranch_scc1 .LBB137_11
; %bb.6:
	s_and_b64 vcc, exec, s[0:1]
	s_mov_b32 s33, s24
	s_cbranch_vccnz .LBB137_8
; %bb.7:
	s_load_dword s33, s[24:25], 0x0
.LBB137_8:
	s_and_b64 vcc, exec, s[0:1]
	s_cbranch_vccnz .LBB137_10
; %bb.9:
	s_load_dword s25, s[24:25], 0x4
.LBB137_10:
	s_waitcnt lgkmcnt(0)
	s_mov_b32 s58, s25
.LBB137_11:
	s_load_dwordx2 s[24:25], s[4:5], 0x0
	s_movk_i32 s0, 0x200
	v_cmp_gt_u32_e64 s[0:1], s0, v0
	v_lshl_add_u32 v1, v0, 3, 0
	s_and_saveexec_b64 s[4:5], s[0:1]
	s_cbranch_execz .LBB137_14
; %bb.12:
	v_or_b32_e32 v4, 0xffffff00, v0
	v_lshl_add_u32 v5, v0, 3, 0
	s_mov_b64 s[44:45], 0
	s_waitcnt lgkmcnt(0)
	v_pk_mov_b32 v[2:3], s[24:25], s[24:25] op_sel:[0,1]
	v_mov_b32_e32 v6, 0
.LBB137_13:                             ; =>This Inner Loop Header: Depth=1
	v_add_co_u32_e32 v4, vcc, 0x100, v4
	s_xor_b64 s[50:51], vcc, -1
	s_and_b64 s[50:51], exec, s[50:51]
	ds_write_b64 v5, v[2:3]
	v_add_u32_e32 v7, 0x1000, v5
	v_add_u32_e32 v5, 0x800, v5
	s_or_b64 s[44:45], s[50:51], s[44:45]
	ds_write2_b32 v7, v6, v6 offset1:1
	s_andn2_b64 exec, exec, s[44:45]
	s_cbranch_execnz .LBB137_13
.LBB137_14:
	s_or_b64 exec, exec, s[4:5]
	s_waitcnt lgkmcnt(0)
	s_barrier
	s_load_dwordx2 s[4:5], s[8:9], 0x0
	s_mov_b32 s7, 0
	v_lshrrev_b32_e32 v11, 5, v0
	s_waitcnt lgkmcnt(0)
	s_lshl_b64 s[4:5], s[4:5], 3
	s_add_u32 s2, s10, s4
	s_addc_u32 s8, s11, s5
	s_lshl_b64 s[4:5], s[6:7], 3
	s_add_u32 s4, s2, s4
	s_addc_u32 s5, s8, s5
	s_load_dwordx2 s[44:45], s[4:5], 0x0
	s_and_b64 vcc, exec, s[48:49]
	s_cbranch_vccz .LBB137_34
; %bb.15:
	s_waitcnt lgkmcnt(0)
	s_lshl_b64 s[4:5], s[44:45], 3
	s_add_u32 s4, s36, s4
	s_addc_u32 s5, s37, s5
	s_load_dwordx4 s[8:11], s[4:5], 0x0
	v_subrev_co_u32_e32 v2, vcc, s28, v11
	s_waitcnt lgkmcnt(0)
	s_sub_u32 s4, s10, s28
	s_subb_u32 s5, s11, 0
	v_subb_co_u32_e64 v3, s[10:11], 0, 0, vcc
	v_mov_b32_e32 v4, s9
	v_add_co_u32_e32 v2, vcc, s8, v2
	v_addc_co_u32_e32 v3, vcc, v4, v3, vcc
	v_cmp_gt_i64_e32 vcc, s[4:5], v[2:3]
	s_and_saveexec_b64 s[8:9], vcc
	s_cbranch_execz .LBB137_33
; %bb.16:
	v_and_b32_e32 v4, 31, v0
	v_subrev_co_u32_e32 v14, vcc, s29, v4
	s_mov_b32 s6, 0
	v_subb_co_u32_e64 v15, s[10:11], 0, 0, vcc
	s_mov_b32 s2, s28
	s_mov_b32 s60, s29
	s_mov_b64 s[10:11], 0
	v_mov_b32_e32 v16, s39
	v_mov_b32_e32 v17, s7
	;; [unrolled: 1-line block ×4, first 2 shown]
	s_movk_i32 s39, 0x89
	s_branch .LBB137_18
.LBB137_17:                             ;   in Loop: Header=BB137_18 Depth=1
	s_or_b64 exec, exec, s[6:7]
	v_add_co_u32_e32 v2, vcc, 8, v2
	v_addc_co_u32_e32 v3, vcc, 0, v3, vcc
	v_cmp_le_i64_e32 vcc, s[4:5], v[2:3]
	s_or_b64 s[10:11], vcc, s[10:11]
	s_andn2_b64 exec, exec, s[10:11]
	s_cbranch_execz .LBB137_33
.LBB137_18:                             ; =>This Loop Header: Depth=1
                                        ;     Child Loop BB137_21 Depth 2
                                        ;       Child Loop BB137_23 Depth 3
	v_lshlrev_b64 v[8:9], 3, v[2:3]
	v_add_co_u32_e32 v4, vcc, s38, v8
	v_addc_co_u32_e32 v5, vcc, v16, v9, vcc
	global_load_dwordx2 v[4:5], v[4:5], off
	s_waitcnt vmcnt(0)
	v_subrev_co_u32_e32 v4, vcc, s2, v4
	v_subb_co_u32_e32 v5, vcc, v5, v17, vcc
	v_lshlrev_b64 v[4:5], 3, v[4:5]
	v_add_co_u32_e32 v4, vcc, s42, v4
	v_addc_co_u32_e32 v5, vcc, v18, v5, vcc
	global_load_dwordx4 v[20:23], v[4:5], off
	s_waitcnt vmcnt(0)
	v_subrev_co_u32_e32 v4, vcc, s60, v22
	v_subb_co_u32_e32 v5, vcc, v23, v19, vcc
	v_add_co_u32_e32 v6, vcc, v20, v14
	v_addc_co_u32_e32 v7, vcc, v21, v15, vcc
	v_cmp_lt_i64_e32 vcc, v[6:7], v[4:5]
	s_and_saveexec_b64 s[6:7], vcc
	s_cbranch_execz .LBB137_17
; %bb.19:                               ;   in Loop: Header=BB137_18 Depth=1
	v_mov_b32_e32 v10, s41
	v_add_co_u32_e32 v8, vcc, s40, v8
	v_addc_co_u32_e32 v9, vcc, v10, v9, vcc
	global_load_dwordx2 v[8:9], v[8:9], off
	s_mov_b64 s[28:29], 0
	s_waitcnt vmcnt(0)
	v_mul_f32_e64 v20, v9, -s3
	v_mul_f32_e32 v21, s59, v9
	v_fmac_f32_e32 v20, s59, v8
	v_fmac_f32_e32 v21, s3, v8
	s_branch .LBB137_21
.LBB137_20:                             ;   in Loop: Header=BB137_21 Depth=2
	s_or_b64 exec, exec, s[36:37]
	v_add_co_u32_e32 v6, vcc, 32, v6
	v_addc_co_u32_e32 v7, vcc, 0, v7, vcc
	v_cmp_ge_i64_e32 vcc, v[6:7], v[4:5]
	s_or_b64 s[28:29], vcc, s[28:29]
	s_andn2_b64 exec, exec, s[28:29]
	s_cbranch_execz .LBB137_17
.LBB137_21:                             ;   Parent Loop BB137_18 Depth=1
                                        ; =>  This Loop Header: Depth=2
                                        ;       Child Loop BB137_23 Depth 3
	v_lshlrev_b64 v[8:9], 3, v[6:7]
	v_mov_b32_e32 v10, s21
	v_add_co_u32_e32 v12, vcc, s20, v8
	v_addc_co_u32_e32 v13, vcc, v10, v9, vcc
	v_mov_b32_e32 v10, s23
	v_add_co_u32_e32 v8, vcc, s22, v8
	global_load_dwordx2 v[12:13], v[12:13], off
	v_addc_co_u32_e32 v9, vcc, v10, v9, vcc
	global_load_dwordx2 v[24:25], v[8:9], off
	s_mov_b64 s[36:37], 0
	s_waitcnt vmcnt(1)
	v_subrev_co_u32_e32 v8, vcc, s60, v12
	v_mul_lo_u32 v10, v8, s39
	s_waitcnt vmcnt(0)
	v_mul_f32_e64 v22, v25, -v21
	v_mul_f32_e32 v23, v20, v25
	v_subb_co_u32_e32 v9, vcc, v13, v19, vcc
	v_fmac_f32_e32 v22, v20, v24
	v_fmac_f32_e32 v23, v21, v24
	v_and_b32_e32 v10, 0x1ff, v10
	s_branch .LBB137_23
.LBB137_22:                             ;   in Loop: Header=BB137_23 Depth=3
	s_or_b64 exec, exec, s[48:49]
	s_xor_b64 s[48:49], s[50:51], -1
	s_and_b64 s[48:49], exec, s[48:49]
	s_or_b64 s[36:37], s[48:49], s[36:37]
	s_andn2_b64 exec, exec, s[36:37]
	s_cbranch_execz .LBB137_20
.LBB137_23:                             ;   Parent Loop BB137_18 Depth=1
                                        ;     Parent Loop BB137_21 Depth=2
                                        ; =>    This Inner Loop Header: Depth=3
	v_lshl_add_u32 v24, v10, 3, 0
	ds_read_b64 v[12:13], v24
                                        ; implicit-def: $sgpr50_sgpr51
	s_waitcnt lgkmcnt(0)
	v_cmp_ne_u64_e32 vcc, v[12:13], v[8:9]
	s_and_saveexec_b64 s[48:49], vcc
	s_xor_b64 s[48:49], exec, s[48:49]
	s_cbranch_execz .LBB137_31
; %bb.24:                               ;   in Loop: Header=BB137_23 Depth=3
	v_cmp_ne_u64_e32 vcc, s[24:25], v[12:13]
                                        ; implicit-def: $sgpr50_sgpr51
	s_and_saveexec_b64 s[52:53], vcc
	s_xor_b64 s[52:53], exec, s[52:53]
; %bb.25:                               ;   in Loop: Header=BB137_23 Depth=3
	v_add_u32_e32 v10, 1, v10
	v_and_b32_e32 v10, 0x1ff, v10
	s_mov_b64 s[50:51], -1
                                        ; implicit-def: $vgpr24
; %bb.26:                               ;   in Loop: Header=BB137_23 Depth=3
	s_andn2_saveexec_b64 s[52:53], s[52:53]
	s_cbranch_execz .LBB137_30
; %bb.27:                               ;   in Loop: Header=BB137_23 Depth=3
	v_pk_mov_b32 v[12:13], s[24:25], s[24:25] op_sel:[0,1]
	ds_cmpst_rtn_b64 v[12:13], v24, v[12:13], v[8:9]
	s_mov_b64 s[54:55], -1
	s_waitcnt lgkmcnt(0)
	v_cmp_eq_u64_e32 vcc, s[24:25], v[12:13]
	s_and_saveexec_b64 s[56:57], vcc
	s_cbranch_execz .LBB137_29
; %bb.28:                               ;   in Loop: Header=BB137_23 Depth=3
	ds_add_f32 v24, v22 offset:4096
	ds_add_f32 v24, v23 offset:4100
	s_xor_b64 s[54:55], exec, -1
.LBB137_29:                             ;   in Loop: Header=BB137_23 Depth=3
	s_or_b64 exec, exec, s[56:57]
	s_andn2_b64 s[50:51], s[50:51], exec
	s_and_b64 s[54:55], s[54:55], exec
	s_or_b64 s[50:51], s[50:51], s[54:55]
.LBB137_30:                             ;   in Loop: Header=BB137_23 Depth=3
	s_or_b64 exec, exec, s[52:53]
	s_and_b64 s[50:51], s[50:51], exec
                                        ; implicit-def: $vgpr24
.LBB137_31:                             ;   in Loop: Header=BB137_23 Depth=3
	s_andn2_saveexec_b64 s[48:49], s[48:49]
	s_cbranch_execz .LBB137_22
; %bb.32:                               ;   in Loop: Header=BB137_23 Depth=3
	ds_add_f32 v24, v22 offset:4096
	ds_add_f32 v24, v23 offset:4100
	s_andn2_b64 s[50:51], s[50:51], exec
	s_branch .LBB137_22
.LBB137_33:
	s_or_b64 exec, exec, s[8:9]
.LBB137_34:
	s_andn2_b64 vcc, exec, s[46:47]
	s_cbranch_vccnz .LBB137_51
; %bb.35:
	s_waitcnt lgkmcnt(0)
	s_lshl_b64 s[2:3], s[44:45], 3
	s_add_u32 s2, s26, s2
	s_addc_u32 s3, s27, s3
	s_load_dwordx4 s[4:7], s[2:3], 0x0
	v_subrev_co_u32_e32 v2, vcc, s31, v0
	s_mov_b32 s8, 0
	s_waitcnt lgkmcnt(0)
	s_sub_u32 s2, s6, s31
	s_subb_u32 s3, s7, 0
	v_subb_co_u32_e64 v3, s[6:7], 0, 0, vcc
	v_mov_b32_e32 v4, s5
	v_add_co_u32_e32 v2, vcc, s4, v2
	v_addc_co_u32_e32 v3, vcc, v4, v3, vcc
	v_cmp_gt_i64_e32 vcc, s[2:3], v[2:3]
	s_and_saveexec_b64 s[4:5], vcc
	s_cbranch_execz .LBB137_50
; %bb.36:
	s_mov_b32 s36, s31
	s_mov_b64 s[6:7], 0
	v_mov_b32_e32 v7, s13
	v_mov_b32_e32 v10, s8
	;; [unrolled: 1-line block ×3, first 2 shown]
	s_movk_i32 s13, 0x89
	s_branch .LBB137_38
.LBB137_37:                             ;   in Loop: Header=BB137_38 Depth=1
	s_or_b64 exec, exec, s[8:9]
	v_add_co_u32_e32 v2, vcc, 0x100, v2
	v_addc_co_u32_e32 v3, vcc, 0, v3, vcc
	v_cmp_le_i64_e32 vcc, s[2:3], v[2:3]
	s_or_b64 s[6:7], vcc, s[6:7]
	s_andn2_b64 exec, exec, s[6:7]
	s_cbranch_execz .LBB137_50
.LBB137_38:                             ; =>This Loop Header: Depth=1
                                        ;     Child Loop BB137_40 Depth 2
	v_lshlrev_b64 v[4:5], 3, v[2:3]
	v_add_co_u32_e32 v8, vcc, s12, v4
	v_addc_co_u32_e32 v9, vcc, v7, v5, vcc
	v_add_co_u32_e32 v4, vcc, s14, v4
	global_load_dwordx2 v[8:9], v[8:9], off
	v_addc_co_u32_e32 v5, vcc, v12, v5, vcc
	global_load_dwordx2 v[16:17], v[4:5], off
	s_mov_b64 s[8:9], 0
	s_waitcnt vmcnt(1)
	v_subrev_co_u32_e32 v4, vcc, s36, v8
	v_mul_lo_u32 v6, v4, s13
	s_waitcnt vmcnt(0)
	v_mul_f32_e64 v13, v17, -s58
	v_mul_f32_e32 v14, s33, v17
	v_subb_co_u32_e32 v5, vcc, v9, v10, vcc
	v_fmac_f32_e32 v13, s33, v16
	v_fmac_f32_e32 v14, s58, v16
	v_and_b32_e32 v6, 0x1ff, v6
	s_branch .LBB137_40
.LBB137_39:                             ;   in Loop: Header=BB137_40 Depth=2
	s_or_b64 exec, exec, s[10:11]
	s_xor_b64 s[10:11], s[20:21], -1
	s_and_b64 s[10:11], exec, s[10:11]
	s_or_b64 s[8:9], s[10:11], s[8:9]
	s_andn2_b64 exec, exec, s[8:9]
	s_cbranch_execz .LBB137_37
.LBB137_40:                             ;   Parent Loop BB137_38 Depth=1
                                        ; =>  This Inner Loop Header: Depth=2
	v_lshl_add_u32 v15, v6, 3, 0
	ds_read_b64 v[8:9], v15
                                        ; implicit-def: $sgpr20_sgpr21
	s_waitcnt lgkmcnt(0)
	v_cmp_ne_u64_e32 vcc, v[8:9], v[4:5]
	s_and_saveexec_b64 s[10:11], vcc
	s_xor_b64 s[10:11], exec, s[10:11]
	s_cbranch_execz .LBB137_48
; %bb.41:                               ;   in Loop: Header=BB137_40 Depth=2
	v_cmp_ne_u64_e32 vcc, s[24:25], v[8:9]
                                        ; implicit-def: $sgpr20_sgpr21
	s_and_saveexec_b64 s[22:23], vcc
	s_xor_b64 s[22:23], exec, s[22:23]
; %bb.42:                               ;   in Loop: Header=BB137_40 Depth=2
	v_add_u32_e32 v6, 1, v6
	v_and_b32_e32 v6, 0x1ff, v6
	s_mov_b64 s[20:21], -1
                                        ; implicit-def: $vgpr15
; %bb.43:                               ;   in Loop: Header=BB137_40 Depth=2
	s_andn2_saveexec_b64 s[22:23], s[22:23]
	s_cbranch_execz .LBB137_47
; %bb.44:                               ;   in Loop: Header=BB137_40 Depth=2
	v_pk_mov_b32 v[8:9], s[24:25], s[24:25] op_sel:[0,1]
	ds_cmpst_rtn_b64 v[8:9], v15, v[8:9], v[4:5]
	s_mov_b64 s[26:27], -1
	s_waitcnt lgkmcnt(0)
	v_cmp_eq_u64_e32 vcc, s[24:25], v[8:9]
	s_and_saveexec_b64 s[28:29], vcc
	s_cbranch_execz .LBB137_46
; %bb.45:                               ;   in Loop: Header=BB137_40 Depth=2
	ds_add_f32 v15, v13 offset:4096
	ds_add_f32 v15, v14 offset:4100
	s_xor_b64 s[26:27], exec, -1
.LBB137_46:                             ;   in Loop: Header=BB137_40 Depth=2
	s_or_b64 exec, exec, s[28:29]
	s_andn2_b64 s[20:21], s[20:21], exec
	s_and_b64 s[26:27], s[26:27], exec
	s_or_b64 s[20:21], s[20:21], s[26:27]
.LBB137_47:                             ;   in Loop: Header=BB137_40 Depth=2
	s_or_b64 exec, exec, s[22:23]
	s_and_b64 s[20:21], s[20:21], exec
                                        ; implicit-def: $vgpr15
.LBB137_48:                             ;   in Loop: Header=BB137_40 Depth=2
	s_andn2_saveexec_b64 s[10:11], s[10:11]
	s_cbranch_execz .LBB137_39
; %bb.49:                               ;   in Loop: Header=BB137_40 Depth=2
	ds_add_f32 v15, v13 offset:4096
	ds_add_f32 v15, v14 offset:4100
	s_andn2_b64 s[20:21], s[20:21], exec
	s_branch .LBB137_39
.LBB137_50:
	s_or_b64 exec, exec, s[4:5]
.LBB137_51:
	s_waitcnt lgkmcnt(0)
	s_barrier
	s_and_saveexec_b64 s[20:21], s[0:1]
	s_cbranch_execz .LBB137_72
; %bb.52:
	v_mbcnt_lo_u32_b32 v2, -1, 0
	v_mbcnt_hi_u32_b32 v2, -1, v2
	v_sub_u32_e32 v2, 63, v2
	s_movk_i32 s0, 0xff
	s_movk_i32 s6, 0x5f
	;; [unrolled: 1-line block ×6, first 2 shown]
	v_mov_b32_e32 v3, 0
	v_lshrrev_b64 v[4:5], v2, -1
	v_lshl_add_u32 v14, v11, 3, 0
	v_cmp_eq_u32_e64 s[0:1], s0, v0
	v_cmp_lt_u32_e64 s[2:3], 31, v0
	v_cmp_lt_u32_e64 s[4:5], 63, v0
	;; [unrolled: 1-line block ×7, first 2 shown]
	v_or_b32_e32 v15, 0xffffff00, v0
	s_mov_b64 s[22:23], 0
	v_pk_mov_b32 v[6:7], 0, 0
	s_branch .LBB137_54
.LBB137_53:                             ;   in Loop: Header=BB137_54 Depth=1
	s_or_b64 exec, exec, s[26:27]
	s_waitcnt lgkmcnt(0)
	s_barrier
	ds_read_b64 v[8:9], v3 offset:8248
	v_add_u32_e32 v1, 0x800, v1
	s_waitcnt lgkmcnt(0)
	v_add_co_u32_e32 v6, vcc, v8, v6
	v_addc_co_u32_e32 v7, vcc, v9, v7, vcc
	v_add_co_u32_e32 v15, vcc, 0x100, v15
	s_xor_b64 s[26:27], vcc, -1
	s_and_b64 s[26:27], exec, s[26:27]
	s_or_b64 s[22:23], s[26:27], s[22:23]
	s_andn2_b64 exec, exec, s[22:23]
	s_cbranch_execz .LBB137_72
.LBB137_54:                             ; =>This Inner Loop Header: Depth=1
	ds_read_b64 v[8:9], v1
	v_add_u32_e32 v2, 0x1000, v1
	ds_read2_b32 v[10:11], v2 offset1:1
	s_waitcnt lgkmcnt(0)
	s_barrier
	v_cmp_gt_i64_e32 vcc, s[24:25], v[8:9]
	v_and_b32_e32 v13, vcc_lo, v4
	s_bcnt1_i32_b64 s26, vcc
	v_and_b32_e32 v12, vcc_hi, v5
	v_bcnt_u32_b32 v13, v13, 0
	v_mov_b32_e32 v2, s26
	v_bcnt_u32_b32 v12, v12, v13
	ds_write_b64 v14, v[2:3] offset:8192
	s_waitcnt lgkmcnt(0)
	s_barrier
	s_and_saveexec_b64 s[26:27], s[2:3]
	s_cbranch_execnz .LBB137_63
; %bb.55:                               ;   in Loop: Header=BB137_54 Depth=1
	s_or_b64 exec, exec, s[26:27]
	s_and_saveexec_b64 s[26:27], s[4:5]
	s_cbranch_execnz .LBB137_64
.LBB137_56:                             ;   in Loop: Header=BB137_54 Depth=1
	s_or_b64 exec, exec, s[26:27]
	s_and_saveexec_b64 s[26:27], s[6:7]
	s_cbranch_execnz .LBB137_65
.LBB137_57:                             ;   in Loop: Header=BB137_54 Depth=1
	s_or_b64 exec, exec, s[26:27]
	s_and_saveexec_b64 s[26:27], s[8:9]
	s_cbranch_execnz .LBB137_66
.LBB137_58:                             ;   in Loop: Header=BB137_54 Depth=1
	s_or_b64 exec, exec, s[26:27]
	s_and_saveexec_b64 s[26:27], s[10:11]
	s_cbranch_execnz .LBB137_67
.LBB137_59:                             ;   in Loop: Header=BB137_54 Depth=1
	s_or_b64 exec, exec, s[26:27]
	s_and_saveexec_b64 s[26:27], s[12:13]
	s_cbranch_execnz .LBB137_68
.LBB137_60:                             ;   in Loop: Header=BB137_54 Depth=1
	s_or_b64 exec, exec, s[26:27]
	s_and_saveexec_b64 s[26:27], s[14:15]
	s_cbranch_execnz .LBB137_69
.LBB137_61:                             ;   in Loop: Header=BB137_54 Depth=1
	s_or_b64 exec, exec, s[26:27]
	v_ashrrev_i32_e32 v13, 31, v12
	s_and_saveexec_b64 s[26:27], vcc
	s_cbranch_execnz .LBB137_70
.LBB137_62:                             ;   in Loop: Header=BB137_54 Depth=1
	s_or_b64 exec, exec, s[26:27]
	s_and_saveexec_b64 s[26:27], s[0:1]
	s_cbranch_execz .LBB137_53
	s_branch .LBB137_71
.LBB137_63:                             ;   in Loop: Header=BB137_54 Depth=1
	ds_read_b32 v2, v3 offset:8192
	s_waitcnt lgkmcnt(0)
	v_add_u32_e32 v12, v2, v12
	s_or_b64 exec, exec, s[26:27]
	s_and_saveexec_b64 s[26:27], s[4:5]
	s_cbranch_execz .LBB137_56
.LBB137_64:                             ;   in Loop: Header=BB137_54 Depth=1
	ds_read_b32 v2, v3 offset:8200
	s_waitcnt lgkmcnt(0)
	v_add_u32_e32 v12, v12, v2
	s_or_b64 exec, exec, s[26:27]
	s_and_saveexec_b64 s[26:27], s[6:7]
	s_cbranch_execz .LBB137_57
.LBB137_65:                             ;   in Loop: Header=BB137_54 Depth=1
	ds_read_b32 v2, v3 offset:8208
	s_waitcnt lgkmcnt(0)
	v_add_u32_e32 v12, v12, v2
	s_or_b64 exec, exec, s[26:27]
	s_and_saveexec_b64 s[26:27], s[8:9]
	s_cbranch_execz .LBB137_58
.LBB137_66:                             ;   in Loop: Header=BB137_54 Depth=1
	ds_read_b32 v2, v3 offset:8216
	s_waitcnt lgkmcnt(0)
	v_add_u32_e32 v12, v12, v2
	s_or_b64 exec, exec, s[26:27]
	s_and_saveexec_b64 s[26:27], s[10:11]
	s_cbranch_execz .LBB137_59
.LBB137_67:                             ;   in Loop: Header=BB137_54 Depth=1
	ds_read_b32 v2, v3 offset:8224
	s_waitcnt lgkmcnt(0)
	v_add_u32_e32 v12, v12, v2
	s_or_b64 exec, exec, s[26:27]
	s_and_saveexec_b64 s[26:27], s[12:13]
	s_cbranch_execz .LBB137_60
.LBB137_68:                             ;   in Loop: Header=BB137_54 Depth=1
	ds_read_b32 v2, v3 offset:8232
	s_waitcnt lgkmcnt(0)
	v_add_u32_e32 v12, v12, v2
	s_or_b64 exec, exec, s[26:27]
	s_and_saveexec_b64 s[26:27], s[14:15]
	s_cbranch_execz .LBB137_61
.LBB137_69:                             ;   in Loop: Header=BB137_54 Depth=1
	ds_read_b32 v2, v3 offset:8240
	s_waitcnt lgkmcnt(0)
	v_add_u32_e32 v12, v12, v2
	s_or_b64 exec, exec, s[26:27]
	v_ashrrev_i32_e32 v13, 31, v12
	s_and_saveexec_b64 s[26:27], vcc
	s_cbranch_execz .LBB137_62
.LBB137_70:                             ;   in Loop: Header=BB137_54 Depth=1
	v_add3_u32 v2, v6, -1, v12
	v_lshl_add_u32 v2, v2, 3, 0
	v_add_u32_e32 v16, 0x1000, v2
	ds_write_b64 v2, v[8:9]
	ds_write2_b32 v16, v10, v11 offset1:1
	s_or_b64 exec, exec, s[26:27]
	s_and_saveexec_b64 s[26:27], s[0:1]
	s_cbranch_execz .LBB137_53
.LBB137_71:                             ;   in Loop: Header=BB137_54 Depth=1
	ds_write_b64 v3, v[12:13] offset:8248
	s_branch .LBB137_53
.LBB137_72:
	s_or_b64 exec, exec, s[20:21]
	s_lshl_b64 s[0:1], s[44:45], 3
	s_add_u32 s0, s16, s0
	s_addc_u32 s1, s17, s1
	s_load_dwordx4 s[0:3], s[0:1], 0x0
	v_mov_b32_e32 v1, 0
	s_waitcnt lgkmcnt(0)
	s_sub_u32 s4, s2, s0
	s_subb_u32 s5, s3, s1
	v_cmp_gt_i64_e32 vcc, s[4:5], v[0:1]
	s_and_saveexec_b64 s[6:7], vcc
	s_cbranch_execz .LBB137_82
; %bb.73:
	s_sub_u32 s6, s0, s30
	s_subb_u32 s7, s1, 0
	s_and_b32 s8, s4, 7
	s_sub_u32 s0, s0, s2
	s_mov_b32 s16, 0
	s_subb_u32 s1, s1, s3
	s_mov_b32 s9, s16
	s_and_b32 s2, s4, -8
	v_cmp_lt_u64_e64 s[0:1], s[0:1], -7
	s_cmp_lg_u64 s[8:9], 0
	v_cndmask_b32_e64 v2, 0, 1, s[0:1]
	s_mov_b32 s3, s5
	s_mov_b64 s[10:11], 0
	s_cselect_b64 s[12:13], -1, 0
	v_cmp_ne_u32_e64 s[0:1], 1, v2
	s_branch .LBB137_75
.LBB137_74:                             ;   in Loop: Header=BB137_75 Depth=1
	v_mov_b32_e32 v8, s16
	s_waitcnt lgkmcnt(1)
	v_add_co_u32_e32 v4, vcc, s30, v4
	v_addc_co_u32_e32 v5, vcc, v5, v8, vcc
	v_lshlrev_b64 v[6:7], 3, v[6:7]
	v_mov_b32_e32 v9, s19
	v_add_co_u32_e32 v8, vcc, s18, v6
	v_addc_co_u32_e32 v9, vcc, v9, v7, vcc
	global_store_dwordx2 v[8:9], v[4:5], off
	v_mov_b32_e32 v5, s35
	v_add_co_u32_e32 v4, vcc, s34, v6
	v_addc_co_u32_e32 v5, vcc, v5, v7, vcc
	v_add_co_u32_e32 v0, vcc, 0x100, v0
	v_addc_co_u32_e32 v1, vcc, 0, v1, vcc
	v_cmp_le_i64_e32 vcc, s[4:5], v[0:1]
	s_or_b64 s[10:11], vcc, s[10:11]
	s_waitcnt lgkmcnt(0)
	global_store_dwordx2 v[4:5], v[2:3], off
	s_andn2_b64 exec, exec, s[10:11]
	s_cbranch_execz .LBB137_82
.LBB137_75:                             ; =>This Loop Header: Depth=1
                                        ;     Child Loop BB137_77 Depth 2
                                        ;     Child Loop BB137_81 Depth 2
	v_lshl_add_u32 v2, v0, 3, 0
	v_add_u32_e32 v3, 0x1000, v2
	ds_read_b64 v[4:5], v2
	ds_read2_b32 v[2:3], v3 offset1:1
	s_and_b64 vcc, exec, s[0:1]
	v_pk_mov_b32 v[6:7], s[6:7], s[6:7] op_sel:[0,1]
	s_mov_b64 s[14:15], 0
	s_cbranch_vccnz .LBB137_79
; %bb.76:                               ;   in Loop: Header=BB137_75 Depth=1
	s_mov_b32 s17, 0
	v_pk_mov_b32 v[6:7], s[6:7], s[6:7] op_sel:[0,1]
.LBB137_77:                             ;   Parent Loop BB137_75 Depth=1
                                        ; =>  This Inner Loop Header: Depth=2
	v_mov_b32_e32 v20, s17
	ds_read2_b64 v[8:11], v20 offset1:1
	ds_read2_b64 v[12:15], v20 offset0:2 offset1:3
	ds_read2_b64 v[16:19], v20 offset0:4 offset1:5
	;; [unrolled: 1-line block ×3, first 2 shown]
	s_add_u32 s14, s14, 8
	s_waitcnt lgkmcnt(3)
	v_cmp_gt_i64_e32 vcc, v[4:5], v[8:9]
	v_cndmask_b32_e64 v8, 0, 1, vcc
	v_cmp_gt_i64_e32 vcc, v[4:5], v[10:11]
	v_cndmask_b32_e64 v9, 0, 1, vcc
	s_waitcnt lgkmcnt(2)
	v_cmp_gt_i64_e32 vcc, v[4:5], v[12:13]
	v_cndmask_b32_e64 v10, 0, 1, vcc
	v_cmp_gt_i64_e32 vcc, v[4:5], v[14:15]
	v_cndmask_b32_e64 v11, 0, 1, vcc
	s_waitcnt lgkmcnt(1)
	v_cmp_gt_i64_e32 vcc, v[4:5], v[16:17]
	v_cndmask_b32_e64 v12, 0, 1, vcc
	v_cmp_gt_i64_e32 vcc, v[4:5], v[18:19]
	v_cndmask_b32_e64 v13, 0, 1, vcc
	s_waitcnt lgkmcnt(0)
	v_cmp_gt_i64_e32 vcc, v[4:5], v[20:21]
	v_cndmask_b32_e64 v14, 0, 1, vcc
	v_cmp_gt_i64_e32 vcc, v[4:5], v[22:23]
	v_cndmask_b32_e64 v15, 0, 1, vcc
	v_add_co_u32_e32 v6, vcc, v6, v8
	v_addc_co_u32_e32 v7, vcc, 0, v7, vcc
	v_add_co_u32_e32 v6, vcc, v6, v9
	v_addc_co_u32_e32 v7, vcc, 0, v7, vcc
	;; [unrolled: 2-line block ×7, first 2 shown]
	s_addc_u32 s15, s15, 0
	s_add_i32 s17, s17, 64
	v_add_co_u32_e32 v6, vcc, v6, v15
	s_cmp_eq_u64 s[2:3], s[14:15]
	v_addc_co_u32_e32 v7, vcc, 0, v7, vcc
	s_cbranch_scc0 .LBB137_77
; %bb.78:                               ;   in Loop: Header=BB137_75 Depth=1
	s_mov_b64 s[14:15], s[2:3]
.LBB137_79:                             ;   in Loop: Header=BB137_75 Depth=1
	s_andn2_b64 vcc, exec, s[12:13]
	s_cbranch_vccnz .LBB137_74
; %bb.80:                               ;   in Loop: Header=BB137_75 Depth=1
	s_lshl_b32 s14, s14, 3
	s_add_i32 s17, s14, 0
	s_mov_b64 s[14:15], s[8:9]
.LBB137_81:                             ;   Parent Loop BB137_75 Depth=1
                                        ; =>  This Inner Loop Header: Depth=2
	v_mov_b32_e32 v8, s17
	ds_read_b64 v[8:9], v8
	s_add_i32 s17, s17, 8
	s_add_u32 s14, s14, -1
	s_addc_u32 s15, s15, -1
	s_cmp_lg_u64 s[14:15], 0
	s_waitcnt lgkmcnt(0)
	v_cmp_gt_i64_e32 vcc, v[4:5], v[8:9]
	v_cndmask_b32_e64 v8, 0, 1, vcc
	v_add_co_u32_e32 v6, vcc, v6, v8
	v_addc_co_u32_e32 v7, vcc, 0, v7, vcc
	s_cbranch_scc1 .LBB137_81
	s_branch .LBB137_74
.LBB137_82:
	s_endpgm
	.section	.rodata,"a",@progbits
	.p2align	6, 0x0
	.amdhsa_kernel _ZN9rocsparseL26csrgemm_fill_block_per_rowILj256ELj32ELj512ELj137ELj32Ell21rocsparse_complex_numIfEEEvT5_PKS3_S5_NS_24const_host_device_scalarIT6_EEPKT4_S5_PKS7_SB_S5_SD_S8_SB_S5_SD_SB_PS3_PS7_21rocsparse_index_base_SG_SG_SG_bbb
		.amdhsa_group_segment_fixed_size 0
		.amdhsa_private_segment_fixed_size 0
		.amdhsa_kernarg_size 156
		.amdhsa_user_sgpr_count 6
		.amdhsa_user_sgpr_private_segment_buffer 1
		.amdhsa_user_sgpr_dispatch_ptr 0
		.amdhsa_user_sgpr_queue_ptr 0
		.amdhsa_user_sgpr_kernarg_segment_ptr 1
		.amdhsa_user_sgpr_dispatch_id 0
		.amdhsa_user_sgpr_flat_scratch_init 0
		.amdhsa_user_sgpr_kernarg_preload_length 0
		.amdhsa_user_sgpr_kernarg_preload_offset 0
		.amdhsa_user_sgpr_private_segment_size 0
		.amdhsa_uses_dynamic_stack 0
		.amdhsa_system_sgpr_private_segment_wavefront_offset 0
		.amdhsa_system_sgpr_workgroup_id_x 1
		.amdhsa_system_sgpr_workgroup_id_y 0
		.amdhsa_system_sgpr_workgroup_id_z 0
		.amdhsa_system_sgpr_workgroup_info 0
		.amdhsa_system_vgpr_workitem_id 0
		.amdhsa_next_free_vgpr 26
		.amdhsa_next_free_sgpr 61
		.amdhsa_accum_offset 28
		.amdhsa_reserve_vcc 1
		.amdhsa_reserve_flat_scratch 0
		.amdhsa_float_round_mode_32 0
		.amdhsa_float_round_mode_16_64 0
		.amdhsa_float_denorm_mode_32 3
		.amdhsa_float_denorm_mode_16_64 3
		.amdhsa_dx10_clamp 1
		.amdhsa_ieee_mode 1
		.amdhsa_fp16_overflow 0
		.amdhsa_tg_split 0
		.amdhsa_exception_fp_ieee_invalid_op 0
		.amdhsa_exception_fp_denorm_src 0
		.amdhsa_exception_fp_ieee_div_zero 0
		.amdhsa_exception_fp_ieee_overflow 0
		.amdhsa_exception_fp_ieee_underflow 0
		.amdhsa_exception_fp_ieee_inexact 0
		.amdhsa_exception_int_div_zero 0
	.end_amdhsa_kernel
	.section	.text._ZN9rocsparseL26csrgemm_fill_block_per_rowILj256ELj32ELj512ELj137ELj32Ell21rocsparse_complex_numIfEEEvT5_PKS3_S5_NS_24const_host_device_scalarIT6_EEPKT4_S5_PKS7_SB_S5_SD_S8_SB_S5_SD_SB_PS3_PS7_21rocsparse_index_base_SG_SG_SG_bbb,"axG",@progbits,_ZN9rocsparseL26csrgemm_fill_block_per_rowILj256ELj32ELj512ELj137ELj32Ell21rocsparse_complex_numIfEEEvT5_PKS3_S5_NS_24const_host_device_scalarIT6_EEPKT4_S5_PKS7_SB_S5_SD_S8_SB_S5_SD_SB_PS3_PS7_21rocsparse_index_base_SG_SG_SG_bbb,comdat
.Lfunc_end137:
	.size	_ZN9rocsparseL26csrgemm_fill_block_per_rowILj256ELj32ELj512ELj137ELj32Ell21rocsparse_complex_numIfEEEvT5_PKS3_S5_NS_24const_host_device_scalarIT6_EEPKT4_S5_PKS7_SB_S5_SD_S8_SB_S5_SD_SB_PS3_PS7_21rocsparse_index_base_SG_SG_SG_bbb, .Lfunc_end137-_ZN9rocsparseL26csrgemm_fill_block_per_rowILj256ELj32ELj512ELj137ELj32Ell21rocsparse_complex_numIfEEEvT5_PKS3_S5_NS_24const_host_device_scalarIT6_EEPKT4_S5_PKS7_SB_S5_SD_S8_SB_S5_SD_SB_PS3_PS7_21rocsparse_index_base_SG_SG_SG_bbb
                                        ; -- End function
	.section	.AMDGPU.csdata,"",@progbits
; Kernel info:
; codeLenInByte = 2848
; NumSgprs: 65
; NumVgprs: 26
; NumAgprs: 0
; TotalNumVgprs: 26
; ScratchSize: 0
; MemoryBound: 0
; FloatMode: 240
; IeeeMode: 1
; LDSByteSize: 0 bytes/workgroup (compile time only)
; SGPRBlocks: 8
; VGPRBlocks: 3
; NumSGPRsForWavesPerEU: 65
; NumVGPRsForWavesPerEU: 26
; AccumOffset: 28
; Occupancy: 8
; WaveLimiterHint : 1
; COMPUTE_PGM_RSRC2:SCRATCH_EN: 0
; COMPUTE_PGM_RSRC2:USER_SGPR: 6
; COMPUTE_PGM_RSRC2:TRAP_HANDLER: 0
; COMPUTE_PGM_RSRC2:TGID_X_EN: 1
; COMPUTE_PGM_RSRC2:TGID_Y_EN: 0
; COMPUTE_PGM_RSRC2:TGID_Z_EN: 0
; COMPUTE_PGM_RSRC2:TIDIG_COMP_CNT: 0
; COMPUTE_PGM_RSRC3_GFX90A:ACCUM_OFFSET: 6
; COMPUTE_PGM_RSRC3_GFX90A:TG_SPLIT: 0
	.section	.text._ZN9rocsparseL26csrgemm_fill_block_per_rowILj256ELj32ELj512ELj137ELj64Ell21rocsparse_complex_numIfEEEvT5_PKS3_S5_NS_24const_host_device_scalarIT6_EEPKT4_S5_PKS7_SB_S5_SD_S8_SB_S5_SD_SB_PS3_PS7_21rocsparse_index_base_SG_SG_SG_bbb,"axG",@progbits,_ZN9rocsparseL26csrgemm_fill_block_per_rowILj256ELj32ELj512ELj137ELj64Ell21rocsparse_complex_numIfEEEvT5_PKS3_S5_NS_24const_host_device_scalarIT6_EEPKT4_S5_PKS7_SB_S5_SD_S8_SB_S5_SD_SB_PS3_PS7_21rocsparse_index_base_SG_SG_SG_bbb,comdat
	.globl	_ZN9rocsparseL26csrgemm_fill_block_per_rowILj256ELj32ELj512ELj137ELj64Ell21rocsparse_complex_numIfEEEvT5_PKS3_S5_NS_24const_host_device_scalarIT6_EEPKT4_S5_PKS7_SB_S5_SD_S8_SB_S5_SD_SB_PS3_PS7_21rocsparse_index_base_SG_SG_SG_bbb ; -- Begin function _ZN9rocsparseL26csrgemm_fill_block_per_rowILj256ELj32ELj512ELj137ELj64Ell21rocsparse_complex_numIfEEEvT5_PKS3_S5_NS_24const_host_device_scalarIT6_EEPKT4_S5_PKS7_SB_S5_SD_S8_SB_S5_SD_SB_PS3_PS7_21rocsparse_index_base_SG_SG_SG_bbb
	.p2align	8
	.type	_ZN9rocsparseL26csrgemm_fill_block_per_rowILj256ELj32ELj512ELj137ELj64Ell21rocsparse_complex_numIfEEEvT5_PKS3_S5_NS_24const_host_device_scalarIT6_EEPKT4_S5_PKS7_SB_S5_SD_S8_SB_S5_SD_SB_PS3_PS7_21rocsparse_index_base_SG_SG_SG_bbb,@function
_ZN9rocsparseL26csrgemm_fill_block_per_rowILj256ELj32ELj512ELj137ELj64Ell21rocsparse_complex_numIfEEEvT5_PKS3_S5_NS_24const_host_device_scalarIT6_EEPKT4_S5_PKS7_SB_S5_SD_S8_SB_S5_SD_SB_PS3_PS7_21rocsparse_index_base_SG_SG_SG_bbb: ; @_ZN9rocsparseL26csrgemm_fill_block_per_rowILj256ELj32ELj512ELj137ELj64Ell21rocsparse_complex_numIfEEEvT5_PKS3_S5_NS_24const_host_device_scalarIT6_EEPKT4_S5_PKS7_SB_S5_SD_S8_SB_S5_SD_SB_PS3_PS7_21rocsparse_index_base_SG_SG_SG_bbb
; %bb.0:
	s_load_dwordx8 s[8:15], s[4:5], 0x60
	s_load_dwordx8 s[16:23], s[4:5], 0x40
	s_load_dword s7, s[4:5], 0x98
	s_load_dwordx4 s[40:43], s[4:5], 0x8
	s_load_dwordx8 s[24:31], s[4:5], 0x20
	s_load_dwordx2 s[34:35], s[4:5], 0x80
	s_load_dwordx4 s[36:39], s[4:5], 0x88
	s_waitcnt lgkmcnt(0)
	s_bitcmp1_b32 s7, 0
	s_cselect_b64 s[46:47], -1, 0
	s_bitcmp1_b32 s7, 16
	s_cselect_b64 s[0:1], -1, 0
	s_xor_b64 s[0:1], s[0:1], -1
	v_cndmask_b32_e64 v1, 0, 1, s[0:1]
	s_mov_b32 s3, 0
	s_bitcmp0_b32 s7, 0
	v_cmp_ne_u32_e64 s[0:1], 1, v1
	s_mov_b32 s59, 0
	s_cbranch_scc1 .LBB138_5
; %bb.1:
	s_load_dwordx2 s[2:3], s[4:5], 0x18
	s_and_b64 vcc, exec, s[0:1]
	s_waitcnt lgkmcnt(0)
	s_mov_b32 s59, s2
	s_cbranch_vccnz .LBB138_3
; %bb.2:
	s_load_dword s59, s[2:3], 0x0
.LBB138_3:
	s_and_b64 vcc, exec, s[0:1]
	s_cbranch_vccnz .LBB138_5
; %bb.4:
	s_load_dword s3, s[2:3], 0x4
.LBB138_5:
	s_bitcmp1_b32 s7, 8
	s_cselect_b64 s[44:45], -1, 0
	s_bfe_u32 s2, s7, 0x10008
	s_mov_b32 s58, 0
	s_cmp_eq_u32 s2, 0
	s_mov_b32 s33, 0
	s_cbranch_scc1 .LBB138_11
; %bb.6:
	s_and_b64 vcc, exec, s[0:1]
	s_mov_b32 s33, s20
	s_cbranch_vccnz .LBB138_8
; %bb.7:
	s_load_dword s33, s[20:21], 0x0
.LBB138_8:
	s_and_b64 vcc, exec, s[0:1]
	s_cbranch_vccnz .LBB138_10
; %bb.9:
	s_load_dword s21, s[20:21], 0x4
.LBB138_10:
	s_waitcnt lgkmcnt(0)
	s_mov_b32 s58, s21
.LBB138_11:
	s_load_dwordx2 s[20:21], s[4:5], 0x0
	s_movk_i32 s0, 0x200
	v_cmp_gt_u32_e64 s[0:1], s0, v0
	v_lshl_add_u32 v1, v0, 3, 0
	s_and_saveexec_b64 s[4:5], s[0:1]
	s_cbranch_execz .LBB138_14
; %bb.12:
	v_or_b32_e32 v4, 0xffffff00, v0
	v_lshl_add_u32 v5, v0, 3, 0
	s_mov_b64 s[48:49], 0
	s_waitcnt lgkmcnt(0)
	v_pk_mov_b32 v[2:3], s[20:21], s[20:21] op_sel:[0,1]
	v_mov_b32_e32 v6, 0
.LBB138_13:                             ; =>This Inner Loop Header: Depth=1
	v_add_co_u32_e32 v4, vcc, 0x100, v4
	s_xor_b64 s[50:51], vcc, -1
	s_and_b64 s[50:51], exec, s[50:51]
	ds_write_b64 v5, v[2:3]
	v_add_u32_e32 v7, 0x1000, v5
	v_add_u32_e32 v5, 0x800, v5
	s_or_b64 s[48:49], s[50:51], s[48:49]
	ds_write2_b32 v7, v6, v6 offset1:1
	s_andn2_b64 exec, exec, s[48:49]
	s_cbranch_execnz .LBB138_13
.LBB138_14:
	s_or_b64 exec, exec, s[4:5]
	s_waitcnt lgkmcnt(0)
	s_barrier
	s_load_dwordx2 s[4:5], s[40:41], 0x0
	s_mov_b32 s7, 0
	s_waitcnt lgkmcnt(0)
	s_lshl_b64 s[4:5], s[4:5], 3
	s_add_u32 s2, s42, s4
	s_addc_u32 s40, s43, s5
	s_lshl_b64 s[4:5], s[6:7], 3
	s_add_u32 s4, s2, s4
	s_addc_u32 s5, s40, s5
	s_load_dwordx2 s[40:41], s[4:5], 0x0
	s_and_b64 vcc, exec, s[46:47]
	s_cbranch_vccz .LBB138_34
; %bb.15:
	s_waitcnt lgkmcnt(0)
	s_lshl_b64 s[4:5], s[40:41], 3
	s_add_u32 s4, s24, s4
	s_addc_u32 s5, s25, s5
	s_load_dwordx4 s[48:51], s[4:5], 0x0
	v_lshrrev_b32_e32 v2, 5, v0
	v_subrev_co_u32_e32 v2, vcc, s36, v2
	v_subb_co_u32_e64 v3, s[24:25], 0, 0, vcc
	s_waitcnt lgkmcnt(0)
	s_sub_u32 s4, s50, s36
	v_mov_b32_e32 v4, s49
	v_add_co_u32_e32 v2, vcc, s48, v2
	s_subb_u32 s5, s51, 0
	v_addc_co_u32_e32 v3, vcc, v4, v3, vcc
	v_cmp_gt_i64_e32 vcc, s[4:5], v[2:3]
	s_and_saveexec_b64 s[24:25], vcc
	s_cbranch_execz .LBB138_33
; %bb.16:
	v_and_b32_e32 v4, 31, v0
	v_subrev_co_u32_e32 v11, vcc, s37, v4
	s_mov_b32 s2, s36
	s_mov_b32 s6, 0
	;; [unrolled: 1-line block ×3, first 2 shown]
	v_subb_co_u32_e64 v14, s[36:37], 0, 0, vcc
	s_mov_b64 s[36:37], 0
	v_mov_b32_e32 v15, s27
	v_mov_b32_e32 v16, s7
	;; [unrolled: 1-line block ×4, first 2 shown]
	s_movk_i32 s27, 0x89
	s_branch .LBB138_18
.LBB138_17:                             ;   in Loop: Header=BB138_18 Depth=1
	s_or_b64 exec, exec, s[6:7]
	v_add_co_u32_e32 v2, vcc, 8, v2
	v_addc_co_u32_e32 v3, vcc, 0, v3, vcc
	v_cmp_le_i64_e32 vcc, s[4:5], v[2:3]
	s_or_b64 s[36:37], vcc, s[36:37]
	s_andn2_b64 exec, exec, s[36:37]
	s_cbranch_execz .LBB138_33
.LBB138_18:                             ; =>This Loop Header: Depth=1
                                        ;     Child Loop BB138_21 Depth 2
                                        ;       Child Loop BB138_23 Depth 3
	v_lshlrev_b64 v[8:9], 3, v[2:3]
	v_add_co_u32_e32 v4, vcc, s26, v8
	v_addc_co_u32_e32 v5, vcc, v15, v9, vcc
	global_load_dwordx2 v[4:5], v[4:5], off
	s_waitcnt vmcnt(0)
	v_subrev_co_u32_e32 v4, vcc, s2, v4
	v_subb_co_u32_e32 v5, vcc, v5, v16, vcc
	v_lshlrev_b64 v[4:5], 3, v[4:5]
	v_add_co_u32_e32 v4, vcc, s30, v4
	v_addc_co_u32_e32 v5, vcc, v17, v5, vcc
	global_load_dwordx4 v[20:23], v[4:5], off
	s_waitcnt vmcnt(0)
	v_subrev_co_u32_e32 v4, vcc, s60, v22
	v_subb_co_u32_e32 v5, vcc, v23, v18, vcc
	v_add_co_u32_e32 v6, vcc, v20, v11
	v_addc_co_u32_e32 v7, vcc, v21, v14, vcc
	v_cmp_lt_i64_e32 vcc, v[6:7], v[4:5]
	s_and_saveexec_b64 s[6:7], vcc
	s_cbranch_execz .LBB138_17
; %bb.19:                               ;   in Loop: Header=BB138_18 Depth=1
	v_mov_b32_e32 v10, s29
	v_add_co_u32_e32 v8, vcc, s28, v8
	v_addc_co_u32_e32 v9, vcc, v10, v9, vcc
	global_load_dwordx2 v[8:9], v[8:9], off
	s_mov_b64 s[42:43], 0
	s_waitcnt vmcnt(0)
	v_mul_f32_e64 v19, v9, -s3
	v_mul_f32_e32 v20, s59, v9
	v_fmac_f32_e32 v19, s59, v8
	v_fmac_f32_e32 v20, s3, v8
	s_branch .LBB138_21
.LBB138_20:                             ;   in Loop: Header=BB138_21 Depth=2
	s_or_b64 exec, exec, s[46:47]
	v_add_co_u32_e32 v6, vcc, 32, v6
	v_addc_co_u32_e32 v7, vcc, 0, v7, vcc
	v_cmp_ge_i64_e32 vcc, v[6:7], v[4:5]
	s_or_b64 s[42:43], vcc, s[42:43]
	s_andn2_b64 exec, exec, s[42:43]
	s_cbranch_execz .LBB138_17
.LBB138_21:                             ;   Parent Loop BB138_18 Depth=1
                                        ; =>  This Loop Header: Depth=2
                                        ;       Child Loop BB138_23 Depth 3
	v_lshlrev_b64 v[8:9], 3, v[6:7]
	v_mov_b32_e32 v10, s17
	v_add_co_u32_e32 v12, vcc, s16, v8
	v_addc_co_u32_e32 v13, vcc, v10, v9, vcc
	v_mov_b32_e32 v10, s19
	v_add_co_u32_e32 v8, vcc, s18, v8
	global_load_dwordx2 v[12:13], v[12:13], off
	v_addc_co_u32_e32 v9, vcc, v10, v9, vcc
	global_load_dwordx2 v[24:25], v[8:9], off
	s_mov_b64 s[46:47], 0
	s_waitcnt vmcnt(1)
	v_subrev_co_u32_e32 v8, vcc, s60, v12
	v_mul_lo_u32 v10, v8, s27
	s_waitcnt vmcnt(0)
	v_mul_f32_e64 v21, v25, -v20
	v_mul_f32_e32 v22, v19, v25
	v_subb_co_u32_e32 v9, vcc, v13, v18, vcc
	v_fmac_f32_e32 v21, v19, v24
	v_fmac_f32_e32 v22, v20, v24
	v_and_b32_e32 v10, 0x1ff, v10
	s_branch .LBB138_23
.LBB138_22:                             ;   in Loop: Header=BB138_23 Depth=3
	s_or_b64 exec, exec, s[48:49]
	s_xor_b64 s[48:49], s[50:51], -1
	s_and_b64 s[48:49], exec, s[48:49]
	s_or_b64 s[46:47], s[48:49], s[46:47]
	s_andn2_b64 exec, exec, s[46:47]
	s_cbranch_execz .LBB138_20
.LBB138_23:                             ;   Parent Loop BB138_18 Depth=1
                                        ;     Parent Loop BB138_21 Depth=2
                                        ; =>    This Inner Loop Header: Depth=3
	v_lshl_add_u32 v23, v10, 3, 0
	ds_read_b64 v[12:13], v23
                                        ; implicit-def: $sgpr50_sgpr51
	s_waitcnt lgkmcnt(0)
	v_cmp_ne_u64_e32 vcc, v[12:13], v[8:9]
	s_and_saveexec_b64 s[48:49], vcc
	s_xor_b64 s[48:49], exec, s[48:49]
	s_cbranch_execz .LBB138_31
; %bb.24:                               ;   in Loop: Header=BB138_23 Depth=3
	v_cmp_ne_u64_e32 vcc, s[20:21], v[12:13]
                                        ; implicit-def: $sgpr50_sgpr51
	s_and_saveexec_b64 s[52:53], vcc
	s_xor_b64 s[52:53], exec, s[52:53]
; %bb.25:                               ;   in Loop: Header=BB138_23 Depth=3
	v_add_u32_e32 v10, 1, v10
	v_and_b32_e32 v10, 0x1ff, v10
	s_mov_b64 s[50:51], -1
                                        ; implicit-def: $vgpr23
; %bb.26:                               ;   in Loop: Header=BB138_23 Depth=3
	s_andn2_saveexec_b64 s[52:53], s[52:53]
	s_cbranch_execz .LBB138_30
; %bb.27:                               ;   in Loop: Header=BB138_23 Depth=3
	v_pk_mov_b32 v[12:13], s[20:21], s[20:21] op_sel:[0,1]
	ds_cmpst_rtn_b64 v[12:13], v23, v[12:13], v[8:9]
	s_mov_b64 s[54:55], -1
	s_waitcnt lgkmcnt(0)
	v_cmp_eq_u64_e32 vcc, s[20:21], v[12:13]
	s_and_saveexec_b64 s[56:57], vcc
	s_cbranch_execz .LBB138_29
; %bb.28:                               ;   in Loop: Header=BB138_23 Depth=3
	ds_add_f32 v23, v21 offset:4096
	ds_add_f32 v23, v22 offset:4100
	s_xor_b64 s[54:55], exec, -1
.LBB138_29:                             ;   in Loop: Header=BB138_23 Depth=3
	s_or_b64 exec, exec, s[56:57]
	s_andn2_b64 s[50:51], s[50:51], exec
	s_and_b64 s[54:55], s[54:55], exec
	s_or_b64 s[50:51], s[50:51], s[54:55]
.LBB138_30:                             ;   in Loop: Header=BB138_23 Depth=3
	s_or_b64 exec, exec, s[52:53]
	s_and_b64 s[50:51], s[50:51], exec
                                        ; implicit-def: $vgpr23
.LBB138_31:                             ;   in Loop: Header=BB138_23 Depth=3
	s_andn2_saveexec_b64 s[48:49], s[48:49]
	s_cbranch_execz .LBB138_22
; %bb.32:                               ;   in Loop: Header=BB138_23 Depth=3
	ds_add_f32 v23, v21 offset:4096
	ds_add_f32 v23, v22 offset:4100
	s_andn2_b64 s[50:51], s[50:51], exec
	s_branch .LBB138_22
.LBB138_33:
	s_or_b64 exec, exec, s[24:25]
.LBB138_34:
	s_andn2_b64 vcc, exec, s[44:45]
	s_cbranch_vccnz .LBB138_51
; %bb.35:
	s_waitcnt lgkmcnt(0)
	s_lshl_b64 s[2:3], s[40:41], 3
	s_add_u32 s2, s22, s2
	s_addc_u32 s3, s23, s3
	s_load_dwordx4 s[4:7], s[2:3], 0x0
	v_subrev_co_u32_e32 v2, vcc, s39, v0
	s_mov_b32 s16, 0
	s_waitcnt lgkmcnt(0)
	s_sub_u32 s2, s6, s39
	s_subb_u32 s3, s7, 0
	v_subb_co_u32_e64 v3, s[6:7], 0, 0, vcc
	v_mov_b32_e32 v4, s5
	v_add_co_u32_e32 v2, vcc, s4, v2
	v_addc_co_u32_e32 v3, vcc, v4, v3, vcc
	v_cmp_gt_i64_e32 vcc, s[2:3], v[2:3]
	s_and_saveexec_b64 s[4:5], vcc
	s_cbranch_execz .LBB138_50
; %bb.36:
	s_mov_b32 s30, s39
	s_mov_b64 s[6:7], 0
	v_mov_b32_e32 v7, s9
	v_mov_b32_e32 v10, s16
	;; [unrolled: 1-line block ×3, first 2 shown]
	s_movk_i32 s9, 0x89
	s_branch .LBB138_38
.LBB138_37:                             ;   in Loop: Header=BB138_38 Depth=1
	s_or_b64 exec, exec, s[16:17]
	v_add_co_u32_e32 v2, vcc, 0x100, v2
	v_addc_co_u32_e32 v3, vcc, 0, v3, vcc
	v_cmp_le_i64_e32 vcc, s[2:3], v[2:3]
	s_or_b64 s[6:7], vcc, s[6:7]
	s_andn2_b64 exec, exec, s[6:7]
	s_cbranch_execz .LBB138_50
.LBB138_38:                             ; =>This Loop Header: Depth=1
                                        ;     Child Loop BB138_40 Depth 2
	v_lshlrev_b64 v[4:5], 3, v[2:3]
	v_add_co_u32_e32 v8, vcc, s8, v4
	v_addc_co_u32_e32 v9, vcc, v7, v5, vcc
	v_add_co_u32_e32 v4, vcc, s10, v4
	global_load_dwordx2 v[8:9], v[8:9], off
	v_addc_co_u32_e32 v5, vcc, v11, v5, vcc
	global_load_dwordx2 v[14:15], v[4:5], off
	s_mov_b64 s[16:17], 0
	s_waitcnt vmcnt(1)
	v_subrev_co_u32_e32 v4, vcc, s30, v8
	v_mul_lo_u32 v6, v4, s9
	s_waitcnt vmcnt(0)
	v_mul_f32_e64 v12, v15, -s58
	v_mul_f32_e32 v13, s33, v15
	v_subb_co_u32_e32 v5, vcc, v9, v10, vcc
	v_fmac_f32_e32 v12, s33, v14
	v_fmac_f32_e32 v13, s58, v14
	v_and_b32_e32 v6, 0x1ff, v6
	s_branch .LBB138_40
.LBB138_39:                             ;   in Loop: Header=BB138_40 Depth=2
	s_or_b64 exec, exec, s[18:19]
	s_xor_b64 s[18:19], s[22:23], -1
	s_and_b64 s[18:19], exec, s[18:19]
	s_or_b64 s[16:17], s[18:19], s[16:17]
	s_andn2_b64 exec, exec, s[16:17]
	s_cbranch_execz .LBB138_37
.LBB138_40:                             ;   Parent Loop BB138_38 Depth=1
                                        ; =>  This Inner Loop Header: Depth=2
	v_lshl_add_u32 v14, v6, 3, 0
	ds_read_b64 v[8:9], v14
                                        ; implicit-def: $sgpr22_sgpr23
	s_waitcnt lgkmcnt(0)
	v_cmp_ne_u64_e32 vcc, v[8:9], v[4:5]
	s_and_saveexec_b64 s[18:19], vcc
	s_xor_b64 s[18:19], exec, s[18:19]
	s_cbranch_execz .LBB138_48
; %bb.41:                               ;   in Loop: Header=BB138_40 Depth=2
	v_cmp_ne_u64_e32 vcc, s[20:21], v[8:9]
                                        ; implicit-def: $sgpr22_sgpr23
	s_and_saveexec_b64 s[24:25], vcc
	s_xor_b64 s[24:25], exec, s[24:25]
; %bb.42:                               ;   in Loop: Header=BB138_40 Depth=2
	v_add_u32_e32 v6, 1, v6
	v_and_b32_e32 v6, 0x1ff, v6
	s_mov_b64 s[22:23], -1
                                        ; implicit-def: $vgpr14
; %bb.43:                               ;   in Loop: Header=BB138_40 Depth=2
	s_andn2_saveexec_b64 s[24:25], s[24:25]
	s_cbranch_execz .LBB138_47
; %bb.44:                               ;   in Loop: Header=BB138_40 Depth=2
	v_pk_mov_b32 v[8:9], s[20:21], s[20:21] op_sel:[0,1]
	ds_cmpst_rtn_b64 v[8:9], v14, v[8:9], v[4:5]
	s_mov_b64 s[26:27], -1
	s_waitcnt lgkmcnt(0)
	v_cmp_eq_u64_e32 vcc, s[20:21], v[8:9]
	s_and_saveexec_b64 s[28:29], vcc
	s_cbranch_execz .LBB138_46
; %bb.45:                               ;   in Loop: Header=BB138_40 Depth=2
	ds_add_f32 v14, v12 offset:4096
	ds_add_f32 v14, v13 offset:4100
	s_xor_b64 s[26:27], exec, -1
.LBB138_46:                             ;   in Loop: Header=BB138_40 Depth=2
	s_or_b64 exec, exec, s[28:29]
	s_andn2_b64 s[22:23], s[22:23], exec
	s_and_b64 s[26:27], s[26:27], exec
	s_or_b64 s[22:23], s[22:23], s[26:27]
.LBB138_47:                             ;   in Loop: Header=BB138_40 Depth=2
	s_or_b64 exec, exec, s[24:25]
	s_and_b64 s[22:23], s[22:23], exec
                                        ; implicit-def: $vgpr14
.LBB138_48:                             ;   in Loop: Header=BB138_40 Depth=2
	s_andn2_saveexec_b64 s[18:19], s[18:19]
	s_cbranch_execz .LBB138_39
; %bb.49:                               ;   in Loop: Header=BB138_40 Depth=2
	ds_add_f32 v14, v12 offset:4096
	ds_add_f32 v14, v13 offset:4100
	s_andn2_b64 s[22:23], s[22:23], exec
	s_branch .LBB138_39
.LBB138_50:
	s_or_b64 exec, exec, s[4:5]
.LBB138_51:
	s_waitcnt lgkmcnt(0)
	s_barrier
	s_and_saveexec_b64 s[8:9], s[0:1]
	s_cbranch_execz .LBB138_64
; %bb.52:
	v_mbcnt_lo_u32_b32 v2, -1, 0
	v_mbcnt_hi_u32_b32 v2, -1, v2
	v_sub_u32_e32 v2, 63, v2
	v_lshrrev_b64 v[4:5], v2, -1
	v_lshrrev_b32_e32 v2, 3, v0
	v_and_b32_e32 v2, 24, v2
	s_movk_i32 s0, 0xff
	s_movk_i32 s4, 0x7f
	;; [unrolled: 1-line block ×3, first 2 shown]
	v_mov_b32_e32 v3, 0
	v_add_u32_e32 v14, 0, v2
	v_cmp_eq_u32_e64 s[0:1], s0, v0
	v_cmp_lt_u32_e64 s[2:3], 63, v0
	v_cmp_lt_u32_e64 s[4:5], s4, v0
	;; [unrolled: 1-line block ×3, first 2 shown]
	v_or_b32_e32 v15, 0xffffff00, v0
	s_mov_b64 s[10:11], 0
	v_pk_mov_b32 v[6:7], 0, 0
	s_branch .LBB138_54
.LBB138_53:                             ;   in Loop: Header=BB138_54 Depth=1
	s_or_b64 exec, exec, s[16:17]
	s_waitcnt lgkmcnt(0)
	s_barrier
	ds_read_b64 v[8:9], v3 offset:8216
	v_add_u32_e32 v1, 0x800, v1
	s_waitcnt lgkmcnt(0)
	v_add_co_u32_e32 v6, vcc, v8, v6
	v_addc_co_u32_e32 v7, vcc, v9, v7, vcc
	v_add_co_u32_e32 v15, vcc, 0x100, v15
	s_xor_b64 s[16:17], vcc, -1
	s_and_b64 s[16:17], exec, s[16:17]
	s_or_b64 s[10:11], s[16:17], s[10:11]
	s_andn2_b64 exec, exec, s[10:11]
	s_cbranch_execz .LBB138_64
.LBB138_54:                             ; =>This Inner Loop Header: Depth=1
	ds_read_b64 v[8:9], v1
	v_add_u32_e32 v2, 0x1000, v1
	ds_read2_b32 v[10:11], v2 offset1:1
	s_waitcnt lgkmcnt(0)
	s_barrier
	v_cmp_gt_i64_e32 vcc, s[20:21], v[8:9]
	v_and_b32_e32 v13, vcc_lo, v4
	s_bcnt1_i32_b64 s16, vcc
	v_and_b32_e32 v12, vcc_hi, v5
	v_bcnt_u32_b32 v13, v13, 0
	v_mov_b32_e32 v2, s16
	v_bcnt_u32_b32 v12, v12, v13
	ds_write_b64 v14, v[2:3] offset:8192
	s_waitcnt lgkmcnt(0)
	s_barrier
	s_and_saveexec_b64 s[16:17], s[2:3]
	s_cbranch_execnz .LBB138_59
; %bb.55:                               ;   in Loop: Header=BB138_54 Depth=1
	s_or_b64 exec, exec, s[16:17]
	s_and_saveexec_b64 s[16:17], s[4:5]
	s_cbranch_execnz .LBB138_60
.LBB138_56:                             ;   in Loop: Header=BB138_54 Depth=1
	s_or_b64 exec, exec, s[16:17]
	s_and_saveexec_b64 s[16:17], s[6:7]
	s_cbranch_execnz .LBB138_61
.LBB138_57:                             ;   in Loop: Header=BB138_54 Depth=1
	s_or_b64 exec, exec, s[16:17]
	v_ashrrev_i32_e32 v13, 31, v12
	s_and_saveexec_b64 s[16:17], vcc
	s_cbranch_execnz .LBB138_62
.LBB138_58:                             ;   in Loop: Header=BB138_54 Depth=1
	s_or_b64 exec, exec, s[16:17]
	s_and_saveexec_b64 s[16:17], s[0:1]
	s_cbranch_execz .LBB138_53
	s_branch .LBB138_63
.LBB138_59:                             ;   in Loop: Header=BB138_54 Depth=1
	ds_read_b32 v2, v3 offset:8192
	s_waitcnt lgkmcnt(0)
	v_add_u32_e32 v12, v2, v12
	s_or_b64 exec, exec, s[16:17]
	s_and_saveexec_b64 s[16:17], s[4:5]
	s_cbranch_execz .LBB138_56
.LBB138_60:                             ;   in Loop: Header=BB138_54 Depth=1
	ds_read_b32 v2, v3 offset:8200
	s_waitcnt lgkmcnt(0)
	v_add_u32_e32 v12, v12, v2
	s_or_b64 exec, exec, s[16:17]
	s_and_saveexec_b64 s[16:17], s[6:7]
	s_cbranch_execz .LBB138_57
.LBB138_61:                             ;   in Loop: Header=BB138_54 Depth=1
	ds_read_b32 v2, v3 offset:8208
	s_waitcnt lgkmcnt(0)
	v_add_u32_e32 v12, v12, v2
	s_or_b64 exec, exec, s[16:17]
	v_ashrrev_i32_e32 v13, 31, v12
	s_and_saveexec_b64 s[16:17], vcc
	s_cbranch_execz .LBB138_58
.LBB138_62:                             ;   in Loop: Header=BB138_54 Depth=1
	v_add3_u32 v2, v6, -1, v12
	v_lshl_add_u32 v2, v2, 3, 0
	v_add_u32_e32 v16, 0x1000, v2
	ds_write_b64 v2, v[8:9]
	ds_write2_b32 v16, v10, v11 offset1:1
	s_or_b64 exec, exec, s[16:17]
	s_and_saveexec_b64 s[16:17], s[0:1]
	s_cbranch_execz .LBB138_53
.LBB138_63:                             ;   in Loop: Header=BB138_54 Depth=1
	ds_write_b64 v3, v[12:13] offset:8216
	s_branch .LBB138_53
.LBB138_64:
	s_or_b64 exec, exec, s[8:9]
	s_lshl_b64 s[0:1], s[40:41], 3
	s_add_u32 s0, s12, s0
	s_addc_u32 s1, s13, s1
	s_load_dwordx4 s[0:3], s[0:1], 0x0
	v_mov_b32_e32 v1, 0
	s_waitcnt lgkmcnt(0)
	s_sub_u32 s4, s2, s0
	s_subb_u32 s5, s3, s1
	v_cmp_gt_i64_e32 vcc, s[4:5], v[0:1]
	s_and_saveexec_b64 s[6:7], vcc
	s_cbranch_execz .LBB138_74
; %bb.65:
	s_sub_u32 s6, s0, s38
	s_subb_u32 s7, s1, 0
	s_and_b32 s8, s4, 7
	s_sub_u32 s0, s0, s2
	s_mov_b32 s18, 0
	s_subb_u32 s1, s1, s3
	s_mov_b32 s9, s18
	s_and_b32 s2, s4, -8
	v_cmp_lt_u64_e64 s[0:1], s[0:1], -7
	s_cmp_lg_u64 s[8:9], 0
	v_cndmask_b32_e64 v2, 0, 1, s[0:1]
	s_mov_b32 s3, s5
	s_mov_b64 s[10:11], 0
	s_cselect_b64 s[12:13], -1, 0
	v_cmp_ne_u32_e64 s[0:1], 1, v2
	s_branch .LBB138_67
.LBB138_66:                             ;   in Loop: Header=BB138_67 Depth=1
	v_mov_b32_e32 v8, s18
	s_waitcnt lgkmcnt(1)
	v_add_co_u32_e32 v4, vcc, s38, v4
	v_addc_co_u32_e32 v5, vcc, v5, v8, vcc
	v_lshlrev_b64 v[6:7], 3, v[6:7]
	v_mov_b32_e32 v9, s15
	v_add_co_u32_e32 v8, vcc, s14, v6
	v_addc_co_u32_e32 v9, vcc, v9, v7, vcc
	global_store_dwordx2 v[8:9], v[4:5], off
	v_mov_b32_e32 v5, s35
	v_add_co_u32_e32 v4, vcc, s34, v6
	v_addc_co_u32_e32 v5, vcc, v5, v7, vcc
	v_add_co_u32_e32 v0, vcc, 0x100, v0
	v_addc_co_u32_e32 v1, vcc, 0, v1, vcc
	v_cmp_le_i64_e32 vcc, s[4:5], v[0:1]
	s_or_b64 s[10:11], vcc, s[10:11]
	s_waitcnt lgkmcnt(0)
	global_store_dwordx2 v[4:5], v[2:3], off
	s_andn2_b64 exec, exec, s[10:11]
	s_cbranch_execz .LBB138_74
.LBB138_67:                             ; =>This Loop Header: Depth=1
                                        ;     Child Loop BB138_69 Depth 2
                                        ;     Child Loop BB138_73 Depth 2
	v_lshl_add_u32 v2, v0, 3, 0
	v_add_u32_e32 v3, 0x1000, v2
	ds_read_b64 v[4:5], v2
	ds_read2_b32 v[2:3], v3 offset1:1
	s_and_b64 vcc, exec, s[0:1]
	v_pk_mov_b32 v[6:7], s[6:7], s[6:7] op_sel:[0,1]
	s_mov_b64 s[16:17], 0
	s_cbranch_vccnz .LBB138_71
; %bb.68:                               ;   in Loop: Header=BB138_67 Depth=1
	s_mov_b32 s19, 0
	v_pk_mov_b32 v[6:7], s[6:7], s[6:7] op_sel:[0,1]
.LBB138_69:                             ;   Parent Loop BB138_67 Depth=1
                                        ; =>  This Inner Loop Header: Depth=2
	v_mov_b32_e32 v20, s19
	ds_read2_b64 v[8:11], v20 offset1:1
	ds_read2_b64 v[12:15], v20 offset0:2 offset1:3
	ds_read2_b64 v[16:19], v20 offset0:4 offset1:5
	;; [unrolled: 1-line block ×3, first 2 shown]
	s_add_u32 s16, s16, 8
	s_waitcnt lgkmcnt(3)
	v_cmp_gt_i64_e32 vcc, v[4:5], v[8:9]
	v_cndmask_b32_e64 v8, 0, 1, vcc
	v_cmp_gt_i64_e32 vcc, v[4:5], v[10:11]
	v_cndmask_b32_e64 v9, 0, 1, vcc
	s_waitcnt lgkmcnt(2)
	v_cmp_gt_i64_e32 vcc, v[4:5], v[12:13]
	v_cndmask_b32_e64 v10, 0, 1, vcc
	v_cmp_gt_i64_e32 vcc, v[4:5], v[14:15]
	v_cndmask_b32_e64 v11, 0, 1, vcc
	;; [unrolled: 5-line block ×4, first 2 shown]
	v_add_co_u32_e32 v6, vcc, v6, v8
	v_addc_co_u32_e32 v7, vcc, 0, v7, vcc
	v_add_co_u32_e32 v6, vcc, v6, v9
	v_addc_co_u32_e32 v7, vcc, 0, v7, vcc
	;; [unrolled: 2-line block ×7, first 2 shown]
	s_addc_u32 s17, s17, 0
	s_add_i32 s19, s19, 64
	v_add_co_u32_e32 v6, vcc, v6, v15
	s_cmp_eq_u64 s[2:3], s[16:17]
	v_addc_co_u32_e32 v7, vcc, 0, v7, vcc
	s_cbranch_scc0 .LBB138_69
; %bb.70:                               ;   in Loop: Header=BB138_67 Depth=1
	s_mov_b64 s[16:17], s[2:3]
.LBB138_71:                             ;   in Loop: Header=BB138_67 Depth=1
	s_andn2_b64 vcc, exec, s[12:13]
	s_cbranch_vccnz .LBB138_66
; %bb.72:                               ;   in Loop: Header=BB138_67 Depth=1
	s_lshl_b32 s16, s16, 3
	s_add_i32 s19, s16, 0
	s_mov_b64 s[16:17], s[8:9]
.LBB138_73:                             ;   Parent Loop BB138_67 Depth=1
                                        ; =>  This Inner Loop Header: Depth=2
	v_mov_b32_e32 v8, s19
	ds_read_b64 v[8:9], v8
	s_add_i32 s19, s19, 8
	s_add_u32 s16, s16, -1
	s_addc_u32 s17, s17, -1
	s_cmp_lg_u64 s[16:17], 0
	s_waitcnt lgkmcnt(0)
	v_cmp_gt_i64_e32 vcc, v[4:5], v[8:9]
	v_cndmask_b32_e64 v8, 0, 1, vcc
	v_add_co_u32_e32 v6, vcc, v6, v8
	v_addc_co_u32_e32 v7, vcc, 0, v7, vcc
	s_cbranch_scc1 .LBB138_73
	s_branch .LBB138_66
.LBB138_74:
	s_endpgm
	.section	.rodata,"a",@progbits
	.p2align	6, 0x0
	.amdhsa_kernel _ZN9rocsparseL26csrgemm_fill_block_per_rowILj256ELj32ELj512ELj137ELj64Ell21rocsparse_complex_numIfEEEvT5_PKS3_S5_NS_24const_host_device_scalarIT6_EEPKT4_S5_PKS7_SB_S5_SD_S8_SB_S5_SD_SB_PS3_PS7_21rocsparse_index_base_SG_SG_SG_bbb
		.amdhsa_group_segment_fixed_size 0
		.amdhsa_private_segment_fixed_size 0
		.amdhsa_kernarg_size 156
		.amdhsa_user_sgpr_count 6
		.amdhsa_user_sgpr_private_segment_buffer 1
		.amdhsa_user_sgpr_dispatch_ptr 0
		.amdhsa_user_sgpr_queue_ptr 0
		.amdhsa_user_sgpr_kernarg_segment_ptr 1
		.amdhsa_user_sgpr_dispatch_id 0
		.amdhsa_user_sgpr_flat_scratch_init 0
		.amdhsa_user_sgpr_kernarg_preload_length 0
		.amdhsa_user_sgpr_kernarg_preload_offset 0
		.amdhsa_user_sgpr_private_segment_size 0
		.amdhsa_uses_dynamic_stack 0
		.amdhsa_system_sgpr_private_segment_wavefront_offset 0
		.amdhsa_system_sgpr_workgroup_id_x 1
		.amdhsa_system_sgpr_workgroup_id_y 0
		.amdhsa_system_sgpr_workgroup_id_z 0
		.amdhsa_system_sgpr_workgroup_info 0
		.amdhsa_system_vgpr_workitem_id 0
		.amdhsa_next_free_vgpr 26
		.amdhsa_next_free_sgpr 61
		.amdhsa_accum_offset 28
		.amdhsa_reserve_vcc 1
		.amdhsa_reserve_flat_scratch 0
		.amdhsa_float_round_mode_32 0
		.amdhsa_float_round_mode_16_64 0
		.amdhsa_float_denorm_mode_32 3
		.amdhsa_float_denorm_mode_16_64 3
		.amdhsa_dx10_clamp 1
		.amdhsa_ieee_mode 1
		.amdhsa_fp16_overflow 0
		.amdhsa_tg_split 0
		.amdhsa_exception_fp_ieee_invalid_op 0
		.amdhsa_exception_fp_denorm_src 0
		.amdhsa_exception_fp_ieee_div_zero 0
		.amdhsa_exception_fp_ieee_overflow 0
		.amdhsa_exception_fp_ieee_underflow 0
		.amdhsa_exception_fp_ieee_inexact 0
		.amdhsa_exception_int_div_zero 0
	.end_amdhsa_kernel
	.section	.text._ZN9rocsparseL26csrgemm_fill_block_per_rowILj256ELj32ELj512ELj137ELj64Ell21rocsparse_complex_numIfEEEvT5_PKS3_S5_NS_24const_host_device_scalarIT6_EEPKT4_S5_PKS7_SB_S5_SD_S8_SB_S5_SD_SB_PS3_PS7_21rocsparse_index_base_SG_SG_SG_bbb,"axG",@progbits,_ZN9rocsparseL26csrgemm_fill_block_per_rowILj256ELj32ELj512ELj137ELj64Ell21rocsparse_complex_numIfEEEvT5_PKS3_S5_NS_24const_host_device_scalarIT6_EEPKT4_S5_PKS7_SB_S5_SD_S8_SB_S5_SD_SB_PS3_PS7_21rocsparse_index_base_SG_SG_SG_bbb,comdat
.Lfunc_end138:
	.size	_ZN9rocsparseL26csrgemm_fill_block_per_rowILj256ELj32ELj512ELj137ELj64Ell21rocsparse_complex_numIfEEEvT5_PKS3_S5_NS_24const_host_device_scalarIT6_EEPKT4_S5_PKS7_SB_S5_SD_S8_SB_S5_SD_SB_PS3_PS7_21rocsparse_index_base_SG_SG_SG_bbb, .Lfunc_end138-_ZN9rocsparseL26csrgemm_fill_block_per_rowILj256ELj32ELj512ELj137ELj64Ell21rocsparse_complex_numIfEEEvT5_PKS3_S5_NS_24const_host_device_scalarIT6_EEPKT4_S5_PKS7_SB_S5_SD_S8_SB_S5_SD_SB_PS3_PS7_21rocsparse_index_base_SG_SG_SG_bbb
                                        ; -- End function
	.section	.AMDGPU.csdata,"",@progbits
; Kernel info:
; codeLenInByte = 2648
; NumSgprs: 65
; NumVgprs: 26
; NumAgprs: 0
; TotalNumVgprs: 26
; ScratchSize: 0
; MemoryBound: 0
; FloatMode: 240
; IeeeMode: 1
; LDSByteSize: 0 bytes/workgroup (compile time only)
; SGPRBlocks: 8
; VGPRBlocks: 3
; NumSGPRsForWavesPerEU: 65
; NumVGPRsForWavesPerEU: 26
; AccumOffset: 28
; Occupancy: 8
; WaveLimiterHint : 1
; COMPUTE_PGM_RSRC2:SCRATCH_EN: 0
; COMPUTE_PGM_RSRC2:USER_SGPR: 6
; COMPUTE_PGM_RSRC2:TRAP_HANDLER: 0
; COMPUTE_PGM_RSRC2:TGID_X_EN: 1
; COMPUTE_PGM_RSRC2:TGID_Y_EN: 0
; COMPUTE_PGM_RSRC2:TGID_Z_EN: 0
; COMPUTE_PGM_RSRC2:TIDIG_COMP_CNT: 0
; COMPUTE_PGM_RSRC3_GFX90A:ACCUM_OFFSET: 6
; COMPUTE_PGM_RSRC3_GFX90A:TG_SPLIT: 0
	.section	.text._ZN9rocsparseL26csrgemm_fill_block_per_rowILj512ELj32ELj1024ELj137ELj32Ell21rocsparse_complex_numIfEEEvT5_PKS3_S5_NS_24const_host_device_scalarIT6_EEPKT4_S5_PKS7_SB_S5_SD_S8_SB_S5_SD_SB_PS3_PS7_21rocsparse_index_base_SG_SG_SG_bbb,"axG",@progbits,_ZN9rocsparseL26csrgemm_fill_block_per_rowILj512ELj32ELj1024ELj137ELj32Ell21rocsparse_complex_numIfEEEvT5_PKS3_S5_NS_24const_host_device_scalarIT6_EEPKT4_S5_PKS7_SB_S5_SD_S8_SB_S5_SD_SB_PS3_PS7_21rocsparse_index_base_SG_SG_SG_bbb,comdat
	.globl	_ZN9rocsparseL26csrgemm_fill_block_per_rowILj512ELj32ELj1024ELj137ELj32Ell21rocsparse_complex_numIfEEEvT5_PKS3_S5_NS_24const_host_device_scalarIT6_EEPKT4_S5_PKS7_SB_S5_SD_S8_SB_S5_SD_SB_PS3_PS7_21rocsparse_index_base_SG_SG_SG_bbb ; -- Begin function _ZN9rocsparseL26csrgemm_fill_block_per_rowILj512ELj32ELj1024ELj137ELj32Ell21rocsparse_complex_numIfEEEvT5_PKS3_S5_NS_24const_host_device_scalarIT6_EEPKT4_S5_PKS7_SB_S5_SD_S8_SB_S5_SD_SB_PS3_PS7_21rocsparse_index_base_SG_SG_SG_bbb
	.p2align	8
	.type	_ZN9rocsparseL26csrgemm_fill_block_per_rowILj512ELj32ELj1024ELj137ELj32Ell21rocsparse_complex_numIfEEEvT5_PKS3_S5_NS_24const_host_device_scalarIT6_EEPKT4_S5_PKS7_SB_S5_SD_S8_SB_S5_SD_SB_PS3_PS7_21rocsparse_index_base_SG_SG_SG_bbb,@function
_ZN9rocsparseL26csrgemm_fill_block_per_rowILj512ELj32ELj1024ELj137ELj32Ell21rocsparse_complex_numIfEEEvT5_PKS3_S5_NS_24const_host_device_scalarIT6_EEPKT4_S5_PKS7_SB_S5_SD_S8_SB_S5_SD_SB_PS3_PS7_21rocsparse_index_base_SG_SG_SG_bbb: ; @_ZN9rocsparseL26csrgemm_fill_block_per_rowILj512ELj32ELj1024ELj137ELj32Ell21rocsparse_complex_numIfEEEvT5_PKS3_S5_NS_24const_host_device_scalarIT6_EEPKT4_S5_PKS7_SB_S5_SD_S8_SB_S5_SD_SB_PS3_PS7_21rocsparse_index_base_SG_SG_SG_bbb
; %bb.0:
	s_load_dwordx8 s[36:43], s[4:5], 0x60
	s_load_dwordx8 s[8:15], s[4:5], 0x40
	s_load_dword s7, s[4:5], 0x98
	s_load_dwordx4 s[24:27], s[4:5], 0x8
	s_load_dwordx8 s[16:23], s[4:5], 0x20
	s_load_dwordx2 s[34:35], s[4:5], 0x80
	s_load_dwordx4 s[44:47], s[4:5], 0x88
	s_waitcnt lgkmcnt(0)
	s_bitcmp1_b32 s7, 0
	s_cselect_b64 s[30:31], -1, 0
	s_bitcmp1_b32 s7, 16
	s_cselect_b64 s[0:1], -1, 0
	s_xor_b64 s[0:1], s[0:1], -1
	v_cndmask_b32_e64 v1, 0, 1, s[0:1]
	s_mov_b32 s3, 0
	s_bitcmp0_b32 s7, 0
	v_cmp_ne_u32_e64 s[0:1], 1, v1
	s_mov_b32 s57, 0
	s_cbranch_scc1 .LBB139_5
; %bb.1:
	s_load_dwordx2 s[2:3], s[4:5], 0x18
	s_and_b64 vcc, exec, s[0:1]
	s_waitcnt lgkmcnt(0)
	s_mov_b32 s57, s2
	s_cbranch_vccnz .LBB139_3
; %bb.2:
	s_load_dword s57, s[2:3], 0x0
.LBB139_3:
	s_and_b64 vcc, exec, s[0:1]
	s_cbranch_vccnz .LBB139_5
; %bb.4:
	s_load_dword s3, s[2:3], 0x4
.LBB139_5:
	s_bitcmp1_b32 s7, 8
	s_cselect_b64 s[28:29], -1, 0
	s_bfe_u32 s2, s7, 0x10008
	s_mov_b32 s56, 0
	s_cmp_eq_u32 s2, 0
	s_mov_b32 s33, 0
	s_cbranch_scc1 .LBB139_11
; %bb.6:
	s_and_b64 vcc, exec, s[0:1]
	s_mov_b32 s33, s12
	s_cbranch_vccnz .LBB139_8
; %bb.7:
	s_load_dword s33, s[12:13], 0x0
.LBB139_8:
	s_and_b64 vcc, exec, s[0:1]
	s_cbranch_vccnz .LBB139_10
; %bb.9:
	s_load_dword s13, s[12:13], 0x4
.LBB139_10:
	s_waitcnt lgkmcnt(0)
	s_mov_b32 s56, s13
.LBB139_11:
	s_load_dwordx2 s[48:49], s[4:5], 0x0
	v_or_b32_e32 v1, 0xfffffe00, v0
	v_lshl_add_u32 v14, v0, 3, 0
	s_mov_b64 s[0:1], 0
	v_mov_b32_e32 v4, 0
	s_waitcnt lgkmcnt(0)
	v_pk_mov_b32 v[2:3], s[48:49], s[48:49] op_sel:[0,1]
	v_mov_b32_e32 v5, v14
	v_mov_b32_e32 v6, v1
.LBB139_12:                             ; =>This Inner Loop Header: Depth=1
	v_add_co_u32_e32 v6, vcc, 0x200, v6
	s_xor_b64 s[4:5], vcc, -1
	s_and_b64 s[4:5], exec, s[4:5]
	ds_write_b64 v5, v[2:3]
	v_add_u32_e32 v7, 0x2000, v5
	v_add_u32_e32 v5, 0x1000, v5
	s_or_b64 s[0:1], s[4:5], s[0:1]
	ds_write2_b32 v7, v4, v4 offset1:1
	s_andn2_b64 exec, exec, s[0:1]
	s_cbranch_execnz .LBB139_12
; %bb.13:
	s_or_b64 exec, exec, s[0:1]
	s_waitcnt lgkmcnt(0)
	s_barrier
	s_load_dwordx2 s[0:1], s[24:25], 0x0
	s_mov_b32 s7, 0
	v_lshrrev_b32_e32 v11, 5, v0
	s_waitcnt lgkmcnt(0)
	s_lshl_b64 s[0:1], s[0:1], 3
	s_add_u32 s2, s26, s0
	s_addc_u32 s4, s27, s1
	s_lshl_b64 s[0:1], s[6:7], 3
	s_add_u32 s0, s2, s0
	s_addc_u32 s1, s4, s1
	s_load_dwordx2 s[50:51], s[0:1], 0x0
	s_and_b64 vcc, exec, s[30:31]
	s_cbranch_vccz .LBB139_33
; %bb.14:
	s_waitcnt lgkmcnt(0)
	s_lshl_b64 s[0:1], s[50:51], 3
	s_add_u32 s0, s16, s0
	s_addc_u32 s1, s17, s1
	s_load_dwordx4 s[24:27], s[0:1], 0x0
	v_subrev_co_u32_e32 v2, vcc, s44, v11
	v_subb_co_u32_e64 v3, s[4:5], 0, 0, vcc
	s_waitcnt lgkmcnt(0)
	s_sub_u32 s0, s26, s44
	v_mov_b32_e32 v4, s25
	v_add_co_u32_e32 v2, vcc, s24, v2
	s_subb_u32 s1, s27, 0
	v_addc_co_u32_e32 v3, vcc, v4, v3, vcc
	v_cmp_gt_i64_e32 vcc, s[0:1], v[2:3]
	s_and_saveexec_b64 s[4:5], vcc
	s_cbranch_execz .LBB139_32
; %bb.15:
	v_and_b32_e32 v4, 31, v0
	v_subrev_co_u32_e32 v15, vcc, s45, v4
	s_mov_b32 s6, 0
	v_subb_co_u32_e64 v16, s[12:13], 0, 0, vcc
	s_mov_b32 s2, s44
	s_mov_b32 s58, s45
	s_mov_b64 s[12:13], 0
	v_mov_b32_e32 v17, s19
	v_mov_b32_e32 v18, s7
	;; [unrolled: 1-line block ×4, first 2 shown]
	s_movk_i32 s19, 0x89
	s_branch .LBB139_17
.LBB139_16:                             ;   in Loop: Header=BB139_17 Depth=1
	s_or_b64 exec, exec, s[6:7]
	v_add_co_u32_e32 v2, vcc, 16, v2
	v_addc_co_u32_e32 v3, vcc, 0, v3, vcc
	v_cmp_le_i64_e32 vcc, s[0:1], v[2:3]
	s_or_b64 s[12:13], vcc, s[12:13]
	s_andn2_b64 exec, exec, s[12:13]
	s_cbranch_execz .LBB139_32
.LBB139_17:                             ; =>This Loop Header: Depth=1
                                        ;     Child Loop BB139_20 Depth 2
                                        ;       Child Loop BB139_22 Depth 3
	v_lshlrev_b64 v[8:9], 3, v[2:3]
	v_add_co_u32_e32 v4, vcc, s18, v8
	v_addc_co_u32_e32 v5, vcc, v17, v9, vcc
	global_load_dwordx2 v[4:5], v[4:5], off
	s_waitcnt vmcnt(0)
	v_subrev_co_u32_e32 v4, vcc, s2, v4
	v_subb_co_u32_e32 v5, vcc, v5, v18, vcc
	v_lshlrev_b64 v[4:5], 3, v[4:5]
	v_add_co_u32_e32 v4, vcc, s22, v4
	v_addc_co_u32_e32 v5, vcc, v19, v5, vcc
	global_load_dwordx4 v[22:25], v[4:5], off
	s_waitcnt vmcnt(0)
	v_subrev_co_u32_e32 v4, vcc, s58, v24
	v_subb_co_u32_e32 v5, vcc, v25, v20, vcc
	v_add_co_u32_e32 v6, vcc, v22, v15
	v_addc_co_u32_e32 v7, vcc, v23, v16, vcc
	v_cmp_lt_i64_e32 vcc, v[6:7], v[4:5]
	s_and_saveexec_b64 s[6:7], vcc
	s_cbranch_execz .LBB139_16
; %bb.18:                               ;   in Loop: Header=BB139_17 Depth=1
	v_mov_b32_e32 v10, s21
	v_add_co_u32_e32 v8, vcc, s20, v8
	v_addc_co_u32_e32 v9, vcc, v10, v9, vcc
	global_load_dwordx2 v[8:9], v[8:9], off
	s_mov_b64 s[16:17], 0
	s_waitcnt vmcnt(0)
	v_mul_f32_e64 v21, v9, -s3
	v_mul_f32_e32 v22, s57, v9
	v_fmac_f32_e32 v21, s57, v8
	v_fmac_f32_e32 v22, s3, v8
	s_branch .LBB139_20
.LBB139_19:                             ;   in Loop: Header=BB139_20 Depth=2
	s_or_b64 exec, exec, s[24:25]
	v_add_co_u32_e32 v6, vcc, 32, v6
	v_addc_co_u32_e32 v7, vcc, 0, v7, vcc
	v_cmp_ge_i64_e32 vcc, v[6:7], v[4:5]
	s_or_b64 s[16:17], vcc, s[16:17]
	s_andn2_b64 exec, exec, s[16:17]
	s_cbranch_execz .LBB139_16
.LBB139_20:                             ;   Parent Loop BB139_17 Depth=1
                                        ; =>  This Loop Header: Depth=2
                                        ;       Child Loop BB139_22 Depth 3
	v_lshlrev_b64 v[8:9], 3, v[6:7]
	v_mov_b32_e32 v10, s9
	v_add_co_u32_e32 v12, vcc, s8, v8
	v_addc_co_u32_e32 v13, vcc, v10, v9, vcc
	v_mov_b32_e32 v10, s11
	v_add_co_u32_e32 v8, vcc, s10, v8
	global_load_dwordx2 v[12:13], v[12:13], off
	v_addc_co_u32_e32 v9, vcc, v10, v9, vcc
	global_load_dwordx2 v[26:27], v[8:9], off
	s_mov_b64 s[24:25], 0
	s_waitcnt vmcnt(1)
	v_subrev_co_u32_e32 v8, vcc, s58, v12
	v_mul_lo_u32 v10, v8, s19
	s_waitcnt vmcnt(0)
	v_mul_f32_e64 v23, v27, -v22
	v_mul_f32_e32 v24, v21, v27
	v_subb_co_u32_e32 v9, vcc, v13, v20, vcc
	v_fmac_f32_e32 v23, v21, v26
	v_fmac_f32_e32 v24, v22, v26
	v_and_b32_e32 v10, 0x3ff, v10
	s_branch .LBB139_22
.LBB139_21:                             ;   in Loop: Header=BB139_22 Depth=3
	s_or_b64 exec, exec, s[26:27]
	s_xor_b64 s[26:27], s[30:31], -1
	s_and_b64 s[26:27], exec, s[26:27]
	s_or_b64 s[24:25], s[26:27], s[24:25]
	s_andn2_b64 exec, exec, s[24:25]
	s_cbranch_execz .LBB139_19
.LBB139_22:                             ;   Parent Loop BB139_17 Depth=1
                                        ;     Parent Loop BB139_20 Depth=2
                                        ; =>    This Inner Loop Header: Depth=3
	v_lshl_add_u32 v25, v10, 3, 0
	ds_read_b64 v[12:13], v25
                                        ; implicit-def: $sgpr30_sgpr31
	s_waitcnt lgkmcnt(0)
	v_cmp_ne_u64_e32 vcc, v[12:13], v[8:9]
	s_and_saveexec_b64 s[26:27], vcc
	s_xor_b64 s[26:27], exec, s[26:27]
	s_cbranch_execz .LBB139_30
; %bb.23:                               ;   in Loop: Header=BB139_22 Depth=3
	v_cmp_ne_u64_e32 vcc, s[48:49], v[12:13]
                                        ; implicit-def: $sgpr30_sgpr31
	s_and_saveexec_b64 s[44:45], vcc
	s_xor_b64 s[44:45], exec, s[44:45]
; %bb.24:                               ;   in Loop: Header=BB139_22 Depth=3
	v_add_u32_e32 v10, 1, v10
	v_and_b32_e32 v10, 0x3ff, v10
	s_mov_b64 s[30:31], -1
                                        ; implicit-def: $vgpr25
; %bb.25:                               ;   in Loop: Header=BB139_22 Depth=3
	s_andn2_saveexec_b64 s[44:45], s[44:45]
	s_cbranch_execz .LBB139_29
; %bb.26:                               ;   in Loop: Header=BB139_22 Depth=3
	v_pk_mov_b32 v[12:13], s[48:49], s[48:49] op_sel:[0,1]
	ds_cmpst_rtn_b64 v[12:13], v25, v[12:13], v[8:9]
	s_mov_b64 s[52:53], -1
	s_waitcnt lgkmcnt(0)
	v_cmp_eq_u64_e32 vcc, s[48:49], v[12:13]
	s_and_saveexec_b64 s[54:55], vcc
	s_cbranch_execz .LBB139_28
; %bb.27:                               ;   in Loop: Header=BB139_22 Depth=3
	ds_add_f32 v25, v23 offset:8192
	ds_add_f32 v25, v24 offset:8196
	s_xor_b64 s[52:53], exec, -1
.LBB139_28:                             ;   in Loop: Header=BB139_22 Depth=3
	s_or_b64 exec, exec, s[54:55]
	s_andn2_b64 s[30:31], s[30:31], exec
	s_and_b64 s[52:53], s[52:53], exec
	s_or_b64 s[30:31], s[30:31], s[52:53]
.LBB139_29:                             ;   in Loop: Header=BB139_22 Depth=3
	s_or_b64 exec, exec, s[44:45]
	s_and_b64 s[30:31], s[30:31], exec
                                        ; implicit-def: $vgpr25
.LBB139_30:                             ;   in Loop: Header=BB139_22 Depth=3
	s_andn2_saveexec_b64 s[26:27], s[26:27]
	s_cbranch_execz .LBB139_21
; %bb.31:                               ;   in Loop: Header=BB139_22 Depth=3
	ds_add_f32 v25, v23 offset:8192
	ds_add_f32 v25, v24 offset:8196
	s_andn2_b64 s[30:31], s[30:31], exec
	s_branch .LBB139_21
.LBB139_32:
	s_or_b64 exec, exec, s[4:5]
.LBB139_33:
	s_andn2_b64 vcc, exec, s[28:29]
	s_cbranch_vccnz .LBB139_50
; %bb.34:
	s_waitcnt lgkmcnt(0)
	s_lshl_b64 s[0:1], s[50:51], 3
	s_add_u32 s0, s14, s0
	s_addc_u32 s1, s15, s1
	s_load_dwordx4 s[8:11], s[0:1], 0x0
	v_subrev_co_u32_e32 v2, vcc, s47, v0
	v_subb_co_u32_e64 v3, s[2:3], 0, 0, vcc
	s_waitcnt lgkmcnt(0)
	s_sub_u32 s0, s10, s47
	v_mov_b32_e32 v4, s9
	v_add_co_u32_e32 v2, vcc, s8, v2
	s_subb_u32 s1, s11, 0
	v_addc_co_u32_e32 v3, vcc, v4, v3, vcc
	s_mov_b32 s6, 0
	v_cmp_gt_i64_e32 vcc, s[0:1], v[2:3]
	s_and_saveexec_b64 s[2:3], vcc
	s_cbranch_execz .LBB139_49
; %bb.35:
	s_mov_b32 s18, s47
	s_mov_b64 s[4:5], 0
	v_mov_b32_e32 v7, s37
	v_mov_b32_e32 v10, s6
	;; [unrolled: 1-line block ×3, first 2 shown]
	s_movk_i32 s19, 0x89
	s_branch .LBB139_37
.LBB139_36:                             ;   in Loop: Header=BB139_37 Depth=1
	s_or_b64 exec, exec, s[6:7]
	v_add_co_u32_e32 v2, vcc, 0x200, v2
	v_addc_co_u32_e32 v3, vcc, 0, v3, vcc
	v_cmp_le_i64_e32 vcc, s[0:1], v[2:3]
	s_or_b64 s[4:5], vcc, s[4:5]
	s_andn2_b64 exec, exec, s[4:5]
	s_cbranch_execz .LBB139_49
.LBB139_37:                             ; =>This Loop Header: Depth=1
                                        ;     Child Loop BB139_39 Depth 2
	v_lshlrev_b64 v[4:5], 3, v[2:3]
	v_add_co_u32_e32 v8, vcc, s36, v4
	v_addc_co_u32_e32 v9, vcc, v7, v5, vcc
	v_add_co_u32_e32 v4, vcc, s38, v4
	global_load_dwordx2 v[8:9], v[8:9], off
	v_addc_co_u32_e32 v5, vcc, v12, v5, vcc
	global_load_dwordx2 v[16:17], v[4:5], off
	s_mov_b64 s[6:7], 0
	s_waitcnt vmcnt(1)
	v_subrev_co_u32_e32 v4, vcc, s18, v8
	v_mul_lo_u32 v6, v4, s19
	s_waitcnt vmcnt(0)
	v_mul_f32_e64 v13, v17, -s56
	v_mul_f32_e32 v15, s33, v17
	v_subb_co_u32_e32 v5, vcc, v9, v10, vcc
	v_fmac_f32_e32 v13, s33, v16
	v_fmac_f32_e32 v15, s56, v16
	v_and_b32_e32 v6, 0x3ff, v6
	s_branch .LBB139_39
.LBB139_38:                             ;   in Loop: Header=BB139_39 Depth=2
	s_or_b64 exec, exec, s[8:9]
	s_xor_b64 s[8:9], s[10:11], -1
	s_and_b64 s[8:9], exec, s[8:9]
	s_or_b64 s[6:7], s[8:9], s[6:7]
	s_andn2_b64 exec, exec, s[6:7]
	s_cbranch_execz .LBB139_36
.LBB139_39:                             ;   Parent Loop BB139_37 Depth=1
                                        ; =>  This Inner Loop Header: Depth=2
	v_lshl_add_u32 v16, v6, 3, 0
	ds_read_b64 v[8:9], v16
                                        ; implicit-def: $sgpr10_sgpr11
	s_waitcnt lgkmcnt(0)
	v_cmp_ne_u64_e32 vcc, v[8:9], v[4:5]
	s_and_saveexec_b64 s[8:9], vcc
	s_xor_b64 s[8:9], exec, s[8:9]
	s_cbranch_execz .LBB139_47
; %bb.40:                               ;   in Loop: Header=BB139_39 Depth=2
	v_cmp_ne_u64_e32 vcc, s[48:49], v[8:9]
                                        ; implicit-def: $sgpr10_sgpr11
	s_and_saveexec_b64 s[12:13], vcc
	s_xor_b64 s[12:13], exec, s[12:13]
; %bb.41:                               ;   in Loop: Header=BB139_39 Depth=2
	v_add_u32_e32 v6, 1, v6
	v_and_b32_e32 v6, 0x3ff, v6
	s_mov_b64 s[10:11], -1
                                        ; implicit-def: $vgpr16
; %bb.42:                               ;   in Loop: Header=BB139_39 Depth=2
	s_andn2_saveexec_b64 s[12:13], s[12:13]
	s_cbranch_execz .LBB139_46
; %bb.43:                               ;   in Loop: Header=BB139_39 Depth=2
	v_pk_mov_b32 v[8:9], s[48:49], s[48:49] op_sel:[0,1]
	ds_cmpst_rtn_b64 v[8:9], v16, v[8:9], v[4:5]
	s_mov_b64 s[14:15], -1
	s_waitcnt lgkmcnt(0)
	v_cmp_eq_u64_e32 vcc, s[48:49], v[8:9]
	s_and_saveexec_b64 s[16:17], vcc
	s_cbranch_execz .LBB139_45
; %bb.44:                               ;   in Loop: Header=BB139_39 Depth=2
	ds_add_f32 v16, v13 offset:8192
	ds_add_f32 v16, v15 offset:8196
	s_xor_b64 s[14:15], exec, -1
.LBB139_45:                             ;   in Loop: Header=BB139_39 Depth=2
	s_or_b64 exec, exec, s[16:17]
	s_andn2_b64 s[10:11], s[10:11], exec
	s_and_b64 s[14:15], s[14:15], exec
	s_or_b64 s[10:11], s[10:11], s[14:15]
.LBB139_46:                             ;   in Loop: Header=BB139_39 Depth=2
	s_or_b64 exec, exec, s[12:13]
	s_and_b64 s[10:11], s[10:11], exec
                                        ; implicit-def: $vgpr16
.LBB139_47:                             ;   in Loop: Header=BB139_39 Depth=2
	s_andn2_saveexec_b64 s[8:9], s[8:9]
	s_cbranch_execz .LBB139_38
; %bb.48:                               ;   in Loop: Header=BB139_39 Depth=2
	ds_add_f32 v16, v13 offset:8192
	ds_add_f32 v16, v15 offset:8196
	s_andn2_b64 s[10:11], s[10:11], exec
	s_branch .LBB139_38
.LBB139_49:
	s_or_b64 exec, exec, s[2:3]
.LBB139_50:
	v_mbcnt_lo_u32_b32 v2, -1, 0
	v_mbcnt_hi_u32_b32 v2, -1, v2
	v_sub_u32_e32 v2, 63, v2
	s_movk_i32 s0, 0x1ff
	s_movk_i32 s6, 0x5f
	;; [unrolled: 1-line block ×14, first 2 shown]
	v_mov_b32_e32 v3, 0
	v_lshrrev_b64 v[4:5], v2, -1
	v_lshl_add_u32 v15, v11, 3, 0
	v_cmp_eq_u32_e64 s[0:1], s0, v0
	v_cmp_lt_u32_e64 s[2:3], 31, v0
	v_cmp_lt_u32_e64 s[4:5], 63, v0
	;; [unrolled: 1-line block ×15, first 2 shown]
	s_mov_b64 s[36:37], 0
	v_pk_mov_b32 v[6:7], 0, 0
	s_waitcnt lgkmcnt(0)
	s_barrier
	s_branch .LBB139_52
.LBB139_51:                             ;   in Loop: Header=BB139_52 Depth=1
	s_or_b64 exec, exec, s[38:39]
	s_waitcnt lgkmcnt(0)
	s_barrier
	ds_read_b64 v[8:9], v3 offset:16504
	v_add_u32_e32 v14, 0x1000, v14
	s_waitcnt lgkmcnt(0)
	v_add_co_u32_e32 v6, vcc, v8, v6
	v_addc_co_u32_e32 v7, vcc, v9, v7, vcc
	v_add_co_u32_e32 v1, vcc, 0x200, v1
	s_xor_b64 s[38:39], vcc, -1
	s_and_b64 s[38:39], exec, s[38:39]
	s_or_b64 s[36:37], s[38:39], s[36:37]
	s_andn2_b64 exec, exec, s[36:37]
	s_cbranch_execz .LBB139_86
.LBB139_52:                             ; =>This Inner Loop Header: Depth=1
	ds_read_b64 v[8:9], v14
	v_add_u32_e32 v2, 0x2000, v14
	ds_read2_b32 v[10:11], v2 offset1:1
	s_waitcnt lgkmcnt(0)
	s_barrier
	v_cmp_gt_i64_e32 vcc, s[48:49], v[8:9]
	v_and_b32_e32 v13, vcc_lo, v4
	s_bcnt1_i32_b64 s33, vcc
	v_and_b32_e32 v12, vcc_hi, v5
	v_bcnt_u32_b32 v13, v13, 0
	v_mov_b32_e32 v2, s33
	v_bcnt_u32_b32 v12, v12, v13
	ds_write_b64 v15, v[2:3] offset:16384
	s_waitcnt lgkmcnt(0)
	s_barrier
	s_and_saveexec_b64 s[38:39], s[2:3]
	s_cbranch_execnz .LBB139_69
; %bb.53:                               ;   in Loop: Header=BB139_52 Depth=1
	s_or_b64 exec, exec, s[38:39]
	s_and_saveexec_b64 s[38:39], s[4:5]
	s_cbranch_execnz .LBB139_70
.LBB139_54:                             ;   in Loop: Header=BB139_52 Depth=1
	s_or_b64 exec, exec, s[38:39]
	s_and_saveexec_b64 s[38:39], s[6:7]
	s_cbranch_execnz .LBB139_71
.LBB139_55:                             ;   in Loop: Header=BB139_52 Depth=1
	s_or_b64 exec, exec, s[38:39]
	s_and_saveexec_b64 s[38:39], s[8:9]
	s_cbranch_execnz .LBB139_72
.LBB139_56:                             ;   in Loop: Header=BB139_52 Depth=1
	s_or_b64 exec, exec, s[38:39]
	s_and_saveexec_b64 s[38:39], s[10:11]
	s_cbranch_execnz .LBB139_73
.LBB139_57:                             ;   in Loop: Header=BB139_52 Depth=1
	s_or_b64 exec, exec, s[38:39]
	s_and_saveexec_b64 s[38:39], s[12:13]
	s_cbranch_execnz .LBB139_74
.LBB139_58:                             ;   in Loop: Header=BB139_52 Depth=1
	s_or_b64 exec, exec, s[38:39]
	s_and_saveexec_b64 s[38:39], s[14:15]
	s_cbranch_execnz .LBB139_75
.LBB139_59:                             ;   in Loop: Header=BB139_52 Depth=1
	s_or_b64 exec, exec, s[38:39]
	s_and_saveexec_b64 s[38:39], s[16:17]
	s_cbranch_execnz .LBB139_76
.LBB139_60:                             ;   in Loop: Header=BB139_52 Depth=1
	s_or_b64 exec, exec, s[38:39]
	s_and_saveexec_b64 s[38:39], s[18:19]
	s_cbranch_execnz .LBB139_77
.LBB139_61:                             ;   in Loop: Header=BB139_52 Depth=1
	s_or_b64 exec, exec, s[38:39]
	s_and_saveexec_b64 s[38:39], s[20:21]
	s_cbranch_execnz .LBB139_78
.LBB139_62:                             ;   in Loop: Header=BB139_52 Depth=1
	s_or_b64 exec, exec, s[38:39]
	s_and_saveexec_b64 s[38:39], s[22:23]
	s_cbranch_execnz .LBB139_79
.LBB139_63:                             ;   in Loop: Header=BB139_52 Depth=1
	s_or_b64 exec, exec, s[38:39]
	s_and_saveexec_b64 s[38:39], s[24:25]
	s_cbranch_execnz .LBB139_80
.LBB139_64:                             ;   in Loop: Header=BB139_52 Depth=1
	s_or_b64 exec, exec, s[38:39]
	s_and_saveexec_b64 s[38:39], s[26:27]
	s_cbranch_execnz .LBB139_81
.LBB139_65:                             ;   in Loop: Header=BB139_52 Depth=1
	s_or_b64 exec, exec, s[38:39]
	s_and_saveexec_b64 s[38:39], s[28:29]
	s_cbranch_execnz .LBB139_82
.LBB139_66:                             ;   in Loop: Header=BB139_52 Depth=1
	s_or_b64 exec, exec, s[38:39]
	s_and_saveexec_b64 s[38:39], s[30:31]
	s_cbranch_execnz .LBB139_83
.LBB139_67:                             ;   in Loop: Header=BB139_52 Depth=1
	s_or_b64 exec, exec, s[38:39]
	v_ashrrev_i32_e32 v13, 31, v12
	s_and_saveexec_b64 s[38:39], vcc
	s_cbranch_execnz .LBB139_84
.LBB139_68:                             ;   in Loop: Header=BB139_52 Depth=1
	s_or_b64 exec, exec, s[38:39]
	s_and_saveexec_b64 s[38:39], s[0:1]
	s_cbranch_execz .LBB139_51
	s_branch .LBB139_85
.LBB139_69:                             ;   in Loop: Header=BB139_52 Depth=1
	ds_read_b32 v2, v3 offset:16384
	s_waitcnt lgkmcnt(0)
	v_add_u32_e32 v12, v2, v12
	s_or_b64 exec, exec, s[38:39]
	s_and_saveexec_b64 s[38:39], s[4:5]
	s_cbranch_execz .LBB139_54
.LBB139_70:                             ;   in Loop: Header=BB139_52 Depth=1
	ds_read_b32 v2, v3 offset:16392
	s_waitcnt lgkmcnt(0)
	v_add_u32_e32 v12, v12, v2
	s_or_b64 exec, exec, s[38:39]
	s_and_saveexec_b64 s[38:39], s[6:7]
	s_cbranch_execz .LBB139_55
.LBB139_71:                             ;   in Loop: Header=BB139_52 Depth=1
	ds_read_b32 v2, v3 offset:16400
	s_waitcnt lgkmcnt(0)
	v_add_u32_e32 v12, v12, v2
	s_or_b64 exec, exec, s[38:39]
	s_and_saveexec_b64 s[38:39], s[8:9]
	s_cbranch_execz .LBB139_56
.LBB139_72:                             ;   in Loop: Header=BB139_52 Depth=1
	ds_read_b32 v2, v3 offset:16408
	s_waitcnt lgkmcnt(0)
	v_add_u32_e32 v12, v12, v2
	s_or_b64 exec, exec, s[38:39]
	s_and_saveexec_b64 s[38:39], s[10:11]
	s_cbranch_execz .LBB139_57
.LBB139_73:                             ;   in Loop: Header=BB139_52 Depth=1
	ds_read_b32 v2, v3 offset:16416
	s_waitcnt lgkmcnt(0)
	v_add_u32_e32 v12, v12, v2
	s_or_b64 exec, exec, s[38:39]
	s_and_saveexec_b64 s[38:39], s[12:13]
	s_cbranch_execz .LBB139_58
.LBB139_74:                             ;   in Loop: Header=BB139_52 Depth=1
	ds_read_b32 v2, v3 offset:16424
	s_waitcnt lgkmcnt(0)
	v_add_u32_e32 v12, v12, v2
	s_or_b64 exec, exec, s[38:39]
	s_and_saveexec_b64 s[38:39], s[14:15]
	s_cbranch_execz .LBB139_59
.LBB139_75:                             ;   in Loop: Header=BB139_52 Depth=1
	ds_read_b32 v2, v3 offset:16432
	s_waitcnt lgkmcnt(0)
	v_add_u32_e32 v12, v12, v2
	s_or_b64 exec, exec, s[38:39]
	s_and_saveexec_b64 s[38:39], s[16:17]
	s_cbranch_execz .LBB139_60
.LBB139_76:                             ;   in Loop: Header=BB139_52 Depth=1
	ds_read_b32 v2, v3 offset:16440
	s_waitcnt lgkmcnt(0)
	v_add_u32_e32 v12, v12, v2
	s_or_b64 exec, exec, s[38:39]
	s_and_saveexec_b64 s[38:39], s[18:19]
	s_cbranch_execz .LBB139_61
.LBB139_77:                             ;   in Loop: Header=BB139_52 Depth=1
	ds_read_b32 v2, v3 offset:16448
	s_waitcnt lgkmcnt(0)
	v_add_u32_e32 v12, v12, v2
	s_or_b64 exec, exec, s[38:39]
	s_and_saveexec_b64 s[38:39], s[20:21]
	s_cbranch_execz .LBB139_62
.LBB139_78:                             ;   in Loop: Header=BB139_52 Depth=1
	ds_read_b32 v2, v3 offset:16456
	s_waitcnt lgkmcnt(0)
	v_add_u32_e32 v12, v12, v2
	s_or_b64 exec, exec, s[38:39]
	s_and_saveexec_b64 s[38:39], s[22:23]
	s_cbranch_execz .LBB139_63
.LBB139_79:                             ;   in Loop: Header=BB139_52 Depth=1
	ds_read_b32 v2, v3 offset:16464
	s_waitcnt lgkmcnt(0)
	v_add_u32_e32 v12, v12, v2
	s_or_b64 exec, exec, s[38:39]
	s_and_saveexec_b64 s[38:39], s[24:25]
	s_cbranch_execz .LBB139_64
.LBB139_80:                             ;   in Loop: Header=BB139_52 Depth=1
	ds_read_b32 v2, v3 offset:16472
	s_waitcnt lgkmcnt(0)
	v_add_u32_e32 v12, v12, v2
	s_or_b64 exec, exec, s[38:39]
	s_and_saveexec_b64 s[38:39], s[26:27]
	s_cbranch_execz .LBB139_65
.LBB139_81:                             ;   in Loop: Header=BB139_52 Depth=1
	ds_read_b32 v2, v3 offset:16480
	s_waitcnt lgkmcnt(0)
	v_add_u32_e32 v12, v12, v2
	s_or_b64 exec, exec, s[38:39]
	s_and_saveexec_b64 s[38:39], s[28:29]
	s_cbranch_execz .LBB139_66
.LBB139_82:                             ;   in Loop: Header=BB139_52 Depth=1
	ds_read_b32 v2, v3 offset:16488
	s_waitcnt lgkmcnt(0)
	v_add_u32_e32 v12, v12, v2
	s_or_b64 exec, exec, s[38:39]
	s_and_saveexec_b64 s[38:39], s[30:31]
	s_cbranch_execz .LBB139_67
.LBB139_83:                             ;   in Loop: Header=BB139_52 Depth=1
	ds_read_b32 v2, v3 offset:16496
	s_waitcnt lgkmcnt(0)
	v_add_u32_e32 v12, v12, v2
	s_or_b64 exec, exec, s[38:39]
	v_ashrrev_i32_e32 v13, 31, v12
	s_and_saveexec_b64 s[38:39], vcc
	s_cbranch_execz .LBB139_68
.LBB139_84:                             ;   in Loop: Header=BB139_52 Depth=1
	v_add3_u32 v2, v6, -1, v12
	v_lshl_add_u32 v2, v2, 3, 0
	v_add_u32_e32 v16, 0x2000, v2
	ds_write_b64 v2, v[8:9]
	ds_write2_b32 v16, v10, v11 offset1:1
	s_or_b64 exec, exec, s[38:39]
	s_and_saveexec_b64 s[38:39], s[0:1]
	s_cbranch_execz .LBB139_51
.LBB139_85:                             ;   in Loop: Header=BB139_52 Depth=1
	ds_write_b64 v3, v[12:13] offset:16504
	s_branch .LBB139_51
.LBB139_86:
	s_or_b64 exec, exec, s[36:37]
	s_lshl_b64 s[0:1], s[50:51], 3
	s_add_u32 s0, s40, s0
	s_addc_u32 s1, s41, s1
	s_load_dwordx4 s[0:3], s[0:1], 0x0
	v_mov_b32_e32 v1, 0
	s_waitcnt lgkmcnt(0)
	s_sub_u32 s4, s2, s0
	s_subb_u32 s5, s3, s1
	v_cmp_gt_i64_e32 vcc, s[4:5], v[0:1]
	s_and_saveexec_b64 s[6:7], vcc
	s_cbranch_execz .LBB139_96
; %bb.87:
	s_sub_u32 s6, s0, s46
	s_subb_u32 s7, s1, 0
	s_and_b32 s8, s4, 7
	s_sub_u32 s0, s0, s2
	s_mov_b32 s16, 0
	s_subb_u32 s1, s1, s3
	s_mov_b32 s9, s16
	s_and_b32 s2, s4, -8
	v_cmp_lt_u64_e64 s[0:1], s[0:1], -7
	s_cmp_lg_u64 s[8:9], 0
	v_cndmask_b32_e64 v2, 0, 1, s[0:1]
	s_mov_b32 s3, s5
	s_mov_b64 s[10:11], 0
	s_cselect_b64 s[12:13], -1, 0
	v_cmp_ne_u32_e64 s[0:1], 1, v2
	s_branch .LBB139_89
.LBB139_88:                             ;   in Loop: Header=BB139_89 Depth=1
	v_mov_b32_e32 v8, s16
	s_waitcnt lgkmcnt(1)
	v_add_co_u32_e32 v4, vcc, s46, v4
	v_addc_co_u32_e32 v5, vcc, v5, v8, vcc
	v_lshlrev_b64 v[6:7], 3, v[6:7]
	v_mov_b32_e32 v9, s43
	v_add_co_u32_e32 v8, vcc, s42, v6
	v_addc_co_u32_e32 v9, vcc, v9, v7, vcc
	global_store_dwordx2 v[8:9], v[4:5], off
	v_mov_b32_e32 v5, s35
	v_add_co_u32_e32 v4, vcc, s34, v6
	v_addc_co_u32_e32 v5, vcc, v5, v7, vcc
	v_add_co_u32_e32 v0, vcc, 0x200, v0
	v_addc_co_u32_e32 v1, vcc, 0, v1, vcc
	v_cmp_le_i64_e32 vcc, s[4:5], v[0:1]
	s_or_b64 s[10:11], vcc, s[10:11]
	s_waitcnt lgkmcnt(0)
	global_store_dwordx2 v[4:5], v[2:3], off
	s_andn2_b64 exec, exec, s[10:11]
	s_cbranch_execz .LBB139_96
.LBB139_89:                             ; =>This Loop Header: Depth=1
                                        ;     Child Loop BB139_91 Depth 2
                                        ;     Child Loop BB139_95 Depth 2
	v_lshl_add_u32 v2, v0, 3, 0
	v_add_u32_e32 v3, 0x2000, v2
	ds_read_b64 v[4:5], v2
	ds_read2_b32 v[2:3], v3 offset1:1
	s_and_b64 vcc, exec, s[0:1]
	v_pk_mov_b32 v[6:7], s[6:7], s[6:7] op_sel:[0,1]
	s_mov_b64 s[14:15], 0
	s_cbranch_vccnz .LBB139_93
; %bb.90:                               ;   in Loop: Header=BB139_89 Depth=1
	s_mov_b32 s17, 0
	v_pk_mov_b32 v[6:7], s[6:7], s[6:7] op_sel:[0,1]
.LBB139_91:                             ;   Parent Loop BB139_89 Depth=1
                                        ; =>  This Inner Loop Header: Depth=2
	v_mov_b32_e32 v20, s17
	ds_read2_b64 v[8:11], v20 offset1:1
	ds_read2_b64 v[12:15], v20 offset0:2 offset1:3
	ds_read2_b64 v[16:19], v20 offset0:4 offset1:5
	;; [unrolled: 1-line block ×3, first 2 shown]
	s_add_u32 s14, s14, 8
	s_waitcnt lgkmcnt(3)
	v_cmp_gt_i64_e32 vcc, v[4:5], v[8:9]
	v_cndmask_b32_e64 v8, 0, 1, vcc
	v_cmp_gt_i64_e32 vcc, v[4:5], v[10:11]
	v_cndmask_b32_e64 v9, 0, 1, vcc
	s_waitcnt lgkmcnt(2)
	v_cmp_gt_i64_e32 vcc, v[4:5], v[12:13]
	v_cndmask_b32_e64 v10, 0, 1, vcc
	v_cmp_gt_i64_e32 vcc, v[4:5], v[14:15]
	v_cndmask_b32_e64 v11, 0, 1, vcc
	;; [unrolled: 5-line block ×4, first 2 shown]
	v_add_co_u32_e32 v6, vcc, v6, v8
	v_addc_co_u32_e32 v7, vcc, 0, v7, vcc
	v_add_co_u32_e32 v6, vcc, v6, v9
	v_addc_co_u32_e32 v7, vcc, 0, v7, vcc
	;; [unrolled: 2-line block ×7, first 2 shown]
	s_addc_u32 s15, s15, 0
	s_add_i32 s17, s17, 64
	v_add_co_u32_e32 v6, vcc, v6, v15
	s_cmp_eq_u64 s[2:3], s[14:15]
	v_addc_co_u32_e32 v7, vcc, 0, v7, vcc
	s_cbranch_scc0 .LBB139_91
; %bb.92:                               ;   in Loop: Header=BB139_89 Depth=1
	s_mov_b64 s[14:15], s[2:3]
.LBB139_93:                             ;   in Loop: Header=BB139_89 Depth=1
	s_andn2_b64 vcc, exec, s[12:13]
	s_cbranch_vccnz .LBB139_88
; %bb.94:                               ;   in Loop: Header=BB139_89 Depth=1
	s_lshl_b32 s14, s14, 3
	s_add_i32 s17, s14, 0
	s_mov_b64 s[14:15], s[8:9]
.LBB139_95:                             ;   Parent Loop BB139_89 Depth=1
                                        ; =>  This Inner Loop Header: Depth=2
	v_mov_b32_e32 v8, s17
	ds_read_b64 v[8:9], v8
	s_add_i32 s17, s17, 8
	s_add_u32 s14, s14, -1
	s_addc_u32 s15, s15, -1
	s_cmp_lg_u64 s[14:15], 0
	s_waitcnt lgkmcnt(0)
	v_cmp_gt_i64_e32 vcc, v[4:5], v[8:9]
	v_cndmask_b32_e64 v8, 0, 1, vcc
	v_add_co_u32_e32 v6, vcc, v6, v8
	v_addc_co_u32_e32 v7, vcc, 0, v7, vcc
	s_cbranch_scc1 .LBB139_95
	s_branch .LBB139_88
.LBB139_96:
	s_endpgm
	.section	.rodata,"a",@progbits
	.p2align	6, 0x0
	.amdhsa_kernel _ZN9rocsparseL26csrgemm_fill_block_per_rowILj512ELj32ELj1024ELj137ELj32Ell21rocsparse_complex_numIfEEEvT5_PKS3_S5_NS_24const_host_device_scalarIT6_EEPKT4_S5_PKS7_SB_S5_SD_S8_SB_S5_SD_SB_PS3_PS7_21rocsparse_index_base_SG_SG_SG_bbb
		.amdhsa_group_segment_fixed_size 0
		.amdhsa_private_segment_fixed_size 0
		.amdhsa_kernarg_size 156
		.amdhsa_user_sgpr_count 6
		.amdhsa_user_sgpr_private_segment_buffer 1
		.amdhsa_user_sgpr_dispatch_ptr 0
		.amdhsa_user_sgpr_queue_ptr 0
		.amdhsa_user_sgpr_kernarg_segment_ptr 1
		.amdhsa_user_sgpr_dispatch_id 0
		.amdhsa_user_sgpr_flat_scratch_init 0
		.amdhsa_user_sgpr_kernarg_preload_length 0
		.amdhsa_user_sgpr_kernarg_preload_offset 0
		.amdhsa_user_sgpr_private_segment_size 0
		.amdhsa_uses_dynamic_stack 0
		.amdhsa_system_sgpr_private_segment_wavefront_offset 0
		.amdhsa_system_sgpr_workgroup_id_x 1
		.amdhsa_system_sgpr_workgroup_id_y 0
		.amdhsa_system_sgpr_workgroup_id_z 0
		.amdhsa_system_sgpr_workgroup_info 0
		.amdhsa_system_vgpr_workitem_id 0
		.amdhsa_next_free_vgpr 28
		.amdhsa_next_free_sgpr 59
		.amdhsa_accum_offset 28
		.amdhsa_reserve_vcc 1
		.amdhsa_reserve_flat_scratch 0
		.amdhsa_float_round_mode_32 0
		.amdhsa_float_round_mode_16_64 0
		.amdhsa_float_denorm_mode_32 3
		.amdhsa_float_denorm_mode_16_64 3
		.amdhsa_dx10_clamp 1
		.amdhsa_ieee_mode 1
		.amdhsa_fp16_overflow 0
		.amdhsa_tg_split 0
		.amdhsa_exception_fp_ieee_invalid_op 0
		.amdhsa_exception_fp_denorm_src 0
		.amdhsa_exception_fp_ieee_div_zero 0
		.amdhsa_exception_fp_ieee_overflow 0
		.amdhsa_exception_fp_ieee_underflow 0
		.amdhsa_exception_fp_ieee_inexact 0
		.amdhsa_exception_int_div_zero 0
	.end_amdhsa_kernel
	.section	.text._ZN9rocsparseL26csrgemm_fill_block_per_rowILj512ELj32ELj1024ELj137ELj32Ell21rocsparse_complex_numIfEEEvT5_PKS3_S5_NS_24const_host_device_scalarIT6_EEPKT4_S5_PKS7_SB_S5_SD_S8_SB_S5_SD_SB_PS3_PS7_21rocsparse_index_base_SG_SG_SG_bbb,"axG",@progbits,_ZN9rocsparseL26csrgemm_fill_block_per_rowILj512ELj32ELj1024ELj137ELj32Ell21rocsparse_complex_numIfEEEvT5_PKS3_S5_NS_24const_host_device_scalarIT6_EEPKT4_S5_PKS7_SB_S5_SD_S8_SB_S5_SD_SB_PS3_PS7_21rocsparse_index_base_SG_SG_SG_bbb,comdat
.Lfunc_end139:
	.size	_ZN9rocsparseL26csrgemm_fill_block_per_rowILj512ELj32ELj1024ELj137ELj32Ell21rocsparse_complex_numIfEEEvT5_PKS3_S5_NS_24const_host_device_scalarIT6_EEPKT4_S5_PKS7_SB_S5_SD_S8_SB_S5_SD_SB_PS3_PS7_21rocsparse_index_base_SG_SG_SG_bbb, .Lfunc_end139-_ZN9rocsparseL26csrgemm_fill_block_per_rowILj512ELj32ELj1024ELj137ELj32Ell21rocsparse_complex_numIfEEEvT5_PKS3_S5_NS_24const_host_device_scalarIT6_EEPKT4_S5_PKS7_SB_S5_SD_S8_SB_S5_SD_SB_PS3_PS7_21rocsparse_index_base_SG_SG_SG_bbb
                                        ; -- End function
	.section	.AMDGPU.csdata,"",@progbits
; Kernel info:
; codeLenInByte = 3228
; NumSgprs: 63
; NumVgprs: 28
; NumAgprs: 0
; TotalNumVgprs: 28
; ScratchSize: 0
; MemoryBound: 0
; FloatMode: 240
; IeeeMode: 1
; LDSByteSize: 0 bytes/workgroup (compile time only)
; SGPRBlocks: 7
; VGPRBlocks: 3
; NumSGPRsForWavesPerEU: 63
; NumVGPRsForWavesPerEU: 28
; AccumOffset: 28
; Occupancy: 8
; WaveLimiterHint : 1
; COMPUTE_PGM_RSRC2:SCRATCH_EN: 0
; COMPUTE_PGM_RSRC2:USER_SGPR: 6
; COMPUTE_PGM_RSRC2:TRAP_HANDLER: 0
; COMPUTE_PGM_RSRC2:TGID_X_EN: 1
; COMPUTE_PGM_RSRC2:TGID_Y_EN: 0
; COMPUTE_PGM_RSRC2:TGID_Z_EN: 0
; COMPUTE_PGM_RSRC2:TIDIG_COMP_CNT: 0
; COMPUTE_PGM_RSRC3_GFX90A:ACCUM_OFFSET: 6
; COMPUTE_PGM_RSRC3_GFX90A:TG_SPLIT: 0
	.section	.text._ZN9rocsparseL26csrgemm_fill_block_per_rowILj512ELj32ELj1024ELj137ELj64Ell21rocsparse_complex_numIfEEEvT5_PKS3_S5_NS_24const_host_device_scalarIT6_EEPKT4_S5_PKS7_SB_S5_SD_S8_SB_S5_SD_SB_PS3_PS7_21rocsparse_index_base_SG_SG_SG_bbb,"axG",@progbits,_ZN9rocsparseL26csrgemm_fill_block_per_rowILj512ELj32ELj1024ELj137ELj64Ell21rocsparse_complex_numIfEEEvT5_PKS3_S5_NS_24const_host_device_scalarIT6_EEPKT4_S5_PKS7_SB_S5_SD_S8_SB_S5_SD_SB_PS3_PS7_21rocsparse_index_base_SG_SG_SG_bbb,comdat
	.globl	_ZN9rocsparseL26csrgemm_fill_block_per_rowILj512ELj32ELj1024ELj137ELj64Ell21rocsparse_complex_numIfEEEvT5_PKS3_S5_NS_24const_host_device_scalarIT6_EEPKT4_S5_PKS7_SB_S5_SD_S8_SB_S5_SD_SB_PS3_PS7_21rocsparse_index_base_SG_SG_SG_bbb ; -- Begin function _ZN9rocsparseL26csrgemm_fill_block_per_rowILj512ELj32ELj1024ELj137ELj64Ell21rocsparse_complex_numIfEEEvT5_PKS3_S5_NS_24const_host_device_scalarIT6_EEPKT4_S5_PKS7_SB_S5_SD_S8_SB_S5_SD_SB_PS3_PS7_21rocsparse_index_base_SG_SG_SG_bbb
	.p2align	8
	.type	_ZN9rocsparseL26csrgemm_fill_block_per_rowILj512ELj32ELj1024ELj137ELj64Ell21rocsparse_complex_numIfEEEvT5_PKS3_S5_NS_24const_host_device_scalarIT6_EEPKT4_S5_PKS7_SB_S5_SD_S8_SB_S5_SD_SB_PS3_PS7_21rocsparse_index_base_SG_SG_SG_bbb,@function
_ZN9rocsparseL26csrgemm_fill_block_per_rowILj512ELj32ELj1024ELj137ELj64Ell21rocsparse_complex_numIfEEEvT5_PKS3_S5_NS_24const_host_device_scalarIT6_EEPKT4_S5_PKS7_SB_S5_SD_S8_SB_S5_SD_SB_PS3_PS7_21rocsparse_index_base_SG_SG_SG_bbb: ; @_ZN9rocsparseL26csrgemm_fill_block_per_rowILj512ELj32ELj1024ELj137ELj64Ell21rocsparse_complex_numIfEEEvT5_PKS3_S5_NS_24const_host_device_scalarIT6_EEPKT4_S5_PKS7_SB_S5_SD_S8_SB_S5_SD_SB_PS3_PS7_21rocsparse_index_base_SG_SG_SG_bbb
; %bb.0:
	s_load_dwordx8 s[12:19], s[4:5], 0x60
	s_load_dwordx8 s[20:27], s[4:5], 0x40
	s_load_dword s7, s[4:5], 0x98
	s_load_dwordx4 s[8:11], s[4:5], 0x8
	s_load_dwordx8 s[36:43], s[4:5], 0x20
	s_load_dwordx2 s[34:35], s[4:5], 0x80
	s_load_dwordx4 s[28:31], s[4:5], 0x88
	s_waitcnt lgkmcnt(0)
	s_bitcmp1_b32 s7, 0
	s_cselect_b64 s[48:49], -1, 0
	s_bitcmp1_b32 s7, 16
	s_cselect_b64 s[0:1], -1, 0
	s_xor_b64 s[0:1], s[0:1], -1
	v_cndmask_b32_e64 v1, 0, 1, s[0:1]
	s_mov_b32 s3, 0
	s_bitcmp0_b32 s7, 0
	v_cmp_ne_u32_e64 s[0:1], 1, v1
	s_mov_b32 s57, 0
	s_cbranch_scc1 .LBB140_5
; %bb.1:
	s_load_dwordx2 s[2:3], s[4:5], 0x18
	s_and_b64 vcc, exec, s[0:1]
	s_waitcnt lgkmcnt(0)
	s_mov_b32 s57, s2
	s_cbranch_vccnz .LBB140_3
; %bb.2:
	s_load_dword s57, s[2:3], 0x0
.LBB140_3:
	s_and_b64 vcc, exec, s[0:1]
	s_cbranch_vccnz .LBB140_5
; %bb.4:
	s_load_dword s3, s[2:3], 0x4
.LBB140_5:
	s_bitcmp1_b32 s7, 8
	s_cselect_b64 s[46:47], -1, 0
	s_bfe_u32 s2, s7, 0x10008
	s_mov_b32 s56, 0
	s_cmp_eq_u32 s2, 0
	s_mov_b32 s33, 0
	s_cbranch_scc1 .LBB140_11
; %bb.6:
	s_and_b64 vcc, exec, s[0:1]
	s_mov_b32 s33, s24
	s_cbranch_vccnz .LBB140_8
; %bb.7:
	s_load_dword s33, s[24:25], 0x0
.LBB140_8:
	s_and_b64 vcc, exec, s[0:1]
	s_cbranch_vccnz .LBB140_10
; %bb.9:
	s_load_dword s25, s[24:25], 0x4
.LBB140_10:
	s_waitcnt lgkmcnt(0)
	s_mov_b32 s56, s25
.LBB140_11:
	s_load_dwordx2 s[24:25], s[4:5], 0x0
	v_or_b32_e32 v1, 0xfffffe00, v0
	v_lshl_add_u32 v14, v0, 3, 0
	s_mov_b64 s[0:1], 0
	v_mov_b32_e32 v4, 0
	s_waitcnt lgkmcnt(0)
	v_pk_mov_b32 v[2:3], s[24:25], s[24:25] op_sel:[0,1]
	v_mov_b32_e32 v5, v14
	v_mov_b32_e32 v6, v1
.LBB140_12:                             ; =>This Inner Loop Header: Depth=1
	v_add_co_u32_e32 v6, vcc, 0x200, v6
	s_xor_b64 s[4:5], vcc, -1
	s_and_b64 s[4:5], exec, s[4:5]
	ds_write_b64 v5, v[2:3]
	v_add_u32_e32 v7, 0x2000, v5
	v_add_u32_e32 v5, 0x1000, v5
	s_or_b64 s[0:1], s[4:5], s[0:1]
	ds_write2_b32 v7, v4, v4 offset1:1
	s_andn2_b64 exec, exec, s[0:1]
	s_cbranch_execnz .LBB140_12
; %bb.13:
	s_or_b64 exec, exec, s[0:1]
	s_waitcnt lgkmcnt(0)
	s_barrier
	s_load_dwordx2 s[0:1], s[8:9], 0x0
	s_mov_b32 s7, 0
	s_waitcnt lgkmcnt(0)
	s_lshl_b64 s[0:1], s[0:1], 3
	s_add_u32 s2, s10, s0
	s_addc_u32 s4, s11, s1
	s_lshl_b64 s[0:1], s[6:7], 3
	s_add_u32 s0, s2, s0
	s_addc_u32 s1, s4, s1
	s_load_dwordx2 s[44:45], s[0:1], 0x0
	s_and_b64 vcc, exec, s[48:49]
	s_cbranch_vccz .LBB140_33
; %bb.14:
	s_waitcnt lgkmcnt(0)
	s_lshl_b64 s[0:1], s[44:45], 3
	s_add_u32 s0, s36, s0
	s_addc_u32 s1, s37, s1
	s_load_dwordx4 s[8:11], s[0:1], 0x0
	v_lshrrev_b32_e32 v2, 5, v0
	v_subrev_co_u32_e32 v2, vcc, s28, v2
	v_subb_co_u32_e64 v3, s[4:5], 0, 0, vcc
	s_waitcnt lgkmcnt(0)
	s_sub_u32 s0, s10, s28
	v_mov_b32_e32 v4, s9
	v_add_co_u32_e32 v2, vcc, s8, v2
	s_subb_u32 s1, s11, 0
	v_addc_co_u32_e32 v3, vcc, v4, v3, vcc
	v_cmp_gt_i64_e32 vcc, s[0:1], v[2:3]
	s_and_saveexec_b64 s[4:5], vcc
	s_cbranch_execz .LBB140_32
; %bb.15:
	v_and_b32_e32 v4, 31, v0
	v_subrev_co_u32_e32 v11, vcc, s29, v4
	s_mov_b32 s6, 0
	v_subb_co_u32_e64 v15, s[8:9], 0, 0, vcc
	s_mov_b32 s2, s28
	s_mov_b32 s58, s29
	s_mov_b64 s[8:9], 0
	v_mov_b32_e32 v16, s39
	v_mov_b32_e32 v17, s7
	;; [unrolled: 1-line block ×4, first 2 shown]
	s_movk_i32 s39, 0x89
	s_branch .LBB140_17
.LBB140_16:                             ;   in Loop: Header=BB140_17 Depth=1
	s_or_b64 exec, exec, s[6:7]
	v_add_co_u32_e32 v2, vcc, 16, v2
	v_addc_co_u32_e32 v3, vcc, 0, v3, vcc
	v_cmp_le_i64_e32 vcc, s[0:1], v[2:3]
	s_or_b64 s[8:9], vcc, s[8:9]
	s_andn2_b64 exec, exec, s[8:9]
	s_cbranch_execz .LBB140_32
.LBB140_17:                             ; =>This Loop Header: Depth=1
                                        ;     Child Loop BB140_20 Depth 2
                                        ;       Child Loop BB140_22 Depth 3
	v_lshlrev_b64 v[8:9], 3, v[2:3]
	v_add_co_u32_e32 v4, vcc, s38, v8
	v_addc_co_u32_e32 v5, vcc, v16, v9, vcc
	global_load_dwordx2 v[4:5], v[4:5], off
	s_waitcnt vmcnt(0)
	v_subrev_co_u32_e32 v4, vcc, s2, v4
	v_subb_co_u32_e32 v5, vcc, v5, v17, vcc
	v_lshlrev_b64 v[4:5], 3, v[4:5]
	v_add_co_u32_e32 v4, vcc, s42, v4
	v_addc_co_u32_e32 v5, vcc, v18, v5, vcc
	global_load_dwordx4 v[20:23], v[4:5], off
	s_waitcnt vmcnt(0)
	v_subrev_co_u32_e32 v4, vcc, s58, v22
	v_subb_co_u32_e32 v5, vcc, v23, v19, vcc
	v_add_co_u32_e32 v6, vcc, v20, v11
	v_addc_co_u32_e32 v7, vcc, v21, v15, vcc
	v_cmp_lt_i64_e32 vcc, v[6:7], v[4:5]
	s_and_saveexec_b64 s[6:7], vcc
	s_cbranch_execz .LBB140_16
; %bb.18:                               ;   in Loop: Header=BB140_17 Depth=1
	v_mov_b32_e32 v10, s41
	v_add_co_u32_e32 v8, vcc, s40, v8
	v_addc_co_u32_e32 v9, vcc, v10, v9, vcc
	global_load_dwordx2 v[8:9], v[8:9], off
	s_mov_b64 s[10:11], 0
	s_waitcnt vmcnt(0)
	v_mul_f32_e64 v20, v9, -s3
	v_mul_f32_e32 v21, s57, v9
	v_fmac_f32_e32 v20, s57, v8
	v_fmac_f32_e32 v21, s3, v8
	s_branch .LBB140_20
.LBB140_19:                             ;   in Loop: Header=BB140_20 Depth=2
	s_or_b64 exec, exec, s[28:29]
	v_add_co_u32_e32 v6, vcc, 32, v6
	v_addc_co_u32_e32 v7, vcc, 0, v7, vcc
	v_cmp_ge_i64_e32 vcc, v[6:7], v[4:5]
	s_or_b64 s[10:11], vcc, s[10:11]
	s_andn2_b64 exec, exec, s[10:11]
	s_cbranch_execz .LBB140_16
.LBB140_20:                             ;   Parent Loop BB140_17 Depth=1
                                        ; =>  This Loop Header: Depth=2
                                        ;       Child Loop BB140_22 Depth 3
	v_lshlrev_b64 v[8:9], 3, v[6:7]
	v_mov_b32_e32 v10, s21
	v_add_co_u32_e32 v12, vcc, s20, v8
	v_addc_co_u32_e32 v13, vcc, v10, v9, vcc
	v_mov_b32_e32 v10, s23
	v_add_co_u32_e32 v8, vcc, s22, v8
	global_load_dwordx2 v[12:13], v[12:13], off
	v_addc_co_u32_e32 v9, vcc, v10, v9, vcc
	global_load_dwordx2 v[24:25], v[8:9], off
	s_mov_b64 s[28:29], 0
	s_waitcnt vmcnt(1)
	v_subrev_co_u32_e32 v8, vcc, s58, v12
	v_mul_lo_u32 v10, v8, s39
	s_waitcnt vmcnt(0)
	v_mul_f32_e64 v22, v25, -v21
	v_mul_f32_e32 v23, v20, v25
	v_subb_co_u32_e32 v9, vcc, v13, v19, vcc
	v_fmac_f32_e32 v22, v20, v24
	v_fmac_f32_e32 v23, v21, v24
	v_and_b32_e32 v10, 0x3ff, v10
	s_branch .LBB140_22
.LBB140_21:                             ;   in Loop: Header=BB140_22 Depth=3
	s_or_b64 exec, exec, s[36:37]
	s_xor_b64 s[36:37], s[48:49], -1
	s_and_b64 s[36:37], exec, s[36:37]
	s_or_b64 s[28:29], s[36:37], s[28:29]
	s_andn2_b64 exec, exec, s[28:29]
	s_cbranch_execz .LBB140_19
.LBB140_22:                             ;   Parent Loop BB140_17 Depth=1
                                        ;     Parent Loop BB140_20 Depth=2
                                        ; =>    This Inner Loop Header: Depth=3
	v_lshl_add_u32 v24, v10, 3, 0
	ds_read_b64 v[12:13], v24
                                        ; implicit-def: $sgpr48_sgpr49
	s_waitcnt lgkmcnt(0)
	v_cmp_ne_u64_e32 vcc, v[12:13], v[8:9]
	s_and_saveexec_b64 s[36:37], vcc
	s_xor_b64 s[36:37], exec, s[36:37]
	s_cbranch_execz .LBB140_30
; %bb.23:                               ;   in Loop: Header=BB140_22 Depth=3
	v_cmp_ne_u64_e32 vcc, s[24:25], v[12:13]
                                        ; implicit-def: $sgpr48_sgpr49
	s_and_saveexec_b64 s[50:51], vcc
	s_xor_b64 s[50:51], exec, s[50:51]
; %bb.24:                               ;   in Loop: Header=BB140_22 Depth=3
	v_add_u32_e32 v10, 1, v10
	v_and_b32_e32 v10, 0x3ff, v10
	s_mov_b64 s[48:49], -1
                                        ; implicit-def: $vgpr24
; %bb.25:                               ;   in Loop: Header=BB140_22 Depth=3
	s_andn2_saveexec_b64 s[50:51], s[50:51]
	s_cbranch_execz .LBB140_29
; %bb.26:                               ;   in Loop: Header=BB140_22 Depth=3
	v_pk_mov_b32 v[12:13], s[24:25], s[24:25] op_sel:[0,1]
	ds_cmpst_rtn_b64 v[12:13], v24, v[12:13], v[8:9]
	s_mov_b64 s[52:53], -1
	s_waitcnt lgkmcnt(0)
	v_cmp_eq_u64_e32 vcc, s[24:25], v[12:13]
	s_and_saveexec_b64 s[54:55], vcc
	s_cbranch_execz .LBB140_28
; %bb.27:                               ;   in Loop: Header=BB140_22 Depth=3
	ds_add_f32 v24, v22 offset:8192
	ds_add_f32 v24, v23 offset:8196
	s_xor_b64 s[52:53], exec, -1
.LBB140_28:                             ;   in Loop: Header=BB140_22 Depth=3
	s_or_b64 exec, exec, s[54:55]
	s_andn2_b64 s[48:49], s[48:49], exec
	s_and_b64 s[52:53], s[52:53], exec
	s_or_b64 s[48:49], s[48:49], s[52:53]
.LBB140_29:                             ;   in Loop: Header=BB140_22 Depth=3
	s_or_b64 exec, exec, s[50:51]
	s_and_b64 s[48:49], s[48:49], exec
                                        ; implicit-def: $vgpr24
.LBB140_30:                             ;   in Loop: Header=BB140_22 Depth=3
	s_andn2_saveexec_b64 s[36:37], s[36:37]
	s_cbranch_execz .LBB140_21
; %bb.31:                               ;   in Loop: Header=BB140_22 Depth=3
	ds_add_f32 v24, v22 offset:8192
	ds_add_f32 v24, v23 offset:8196
	s_andn2_b64 s[48:49], s[48:49], exec
	s_branch .LBB140_21
.LBB140_32:
	s_or_b64 exec, exec, s[4:5]
.LBB140_33:
	s_andn2_b64 vcc, exec, s[46:47]
	s_cbranch_vccnz .LBB140_50
; %bb.34:
	s_waitcnt lgkmcnt(0)
	s_lshl_b64 s[0:1], s[44:45], 3
	s_add_u32 s0, s26, s0
	s_addc_u32 s1, s27, s1
	s_load_dwordx4 s[8:11], s[0:1], 0x0
	v_subrev_co_u32_e32 v2, vcc, s31, v0
	v_subb_co_u32_e64 v3, s[2:3], 0, 0, vcc
	s_waitcnt lgkmcnt(0)
	s_sub_u32 s0, s10, s31
	v_mov_b32_e32 v4, s9
	v_add_co_u32_e32 v2, vcc, s8, v2
	s_subb_u32 s1, s11, 0
	v_addc_co_u32_e32 v3, vcc, v4, v3, vcc
	s_mov_b32 s6, 0
	v_cmp_gt_i64_e32 vcc, s[0:1], v[2:3]
	s_and_saveexec_b64 s[2:3], vcc
	s_cbranch_execz .LBB140_49
; %bb.35:
	s_mov_b32 s28, s31
	s_mov_b64 s[4:5], 0
	v_mov_b32_e32 v7, s13
	v_mov_b32_e32 v10, s6
	;; [unrolled: 1-line block ×3, first 2 shown]
	s_movk_i32 s13, 0x89
	s_branch .LBB140_37
.LBB140_36:                             ;   in Loop: Header=BB140_37 Depth=1
	s_or_b64 exec, exec, s[6:7]
	v_add_co_u32_e32 v2, vcc, 0x200, v2
	v_addc_co_u32_e32 v3, vcc, 0, v3, vcc
	v_cmp_le_i64_e32 vcc, s[0:1], v[2:3]
	s_or_b64 s[4:5], vcc, s[4:5]
	s_andn2_b64 exec, exec, s[4:5]
	s_cbranch_execz .LBB140_49
.LBB140_37:                             ; =>This Loop Header: Depth=1
                                        ;     Child Loop BB140_39 Depth 2
	v_lshlrev_b64 v[4:5], 3, v[2:3]
	v_add_co_u32_e32 v8, vcc, s12, v4
	v_addc_co_u32_e32 v9, vcc, v7, v5, vcc
	v_add_co_u32_e32 v4, vcc, s14, v4
	global_load_dwordx2 v[8:9], v[8:9], off
	v_addc_co_u32_e32 v5, vcc, v11, v5, vcc
	global_load_dwordx2 v[16:17], v[4:5], off
	s_mov_b64 s[6:7], 0
	s_waitcnt vmcnt(1)
	v_subrev_co_u32_e32 v4, vcc, s28, v8
	v_mul_lo_u32 v6, v4, s13
	s_waitcnt vmcnt(0)
	v_mul_f32_e64 v12, v17, -s56
	v_mul_f32_e32 v13, s33, v17
	v_subb_co_u32_e32 v5, vcc, v9, v10, vcc
	v_fmac_f32_e32 v12, s33, v16
	v_fmac_f32_e32 v13, s56, v16
	v_and_b32_e32 v6, 0x3ff, v6
	s_branch .LBB140_39
.LBB140_38:                             ;   in Loop: Header=BB140_39 Depth=2
	s_or_b64 exec, exec, s[8:9]
	s_xor_b64 s[8:9], s[10:11], -1
	s_and_b64 s[8:9], exec, s[8:9]
	s_or_b64 s[6:7], s[8:9], s[6:7]
	s_andn2_b64 exec, exec, s[6:7]
	s_cbranch_execz .LBB140_36
.LBB140_39:                             ;   Parent Loop BB140_37 Depth=1
                                        ; =>  This Inner Loop Header: Depth=2
	v_lshl_add_u32 v15, v6, 3, 0
	ds_read_b64 v[8:9], v15
                                        ; implicit-def: $sgpr10_sgpr11
	s_waitcnt lgkmcnt(0)
	v_cmp_ne_u64_e32 vcc, v[8:9], v[4:5]
	s_and_saveexec_b64 s[8:9], vcc
	s_xor_b64 s[8:9], exec, s[8:9]
	s_cbranch_execz .LBB140_47
; %bb.40:                               ;   in Loop: Header=BB140_39 Depth=2
	v_cmp_ne_u64_e32 vcc, s[24:25], v[8:9]
                                        ; implicit-def: $sgpr10_sgpr11
	s_and_saveexec_b64 s[20:21], vcc
	s_xor_b64 s[20:21], exec, s[20:21]
; %bb.41:                               ;   in Loop: Header=BB140_39 Depth=2
	v_add_u32_e32 v6, 1, v6
	v_and_b32_e32 v6, 0x3ff, v6
	s_mov_b64 s[10:11], -1
                                        ; implicit-def: $vgpr15
; %bb.42:                               ;   in Loop: Header=BB140_39 Depth=2
	s_andn2_saveexec_b64 s[20:21], s[20:21]
	s_cbranch_execz .LBB140_46
; %bb.43:                               ;   in Loop: Header=BB140_39 Depth=2
	v_pk_mov_b32 v[8:9], s[24:25], s[24:25] op_sel:[0,1]
	ds_cmpst_rtn_b64 v[8:9], v15, v[8:9], v[4:5]
	s_mov_b64 s[22:23], -1
	s_waitcnt lgkmcnt(0)
	v_cmp_eq_u64_e32 vcc, s[24:25], v[8:9]
	s_and_saveexec_b64 s[26:27], vcc
	s_cbranch_execz .LBB140_45
; %bb.44:                               ;   in Loop: Header=BB140_39 Depth=2
	ds_add_f32 v15, v12 offset:8192
	ds_add_f32 v15, v13 offset:8196
	s_xor_b64 s[22:23], exec, -1
.LBB140_45:                             ;   in Loop: Header=BB140_39 Depth=2
	s_or_b64 exec, exec, s[26:27]
	s_andn2_b64 s[10:11], s[10:11], exec
	s_and_b64 s[22:23], s[22:23], exec
	s_or_b64 s[10:11], s[10:11], s[22:23]
.LBB140_46:                             ;   in Loop: Header=BB140_39 Depth=2
	s_or_b64 exec, exec, s[20:21]
	s_and_b64 s[10:11], s[10:11], exec
                                        ; implicit-def: $vgpr15
.LBB140_47:                             ;   in Loop: Header=BB140_39 Depth=2
	s_andn2_saveexec_b64 s[8:9], s[8:9]
	s_cbranch_execz .LBB140_38
; %bb.48:                               ;   in Loop: Header=BB140_39 Depth=2
	ds_add_f32 v15, v12 offset:8192
	ds_add_f32 v15, v13 offset:8196
	s_andn2_b64 s[10:11], s[10:11], exec
	s_branch .LBB140_38
.LBB140_49:
	s_or_b64 exec, exec, s[2:3]
.LBB140_50:
	v_mbcnt_lo_u32_b32 v2, -1, 0
	v_mbcnt_hi_u32_b32 v2, -1, v2
	v_sub_u32_e32 v2, 63, v2
	v_lshrrev_b64 v[4:5], v2, -1
	v_lshrrev_b32_e32 v2, 3, v0
	v_and_b32_e32 v2, 56, v2
	s_movk_i32 s0, 0x1ff
	s_movk_i32 s4, 0x7f
	;; [unrolled: 1-line block ×7, first 2 shown]
	v_mov_b32_e32 v3, 0
	v_add_u32_e32 v15, 0, v2
	v_cmp_eq_u32_e64 s[0:1], s0, v0
	v_cmp_lt_u32_e64 s[2:3], 63, v0
	v_cmp_lt_u32_e64 s[4:5], s4, v0
	;; [unrolled: 1-line block ×7, first 2 shown]
	s_mov_b64 s[20:21], 0
	v_pk_mov_b32 v[6:7], 0, 0
	s_waitcnt lgkmcnt(0)
	s_barrier
	s_branch .LBB140_52
.LBB140_51:                             ;   in Loop: Header=BB140_52 Depth=1
	s_or_b64 exec, exec, s[22:23]
	s_waitcnt lgkmcnt(0)
	s_barrier
	ds_read_b64 v[8:9], v3 offset:16440
	v_add_u32_e32 v14, 0x1000, v14
	s_waitcnt lgkmcnt(0)
	v_add_co_u32_e32 v6, vcc, v8, v6
	v_addc_co_u32_e32 v7, vcc, v9, v7, vcc
	v_add_co_u32_e32 v1, vcc, 0x200, v1
	s_xor_b64 s[22:23], vcc, -1
	s_and_b64 s[22:23], exec, s[22:23]
	s_or_b64 s[20:21], s[22:23], s[20:21]
	s_andn2_b64 exec, exec, s[20:21]
	s_cbranch_execz .LBB140_70
.LBB140_52:                             ; =>This Inner Loop Header: Depth=1
	ds_read_b64 v[8:9], v14
	v_add_u32_e32 v2, 0x2000, v14
	ds_read2_b32 v[10:11], v2 offset1:1
	s_waitcnt lgkmcnt(0)
	s_barrier
	v_cmp_gt_i64_e32 vcc, s[24:25], v[8:9]
	v_and_b32_e32 v13, vcc_lo, v4
	s_bcnt1_i32_b64 s22, vcc
	v_and_b32_e32 v12, vcc_hi, v5
	v_bcnt_u32_b32 v13, v13, 0
	v_mov_b32_e32 v2, s22
	v_bcnt_u32_b32 v12, v12, v13
	ds_write_b64 v15, v[2:3] offset:16384
	s_waitcnt lgkmcnt(0)
	s_barrier
	s_and_saveexec_b64 s[22:23], s[2:3]
	s_cbranch_execnz .LBB140_61
; %bb.53:                               ;   in Loop: Header=BB140_52 Depth=1
	s_or_b64 exec, exec, s[22:23]
	s_and_saveexec_b64 s[22:23], s[4:5]
	s_cbranch_execnz .LBB140_62
.LBB140_54:                             ;   in Loop: Header=BB140_52 Depth=1
	s_or_b64 exec, exec, s[22:23]
	s_and_saveexec_b64 s[22:23], s[6:7]
	s_cbranch_execnz .LBB140_63
.LBB140_55:                             ;   in Loop: Header=BB140_52 Depth=1
	s_or_b64 exec, exec, s[22:23]
	s_and_saveexec_b64 s[22:23], s[8:9]
	s_cbranch_execnz .LBB140_64
.LBB140_56:                             ;   in Loop: Header=BB140_52 Depth=1
	s_or_b64 exec, exec, s[22:23]
	s_and_saveexec_b64 s[22:23], s[10:11]
	s_cbranch_execnz .LBB140_65
.LBB140_57:                             ;   in Loop: Header=BB140_52 Depth=1
	s_or_b64 exec, exec, s[22:23]
	s_and_saveexec_b64 s[22:23], s[12:13]
	s_cbranch_execnz .LBB140_66
.LBB140_58:                             ;   in Loop: Header=BB140_52 Depth=1
	s_or_b64 exec, exec, s[22:23]
	s_and_saveexec_b64 s[22:23], s[14:15]
	s_cbranch_execnz .LBB140_67
.LBB140_59:                             ;   in Loop: Header=BB140_52 Depth=1
	s_or_b64 exec, exec, s[22:23]
	v_ashrrev_i32_e32 v13, 31, v12
	s_and_saveexec_b64 s[22:23], vcc
	s_cbranch_execnz .LBB140_68
.LBB140_60:                             ;   in Loop: Header=BB140_52 Depth=1
	s_or_b64 exec, exec, s[22:23]
	s_and_saveexec_b64 s[22:23], s[0:1]
	s_cbranch_execz .LBB140_51
	s_branch .LBB140_69
.LBB140_61:                             ;   in Loop: Header=BB140_52 Depth=1
	ds_read_b32 v2, v3 offset:16384
	s_waitcnt lgkmcnt(0)
	v_add_u32_e32 v12, v2, v12
	s_or_b64 exec, exec, s[22:23]
	s_and_saveexec_b64 s[22:23], s[4:5]
	s_cbranch_execz .LBB140_54
.LBB140_62:                             ;   in Loop: Header=BB140_52 Depth=1
	ds_read_b32 v2, v3 offset:16392
	s_waitcnt lgkmcnt(0)
	v_add_u32_e32 v12, v12, v2
	s_or_b64 exec, exec, s[22:23]
	s_and_saveexec_b64 s[22:23], s[6:7]
	s_cbranch_execz .LBB140_55
.LBB140_63:                             ;   in Loop: Header=BB140_52 Depth=1
	ds_read_b32 v2, v3 offset:16400
	s_waitcnt lgkmcnt(0)
	v_add_u32_e32 v12, v12, v2
	s_or_b64 exec, exec, s[22:23]
	s_and_saveexec_b64 s[22:23], s[8:9]
	s_cbranch_execz .LBB140_56
.LBB140_64:                             ;   in Loop: Header=BB140_52 Depth=1
	ds_read_b32 v2, v3 offset:16408
	s_waitcnt lgkmcnt(0)
	v_add_u32_e32 v12, v12, v2
	s_or_b64 exec, exec, s[22:23]
	s_and_saveexec_b64 s[22:23], s[10:11]
	s_cbranch_execz .LBB140_57
.LBB140_65:                             ;   in Loop: Header=BB140_52 Depth=1
	ds_read_b32 v2, v3 offset:16416
	s_waitcnt lgkmcnt(0)
	v_add_u32_e32 v12, v12, v2
	s_or_b64 exec, exec, s[22:23]
	s_and_saveexec_b64 s[22:23], s[12:13]
	s_cbranch_execz .LBB140_58
.LBB140_66:                             ;   in Loop: Header=BB140_52 Depth=1
	ds_read_b32 v2, v3 offset:16424
	s_waitcnt lgkmcnt(0)
	v_add_u32_e32 v12, v12, v2
	s_or_b64 exec, exec, s[22:23]
	s_and_saveexec_b64 s[22:23], s[14:15]
	s_cbranch_execz .LBB140_59
.LBB140_67:                             ;   in Loop: Header=BB140_52 Depth=1
	ds_read_b32 v2, v3 offset:16432
	s_waitcnt lgkmcnt(0)
	v_add_u32_e32 v12, v12, v2
	s_or_b64 exec, exec, s[22:23]
	v_ashrrev_i32_e32 v13, 31, v12
	s_and_saveexec_b64 s[22:23], vcc
	s_cbranch_execz .LBB140_60
.LBB140_68:                             ;   in Loop: Header=BB140_52 Depth=1
	v_add3_u32 v2, v6, -1, v12
	v_lshl_add_u32 v2, v2, 3, 0
	v_add_u32_e32 v16, 0x2000, v2
	ds_write_b64 v2, v[8:9]
	ds_write2_b32 v16, v10, v11 offset1:1
	s_or_b64 exec, exec, s[22:23]
	s_and_saveexec_b64 s[22:23], s[0:1]
	s_cbranch_execz .LBB140_51
.LBB140_69:                             ;   in Loop: Header=BB140_52 Depth=1
	ds_write_b64 v3, v[12:13] offset:16440
	s_branch .LBB140_51
.LBB140_70:
	s_or_b64 exec, exec, s[20:21]
	s_lshl_b64 s[0:1], s[44:45], 3
	s_add_u32 s0, s16, s0
	s_addc_u32 s1, s17, s1
	s_load_dwordx4 s[0:3], s[0:1], 0x0
	v_mov_b32_e32 v1, 0
	s_waitcnt lgkmcnt(0)
	s_sub_u32 s4, s2, s0
	s_subb_u32 s5, s3, s1
	v_cmp_gt_i64_e32 vcc, s[4:5], v[0:1]
	s_and_saveexec_b64 s[6:7], vcc
	s_cbranch_execz .LBB140_80
; %bb.71:
	s_sub_u32 s6, s0, s30
	s_subb_u32 s7, s1, 0
	s_and_b32 s8, s4, 7
	s_sub_u32 s0, s0, s2
	s_mov_b32 s16, 0
	s_subb_u32 s1, s1, s3
	s_mov_b32 s9, s16
	s_and_b32 s2, s4, -8
	v_cmp_lt_u64_e64 s[0:1], s[0:1], -7
	s_cmp_lg_u64 s[8:9], 0
	v_cndmask_b32_e64 v2, 0, 1, s[0:1]
	s_mov_b32 s3, s5
	s_mov_b64 s[10:11], 0
	s_cselect_b64 s[12:13], -1, 0
	v_cmp_ne_u32_e64 s[0:1], 1, v2
	s_branch .LBB140_73
.LBB140_72:                             ;   in Loop: Header=BB140_73 Depth=1
	v_mov_b32_e32 v8, s16
	s_waitcnt lgkmcnt(1)
	v_add_co_u32_e32 v4, vcc, s30, v4
	v_addc_co_u32_e32 v5, vcc, v5, v8, vcc
	v_lshlrev_b64 v[6:7], 3, v[6:7]
	v_mov_b32_e32 v9, s19
	v_add_co_u32_e32 v8, vcc, s18, v6
	v_addc_co_u32_e32 v9, vcc, v9, v7, vcc
	global_store_dwordx2 v[8:9], v[4:5], off
	v_mov_b32_e32 v5, s35
	v_add_co_u32_e32 v4, vcc, s34, v6
	v_addc_co_u32_e32 v5, vcc, v5, v7, vcc
	v_add_co_u32_e32 v0, vcc, 0x200, v0
	v_addc_co_u32_e32 v1, vcc, 0, v1, vcc
	v_cmp_le_i64_e32 vcc, s[4:5], v[0:1]
	s_or_b64 s[10:11], vcc, s[10:11]
	s_waitcnt lgkmcnt(0)
	global_store_dwordx2 v[4:5], v[2:3], off
	s_andn2_b64 exec, exec, s[10:11]
	s_cbranch_execz .LBB140_80
.LBB140_73:                             ; =>This Loop Header: Depth=1
                                        ;     Child Loop BB140_75 Depth 2
                                        ;     Child Loop BB140_79 Depth 2
	v_lshl_add_u32 v2, v0, 3, 0
	v_add_u32_e32 v3, 0x2000, v2
	ds_read_b64 v[4:5], v2
	ds_read2_b32 v[2:3], v3 offset1:1
	s_and_b64 vcc, exec, s[0:1]
	v_pk_mov_b32 v[6:7], s[6:7], s[6:7] op_sel:[0,1]
	s_mov_b64 s[14:15], 0
	s_cbranch_vccnz .LBB140_77
; %bb.74:                               ;   in Loop: Header=BB140_73 Depth=1
	s_mov_b32 s17, 0
	v_pk_mov_b32 v[6:7], s[6:7], s[6:7] op_sel:[0,1]
.LBB140_75:                             ;   Parent Loop BB140_73 Depth=1
                                        ; =>  This Inner Loop Header: Depth=2
	v_mov_b32_e32 v20, s17
	ds_read2_b64 v[8:11], v20 offset1:1
	ds_read2_b64 v[12:15], v20 offset0:2 offset1:3
	ds_read2_b64 v[16:19], v20 offset0:4 offset1:5
	;; [unrolled: 1-line block ×3, first 2 shown]
	s_add_u32 s14, s14, 8
	s_waitcnt lgkmcnt(3)
	v_cmp_gt_i64_e32 vcc, v[4:5], v[8:9]
	v_cndmask_b32_e64 v8, 0, 1, vcc
	v_cmp_gt_i64_e32 vcc, v[4:5], v[10:11]
	v_cndmask_b32_e64 v9, 0, 1, vcc
	s_waitcnt lgkmcnt(2)
	v_cmp_gt_i64_e32 vcc, v[4:5], v[12:13]
	v_cndmask_b32_e64 v10, 0, 1, vcc
	v_cmp_gt_i64_e32 vcc, v[4:5], v[14:15]
	v_cndmask_b32_e64 v11, 0, 1, vcc
	;; [unrolled: 5-line block ×4, first 2 shown]
	v_add_co_u32_e32 v6, vcc, v6, v8
	v_addc_co_u32_e32 v7, vcc, 0, v7, vcc
	v_add_co_u32_e32 v6, vcc, v6, v9
	v_addc_co_u32_e32 v7, vcc, 0, v7, vcc
	;; [unrolled: 2-line block ×7, first 2 shown]
	s_addc_u32 s15, s15, 0
	s_add_i32 s17, s17, 64
	v_add_co_u32_e32 v6, vcc, v6, v15
	s_cmp_eq_u64 s[2:3], s[14:15]
	v_addc_co_u32_e32 v7, vcc, 0, v7, vcc
	s_cbranch_scc0 .LBB140_75
; %bb.76:                               ;   in Loop: Header=BB140_73 Depth=1
	s_mov_b64 s[14:15], s[2:3]
.LBB140_77:                             ;   in Loop: Header=BB140_73 Depth=1
	s_andn2_b64 vcc, exec, s[12:13]
	s_cbranch_vccnz .LBB140_72
; %bb.78:                               ;   in Loop: Header=BB140_73 Depth=1
	s_lshl_b32 s14, s14, 3
	s_add_i32 s17, s14, 0
	s_mov_b64 s[14:15], s[8:9]
.LBB140_79:                             ;   Parent Loop BB140_73 Depth=1
                                        ; =>  This Inner Loop Header: Depth=2
	v_mov_b32_e32 v8, s17
	ds_read_b64 v[8:9], v8
	s_add_i32 s17, s17, 8
	s_add_u32 s14, s14, -1
	s_addc_u32 s15, s15, -1
	s_cmp_lg_u64 s[14:15], 0
	s_waitcnt lgkmcnt(0)
	v_cmp_gt_i64_e32 vcc, v[4:5], v[8:9]
	v_cndmask_b32_e64 v8, 0, 1, vcc
	v_add_co_u32_e32 v6, vcc, v6, v8
	v_addc_co_u32_e32 v7, vcc, 0, v7, vcc
	s_cbranch_scc1 .LBB140_79
	s_branch .LBB140_72
.LBB140_80:
	s_endpgm
	.section	.rodata,"a",@progbits
	.p2align	6, 0x0
	.amdhsa_kernel _ZN9rocsparseL26csrgemm_fill_block_per_rowILj512ELj32ELj1024ELj137ELj64Ell21rocsparse_complex_numIfEEEvT5_PKS3_S5_NS_24const_host_device_scalarIT6_EEPKT4_S5_PKS7_SB_S5_SD_S8_SB_S5_SD_SB_PS3_PS7_21rocsparse_index_base_SG_SG_SG_bbb
		.amdhsa_group_segment_fixed_size 0
		.amdhsa_private_segment_fixed_size 0
		.amdhsa_kernarg_size 156
		.amdhsa_user_sgpr_count 6
		.amdhsa_user_sgpr_private_segment_buffer 1
		.amdhsa_user_sgpr_dispatch_ptr 0
		.amdhsa_user_sgpr_queue_ptr 0
		.amdhsa_user_sgpr_kernarg_segment_ptr 1
		.amdhsa_user_sgpr_dispatch_id 0
		.amdhsa_user_sgpr_flat_scratch_init 0
		.amdhsa_user_sgpr_kernarg_preload_length 0
		.amdhsa_user_sgpr_kernarg_preload_offset 0
		.amdhsa_user_sgpr_private_segment_size 0
		.amdhsa_uses_dynamic_stack 0
		.amdhsa_system_sgpr_private_segment_wavefront_offset 0
		.amdhsa_system_sgpr_workgroup_id_x 1
		.amdhsa_system_sgpr_workgroup_id_y 0
		.amdhsa_system_sgpr_workgroup_id_z 0
		.amdhsa_system_sgpr_workgroup_info 0
		.amdhsa_system_vgpr_workitem_id 0
		.amdhsa_next_free_vgpr 26
		.amdhsa_next_free_sgpr 59
		.amdhsa_accum_offset 28
		.amdhsa_reserve_vcc 1
		.amdhsa_reserve_flat_scratch 0
		.amdhsa_float_round_mode_32 0
		.amdhsa_float_round_mode_16_64 0
		.amdhsa_float_denorm_mode_32 3
		.amdhsa_float_denorm_mode_16_64 3
		.amdhsa_dx10_clamp 1
		.amdhsa_ieee_mode 1
		.amdhsa_fp16_overflow 0
		.amdhsa_tg_split 0
		.amdhsa_exception_fp_ieee_invalid_op 0
		.amdhsa_exception_fp_denorm_src 0
		.amdhsa_exception_fp_ieee_div_zero 0
		.amdhsa_exception_fp_ieee_overflow 0
		.amdhsa_exception_fp_ieee_underflow 0
		.amdhsa_exception_fp_ieee_inexact 0
		.amdhsa_exception_int_div_zero 0
	.end_amdhsa_kernel
	.section	.text._ZN9rocsparseL26csrgemm_fill_block_per_rowILj512ELj32ELj1024ELj137ELj64Ell21rocsparse_complex_numIfEEEvT5_PKS3_S5_NS_24const_host_device_scalarIT6_EEPKT4_S5_PKS7_SB_S5_SD_S8_SB_S5_SD_SB_PS3_PS7_21rocsparse_index_base_SG_SG_SG_bbb,"axG",@progbits,_ZN9rocsparseL26csrgemm_fill_block_per_rowILj512ELj32ELj1024ELj137ELj64Ell21rocsparse_complex_numIfEEEvT5_PKS3_S5_NS_24const_host_device_scalarIT6_EEPKT4_S5_PKS7_SB_S5_SD_S8_SB_S5_SD_SB_PS3_PS7_21rocsparse_index_base_SG_SG_SG_bbb,comdat
.Lfunc_end140:
	.size	_ZN9rocsparseL26csrgemm_fill_block_per_rowILj512ELj32ELj1024ELj137ELj64Ell21rocsparse_complex_numIfEEEvT5_PKS3_S5_NS_24const_host_device_scalarIT6_EEPKT4_S5_PKS7_SB_S5_SD_S8_SB_S5_SD_SB_PS3_PS7_21rocsparse_index_base_SG_SG_SG_bbb, .Lfunc_end140-_ZN9rocsparseL26csrgemm_fill_block_per_rowILj512ELj32ELj1024ELj137ELj64Ell21rocsparse_complex_numIfEEEvT5_PKS3_S5_NS_24const_host_device_scalarIT6_EEPKT4_S5_PKS7_SB_S5_SD_S8_SB_S5_SD_SB_PS3_PS7_21rocsparse_index_base_SG_SG_SG_bbb
                                        ; -- End function
	.section	.AMDGPU.csdata,"",@progbits
; Kernel info:
; codeLenInByte = 2820
; NumSgprs: 63
; NumVgprs: 26
; NumAgprs: 0
; TotalNumVgprs: 26
; ScratchSize: 0
; MemoryBound: 0
; FloatMode: 240
; IeeeMode: 1
; LDSByteSize: 0 bytes/workgroup (compile time only)
; SGPRBlocks: 7
; VGPRBlocks: 3
; NumSGPRsForWavesPerEU: 63
; NumVGPRsForWavesPerEU: 26
; AccumOffset: 28
; Occupancy: 8
; WaveLimiterHint : 1
; COMPUTE_PGM_RSRC2:SCRATCH_EN: 0
; COMPUTE_PGM_RSRC2:USER_SGPR: 6
; COMPUTE_PGM_RSRC2:TRAP_HANDLER: 0
; COMPUTE_PGM_RSRC2:TGID_X_EN: 1
; COMPUTE_PGM_RSRC2:TGID_Y_EN: 0
; COMPUTE_PGM_RSRC2:TGID_Z_EN: 0
; COMPUTE_PGM_RSRC2:TIDIG_COMP_CNT: 0
; COMPUTE_PGM_RSRC3_GFX90A:ACCUM_OFFSET: 6
; COMPUTE_PGM_RSRC3_GFX90A:TG_SPLIT: 0
	.section	.text._ZN9rocsparseL26csrgemm_fill_block_per_rowILj1024ELj32ELj2048ELj137ELj32Ell21rocsparse_complex_numIfEEEvT5_PKS3_S5_NS_24const_host_device_scalarIT6_EEPKT4_S5_PKS7_SB_S5_SD_S8_SB_S5_SD_SB_PS3_PS7_21rocsparse_index_base_SG_SG_SG_bbb,"axG",@progbits,_ZN9rocsparseL26csrgemm_fill_block_per_rowILj1024ELj32ELj2048ELj137ELj32Ell21rocsparse_complex_numIfEEEvT5_PKS3_S5_NS_24const_host_device_scalarIT6_EEPKT4_S5_PKS7_SB_S5_SD_S8_SB_S5_SD_SB_PS3_PS7_21rocsparse_index_base_SG_SG_SG_bbb,comdat
	.globl	_ZN9rocsparseL26csrgemm_fill_block_per_rowILj1024ELj32ELj2048ELj137ELj32Ell21rocsparse_complex_numIfEEEvT5_PKS3_S5_NS_24const_host_device_scalarIT6_EEPKT4_S5_PKS7_SB_S5_SD_S8_SB_S5_SD_SB_PS3_PS7_21rocsparse_index_base_SG_SG_SG_bbb ; -- Begin function _ZN9rocsparseL26csrgemm_fill_block_per_rowILj1024ELj32ELj2048ELj137ELj32Ell21rocsparse_complex_numIfEEEvT5_PKS3_S5_NS_24const_host_device_scalarIT6_EEPKT4_S5_PKS7_SB_S5_SD_S8_SB_S5_SD_SB_PS3_PS7_21rocsparse_index_base_SG_SG_SG_bbb
	.p2align	8
	.type	_ZN9rocsparseL26csrgemm_fill_block_per_rowILj1024ELj32ELj2048ELj137ELj32Ell21rocsparse_complex_numIfEEEvT5_PKS3_S5_NS_24const_host_device_scalarIT6_EEPKT4_S5_PKS7_SB_S5_SD_S8_SB_S5_SD_SB_PS3_PS7_21rocsparse_index_base_SG_SG_SG_bbb,@function
_ZN9rocsparseL26csrgemm_fill_block_per_rowILj1024ELj32ELj2048ELj137ELj32Ell21rocsparse_complex_numIfEEEvT5_PKS3_S5_NS_24const_host_device_scalarIT6_EEPKT4_S5_PKS7_SB_S5_SD_S8_SB_S5_SD_SB_PS3_PS7_21rocsparse_index_base_SG_SG_SG_bbb: ; @_ZN9rocsparseL26csrgemm_fill_block_per_rowILj1024ELj32ELj2048ELj137ELj32Ell21rocsparse_complex_numIfEEEvT5_PKS3_S5_NS_24const_host_device_scalarIT6_EEPKT4_S5_PKS7_SB_S5_SD_S8_SB_S5_SD_SB_PS3_PS7_21rocsparse_index_base_SG_SG_SG_bbb
; %bb.0:
	s_load_dwordx8 s[64:71], s[4:5], 0x60
	s_load_dwordx8 s[8:15], s[4:5], 0x40
	s_load_dword s7, s[4:5], 0x98
	s_load_dwordx4 s[24:27], s[4:5], 0x8
	s_load_dwordx8 s[16:23], s[4:5], 0x20
	s_load_dwordx2 s[76:77], s[4:5], 0x80
	s_load_dwordx4 s[72:75], s[4:5], 0x88
	s_waitcnt lgkmcnt(0)
	s_bitcmp1_b32 s7, 0
	s_cselect_b64 s[30:31], -1, 0
	s_bitcmp1_b32 s7, 16
	s_cselect_b64 s[0:1], -1, 0
	s_xor_b64 s[0:1], s[0:1], -1
	v_cndmask_b32_e64 v1, 0, 1, s[0:1]
	s_mov_b32 s3, 0
	s_bitcmp0_b32 s7, 0
	v_cmp_ne_u32_e64 s[0:1], 1, v1
	s_mov_b32 s41, 0
	s_cbranch_scc1 .LBB141_5
; %bb.1:
	s_load_dwordx2 s[2:3], s[4:5], 0x18
	s_and_b64 vcc, exec, s[0:1]
	s_waitcnt lgkmcnt(0)
	s_mov_b32 s41, s2
	s_cbranch_vccnz .LBB141_3
; %bb.2:
	s_load_dword s41, s[2:3], 0x0
.LBB141_3:
	s_and_b64 vcc, exec, s[0:1]
	s_cbranch_vccnz .LBB141_5
; %bb.4:
	s_load_dword s3, s[2:3], 0x4
.LBB141_5:
	s_bitcmp1_b32 s7, 8
	s_cselect_b64 s[28:29], -1, 0
	s_bfe_u32 s2, s7, 0x10008
	s_mov_b32 s40, 0
	s_cmp_eq_u32 s2, 0
	s_mov_b32 s33, 0
	s_cbranch_scc1 .LBB141_11
; %bb.6:
	s_and_b64 vcc, exec, s[0:1]
	s_mov_b32 s33, s12
	s_cbranch_vccnz .LBB141_8
; %bb.7:
	s_load_dword s33, s[12:13], 0x0
.LBB141_8:
	s_and_b64 vcc, exec, s[0:1]
	s_cbranch_vccnz .LBB141_10
; %bb.9:
	s_load_dword s13, s[12:13], 0x4
.LBB141_10:
	s_waitcnt lgkmcnt(0)
	s_mov_b32 s40, s13
.LBB141_11:
	s_load_dwordx2 s[78:79], s[4:5], 0x0
	v_or_b32_e32 v1, 0xfffffc00, v0
	v_lshl_add_u32 v14, v0, 3, 0
	s_mov_b64 s[0:1], 0
	v_mov_b32_e32 v4, 0
	s_waitcnt lgkmcnt(0)
	v_pk_mov_b32 v[2:3], s[78:79], s[78:79] op_sel:[0,1]
	v_mov_b32_e32 v5, v14
	v_mov_b32_e32 v6, v1
.LBB141_12:                             ; =>This Inner Loop Header: Depth=1
	v_add_co_u32_e32 v6, vcc, 0x400, v6
	s_xor_b64 s[4:5], vcc, -1
	s_and_b64 s[4:5], exec, s[4:5]
	ds_write_b64 v5, v[2:3]
	v_add_u32_e32 v7, 0x4000, v5
	v_add_u32_e32 v5, 0x2000, v5
	s_or_b64 s[0:1], s[4:5], s[0:1]
	ds_write2_b32 v7, v4, v4 offset1:1
	s_andn2_b64 exec, exec, s[0:1]
	s_cbranch_execnz .LBB141_12
; %bb.13:
	s_or_b64 exec, exec, s[0:1]
	s_waitcnt lgkmcnt(0)
	s_barrier
	s_load_dwordx2 s[0:1], s[24:25], 0x0
	s_mov_b32 s7, 0
	v_lshrrev_b32_e32 v11, 5, v0
	s_waitcnt lgkmcnt(0)
	s_lshl_b64 s[0:1], s[0:1], 3
	s_add_u32 s2, s26, s0
	s_addc_u32 s4, s27, s1
	s_lshl_b64 s[0:1], s[6:7], 3
	s_add_u32 s0, s2, s0
	s_addc_u32 s1, s4, s1
	s_load_dwordx2 s[80:81], s[0:1], 0x0
	s_and_b64 vcc, exec, s[30:31]
	s_cbranch_vccz .LBB141_33
; %bb.14:
	s_waitcnt lgkmcnt(0)
	s_lshl_b64 s[0:1], s[80:81], 3
	s_add_u32 s0, s16, s0
	s_addc_u32 s1, s17, s1
	s_load_dwordx4 s[24:27], s[0:1], 0x0
	v_subrev_co_u32_e32 v2, vcc, s72, v11
	v_subb_co_u32_e64 v3, s[4:5], 0, 0, vcc
	s_waitcnt lgkmcnt(0)
	s_sub_u32 s0, s26, s72
	v_mov_b32_e32 v4, s25
	v_add_co_u32_e32 v2, vcc, s24, v2
	s_subb_u32 s1, s27, 0
	v_addc_co_u32_e32 v3, vcc, v4, v3, vcc
	v_cmp_gt_i64_e32 vcc, s[0:1], v[2:3]
	s_and_saveexec_b64 s[4:5], vcc
	s_cbranch_execz .LBB141_32
; %bb.15:
	v_and_b32_e32 v4, 31, v0
	v_subrev_co_u32_e32 v15, vcc, s73, v4
	s_mov_b32 s6, 0
	v_subb_co_u32_e64 v16, s[12:13], 0, 0, vcc
	s_mov_b32 s2, s72
	s_mov_b32 s42, s73
	s_mov_b64 s[12:13], 0
	v_mov_b32_e32 v17, s19
	v_mov_b32_e32 v18, s7
	;; [unrolled: 1-line block ×4, first 2 shown]
	s_movk_i32 s19, 0x89
	s_branch .LBB141_17
.LBB141_16:                             ;   in Loop: Header=BB141_17 Depth=1
	s_or_b64 exec, exec, s[6:7]
	v_add_co_u32_e32 v2, vcc, 32, v2
	v_addc_co_u32_e32 v3, vcc, 0, v3, vcc
	v_cmp_le_i64_e32 vcc, s[0:1], v[2:3]
	s_or_b64 s[12:13], vcc, s[12:13]
	s_andn2_b64 exec, exec, s[12:13]
	s_cbranch_execz .LBB141_32
.LBB141_17:                             ; =>This Loop Header: Depth=1
                                        ;     Child Loop BB141_20 Depth 2
                                        ;       Child Loop BB141_22 Depth 3
	v_lshlrev_b64 v[8:9], 3, v[2:3]
	v_add_co_u32_e32 v4, vcc, s18, v8
	v_addc_co_u32_e32 v5, vcc, v17, v9, vcc
	global_load_dwordx2 v[4:5], v[4:5], off
	s_waitcnt vmcnt(0)
	v_subrev_co_u32_e32 v4, vcc, s2, v4
	v_subb_co_u32_e32 v5, vcc, v5, v18, vcc
	v_lshlrev_b64 v[4:5], 3, v[4:5]
	v_add_co_u32_e32 v4, vcc, s22, v4
	v_addc_co_u32_e32 v5, vcc, v19, v5, vcc
	global_load_dwordx4 v[22:25], v[4:5], off
	s_waitcnt vmcnt(0)
	v_subrev_co_u32_e32 v4, vcc, s42, v24
	v_subb_co_u32_e32 v5, vcc, v25, v20, vcc
	v_add_co_u32_e32 v6, vcc, v22, v15
	v_addc_co_u32_e32 v7, vcc, v23, v16, vcc
	v_cmp_lt_i64_e32 vcc, v[6:7], v[4:5]
	s_and_saveexec_b64 s[6:7], vcc
	s_cbranch_execz .LBB141_16
; %bb.18:                               ;   in Loop: Header=BB141_17 Depth=1
	v_mov_b32_e32 v10, s21
	v_add_co_u32_e32 v8, vcc, s20, v8
	v_addc_co_u32_e32 v9, vcc, v10, v9, vcc
	global_load_dwordx2 v[8:9], v[8:9], off
	s_mov_b64 s[16:17], 0
	s_waitcnt vmcnt(0)
	v_mul_f32_e64 v21, v9, -s3
	v_mul_f32_e32 v22, s41, v9
	v_fmac_f32_e32 v21, s41, v8
	v_fmac_f32_e32 v22, s3, v8
	s_branch .LBB141_20
.LBB141_19:                             ;   in Loop: Header=BB141_20 Depth=2
	s_or_b64 exec, exec, s[24:25]
	v_add_co_u32_e32 v6, vcc, 32, v6
	v_addc_co_u32_e32 v7, vcc, 0, v7, vcc
	v_cmp_ge_i64_e32 vcc, v[6:7], v[4:5]
	s_or_b64 s[16:17], vcc, s[16:17]
	s_andn2_b64 exec, exec, s[16:17]
	s_cbranch_execz .LBB141_16
.LBB141_20:                             ;   Parent Loop BB141_17 Depth=1
                                        ; =>  This Loop Header: Depth=2
                                        ;       Child Loop BB141_22 Depth 3
	v_lshlrev_b64 v[8:9], 3, v[6:7]
	v_mov_b32_e32 v10, s9
	v_add_co_u32_e32 v12, vcc, s8, v8
	v_addc_co_u32_e32 v13, vcc, v10, v9, vcc
	v_mov_b32_e32 v10, s11
	v_add_co_u32_e32 v8, vcc, s10, v8
	global_load_dwordx2 v[12:13], v[12:13], off
	v_addc_co_u32_e32 v9, vcc, v10, v9, vcc
	global_load_dwordx2 v[26:27], v[8:9], off
	s_mov_b64 s[24:25], 0
	s_waitcnt vmcnt(1)
	v_subrev_co_u32_e32 v8, vcc, s42, v12
	v_mul_lo_u32 v10, v8, s19
	s_waitcnt vmcnt(0)
	v_mul_f32_e64 v23, v27, -v22
	v_mul_f32_e32 v24, v21, v27
	v_subb_co_u32_e32 v9, vcc, v13, v20, vcc
	v_fmac_f32_e32 v23, v21, v26
	v_fmac_f32_e32 v24, v22, v26
	v_and_b32_e32 v10, 0x7ff, v10
	s_branch .LBB141_22
.LBB141_21:                             ;   in Loop: Header=BB141_22 Depth=3
	s_or_b64 exec, exec, s[26:27]
	s_xor_b64 s[26:27], s[30:31], -1
	s_and_b64 s[26:27], exec, s[26:27]
	s_or_b64 s[24:25], s[26:27], s[24:25]
	s_andn2_b64 exec, exec, s[24:25]
	s_cbranch_execz .LBB141_19
.LBB141_22:                             ;   Parent Loop BB141_17 Depth=1
                                        ;     Parent Loop BB141_20 Depth=2
                                        ; =>    This Inner Loop Header: Depth=3
	v_lshl_add_u32 v25, v10, 3, 0
	ds_read_b64 v[12:13], v25
                                        ; implicit-def: $sgpr30_sgpr31
	s_waitcnt lgkmcnt(0)
	v_cmp_ne_u64_e32 vcc, v[12:13], v[8:9]
	s_and_saveexec_b64 s[26:27], vcc
	s_xor_b64 s[26:27], exec, s[26:27]
	s_cbranch_execz .LBB141_30
; %bb.23:                               ;   in Loop: Header=BB141_22 Depth=3
	v_cmp_ne_u64_e32 vcc, s[78:79], v[12:13]
                                        ; implicit-def: $sgpr30_sgpr31
	s_and_saveexec_b64 s[34:35], vcc
	s_xor_b64 s[34:35], exec, s[34:35]
; %bb.24:                               ;   in Loop: Header=BB141_22 Depth=3
	v_add_u32_e32 v10, 1, v10
	v_and_b32_e32 v10, 0x7ff, v10
	s_mov_b64 s[30:31], -1
                                        ; implicit-def: $vgpr25
; %bb.25:                               ;   in Loop: Header=BB141_22 Depth=3
	s_andn2_saveexec_b64 s[34:35], s[34:35]
	s_cbranch_execz .LBB141_29
; %bb.26:                               ;   in Loop: Header=BB141_22 Depth=3
	v_pk_mov_b32 v[12:13], s[78:79], s[78:79] op_sel:[0,1]
	ds_cmpst_rtn_b64 v[12:13], v25, v[12:13], v[8:9]
	s_mov_b64 s[36:37], -1
	s_waitcnt lgkmcnt(0)
	v_cmp_eq_u64_e32 vcc, s[78:79], v[12:13]
	s_and_saveexec_b64 s[38:39], vcc
	s_cbranch_execz .LBB141_28
; %bb.27:                               ;   in Loop: Header=BB141_22 Depth=3
	ds_add_f32 v25, v23 offset:16384
	ds_add_f32 v25, v24 offset:16388
	s_xor_b64 s[36:37], exec, -1
.LBB141_28:                             ;   in Loop: Header=BB141_22 Depth=3
	s_or_b64 exec, exec, s[38:39]
	s_andn2_b64 s[30:31], s[30:31], exec
	s_and_b64 s[36:37], s[36:37], exec
	s_or_b64 s[30:31], s[30:31], s[36:37]
.LBB141_29:                             ;   in Loop: Header=BB141_22 Depth=3
	s_or_b64 exec, exec, s[34:35]
	s_and_b64 s[30:31], s[30:31], exec
                                        ; implicit-def: $vgpr25
.LBB141_30:                             ;   in Loop: Header=BB141_22 Depth=3
	s_andn2_saveexec_b64 s[26:27], s[26:27]
	s_cbranch_execz .LBB141_21
; %bb.31:                               ;   in Loop: Header=BB141_22 Depth=3
	ds_add_f32 v25, v23 offset:16384
	ds_add_f32 v25, v24 offset:16388
	s_andn2_b64 s[30:31], s[30:31], exec
	s_branch .LBB141_21
.LBB141_32:
	s_or_b64 exec, exec, s[4:5]
.LBB141_33:
	s_andn2_b64 vcc, exec, s[28:29]
	s_cbranch_vccnz .LBB141_50
; %bb.34:
	s_waitcnt lgkmcnt(0)
	s_lshl_b64 s[0:1], s[80:81], 3
	s_add_u32 s0, s14, s0
	s_addc_u32 s1, s15, s1
	s_load_dwordx4 s[8:11], s[0:1], 0x0
	v_subrev_co_u32_e32 v2, vcc, s75, v0
	v_subb_co_u32_e64 v3, s[2:3], 0, 0, vcc
	s_waitcnt lgkmcnt(0)
	s_sub_u32 s0, s10, s75
	v_mov_b32_e32 v4, s9
	v_add_co_u32_e32 v2, vcc, s8, v2
	s_subb_u32 s1, s11, 0
	v_addc_co_u32_e32 v3, vcc, v4, v3, vcc
	s_mov_b32 s6, 0
	v_cmp_gt_i64_e32 vcc, s[0:1], v[2:3]
	s_and_saveexec_b64 s[2:3], vcc
	s_cbranch_execz .LBB141_49
; %bb.35:
	s_mov_b32 s18, s75
	s_mov_b64 s[4:5], 0
	v_mov_b32_e32 v7, s65
	v_mov_b32_e32 v10, s6
	;; [unrolled: 1-line block ×3, first 2 shown]
	s_movk_i32 s19, 0x89
	s_branch .LBB141_37
.LBB141_36:                             ;   in Loop: Header=BB141_37 Depth=1
	s_or_b64 exec, exec, s[6:7]
	v_add_co_u32_e32 v2, vcc, 0x400, v2
	v_addc_co_u32_e32 v3, vcc, 0, v3, vcc
	v_cmp_le_i64_e32 vcc, s[0:1], v[2:3]
	s_or_b64 s[4:5], vcc, s[4:5]
	s_andn2_b64 exec, exec, s[4:5]
	s_cbranch_execz .LBB141_49
.LBB141_37:                             ; =>This Loop Header: Depth=1
                                        ;     Child Loop BB141_39 Depth 2
	v_lshlrev_b64 v[4:5], 3, v[2:3]
	v_add_co_u32_e32 v8, vcc, s64, v4
	v_addc_co_u32_e32 v9, vcc, v7, v5, vcc
	v_add_co_u32_e32 v4, vcc, s66, v4
	global_load_dwordx2 v[8:9], v[8:9], off
	v_addc_co_u32_e32 v5, vcc, v12, v5, vcc
	global_load_dwordx2 v[16:17], v[4:5], off
	s_mov_b64 s[6:7], 0
	s_waitcnt vmcnt(1)
	v_subrev_co_u32_e32 v4, vcc, s18, v8
	v_mul_lo_u32 v6, v4, s19
	s_waitcnt vmcnt(0)
	v_mul_f32_e64 v13, v17, -s40
	v_mul_f32_e32 v15, s33, v17
	v_subb_co_u32_e32 v5, vcc, v9, v10, vcc
	v_fmac_f32_e32 v13, s33, v16
	v_fmac_f32_e32 v15, s40, v16
	v_and_b32_e32 v6, 0x7ff, v6
	s_branch .LBB141_39
.LBB141_38:                             ;   in Loop: Header=BB141_39 Depth=2
	s_or_b64 exec, exec, s[8:9]
	s_xor_b64 s[8:9], s[10:11], -1
	s_and_b64 s[8:9], exec, s[8:9]
	s_or_b64 s[6:7], s[8:9], s[6:7]
	s_andn2_b64 exec, exec, s[6:7]
	s_cbranch_execz .LBB141_36
.LBB141_39:                             ;   Parent Loop BB141_37 Depth=1
                                        ; =>  This Inner Loop Header: Depth=2
	v_lshl_add_u32 v16, v6, 3, 0
	ds_read_b64 v[8:9], v16
                                        ; implicit-def: $sgpr10_sgpr11
	s_waitcnt lgkmcnt(0)
	v_cmp_ne_u64_e32 vcc, v[8:9], v[4:5]
	s_and_saveexec_b64 s[8:9], vcc
	s_xor_b64 s[8:9], exec, s[8:9]
	s_cbranch_execz .LBB141_47
; %bb.40:                               ;   in Loop: Header=BB141_39 Depth=2
	v_cmp_ne_u64_e32 vcc, s[78:79], v[8:9]
                                        ; implicit-def: $sgpr10_sgpr11
	s_and_saveexec_b64 s[12:13], vcc
	s_xor_b64 s[12:13], exec, s[12:13]
; %bb.41:                               ;   in Loop: Header=BB141_39 Depth=2
	v_add_u32_e32 v6, 1, v6
	v_and_b32_e32 v6, 0x7ff, v6
	s_mov_b64 s[10:11], -1
                                        ; implicit-def: $vgpr16
; %bb.42:                               ;   in Loop: Header=BB141_39 Depth=2
	s_andn2_saveexec_b64 s[12:13], s[12:13]
	s_cbranch_execz .LBB141_46
; %bb.43:                               ;   in Loop: Header=BB141_39 Depth=2
	v_pk_mov_b32 v[8:9], s[78:79], s[78:79] op_sel:[0,1]
	ds_cmpst_rtn_b64 v[8:9], v16, v[8:9], v[4:5]
	s_mov_b64 s[14:15], -1
	s_waitcnt lgkmcnt(0)
	v_cmp_eq_u64_e32 vcc, s[78:79], v[8:9]
	s_and_saveexec_b64 s[16:17], vcc
	s_cbranch_execz .LBB141_45
; %bb.44:                               ;   in Loop: Header=BB141_39 Depth=2
	ds_add_f32 v16, v13 offset:16384
	ds_add_f32 v16, v15 offset:16388
	s_xor_b64 s[14:15], exec, -1
.LBB141_45:                             ;   in Loop: Header=BB141_39 Depth=2
	s_or_b64 exec, exec, s[16:17]
	s_andn2_b64 s[10:11], s[10:11], exec
	s_and_b64 s[14:15], s[14:15], exec
	s_or_b64 s[10:11], s[10:11], s[14:15]
.LBB141_46:                             ;   in Loop: Header=BB141_39 Depth=2
	s_or_b64 exec, exec, s[12:13]
	s_and_b64 s[10:11], s[10:11], exec
                                        ; implicit-def: $vgpr16
.LBB141_47:                             ;   in Loop: Header=BB141_39 Depth=2
	s_andn2_saveexec_b64 s[8:9], s[8:9]
	s_cbranch_execz .LBB141_38
; %bb.48:                               ;   in Loop: Header=BB141_39 Depth=2
	ds_add_f32 v16, v13 offset:16384
	ds_add_f32 v16, v15 offset:16388
	s_andn2_b64 s[10:11], s[10:11], exec
	s_branch .LBB141_38
.LBB141_49:
	s_or_b64 exec, exec, s[2:3]
.LBB141_50:
	s_movk_i32 s33, 0x1ff
	v_cmp_lt_u32_e64 s[34:35], s33, v0
	s_movk_i32 s33, 0x21f
	v_cmp_lt_u32_e64 s[36:37], s33, v0
	;; [unrolled: 2-line block ×12, first 2 shown]
	s_movk_i32 s33, 0x37f
	v_mbcnt_lo_u32_b32 v2, -1, 0
	v_cmp_lt_u32_e64 s[58:59], s33, v0
	s_movk_i32 s33, 0x39f
	v_mbcnt_hi_u32_b32 v2, -1, v2
	v_cmp_lt_u32_e64 s[60:61], s33, v0
	s_movk_i32 s33, 0x3bf
	v_sub_u32_e32 v2, 63, v2
	s_movk_i32 s0, 0x3ff
	s_movk_i32 s6, 0x5f
	;; [unrolled: 1-line block ×14, first 2 shown]
	v_cmp_lt_u32_e64 s[62:63], s33, v0
	s_movk_i32 s33, 0x3df
	v_mov_b32_e32 v3, 0
	v_lshrrev_b64 v[4:5], v2, -1
	v_lshl_add_u32 v15, v11, 3, 0
	v_cmp_eq_u32_e64 s[0:1], s0, v0
	v_cmp_lt_u32_e64 s[2:3], 31, v0
	v_cmp_lt_u32_e64 s[4:5], 63, v0
	;; [unrolled: 1-line block ×16, first 2 shown]
	s_mov_b64 s[66:67], 0
	v_pk_mov_b32 v[6:7], 0, 0
	s_waitcnt lgkmcnt(0)
	s_barrier
	s_branch .LBB141_52
.LBB141_51:                             ;   in Loop: Header=BB141_52 Depth=1
	s_or_b64 exec, exec, s[72:73]
	s_waitcnt lgkmcnt(0)
	s_barrier
	ds_read_b64 v[8:9], v3 offset:33016
	v_add_u32_e32 v14, 0x2000, v14
	s_waitcnt lgkmcnt(0)
	v_add_co_u32_e32 v6, vcc, v8, v6
	v_addc_co_u32_e32 v7, vcc, v9, v7, vcc
	v_add_co_u32_e32 v1, vcc, 0x400, v1
	s_xor_b64 s[72:73], vcc, -1
	s_and_b64 s[72:73], exec, s[72:73]
	s_or_b64 s[66:67], s[72:73], s[66:67]
	s_andn2_b64 exec, exec, s[66:67]
	s_cbranch_execz .LBB141_118
.LBB141_52:                             ; =>This Inner Loop Header: Depth=1
	ds_read_b64 v[8:9], v14
	v_add_u32_e32 v2, 0x4000, v14
	ds_read2_b32 v[10:11], v2 offset1:1
	s_waitcnt lgkmcnt(0)
	s_barrier
	v_cmp_gt_i64_e32 vcc, s[78:79], v[8:9]
	v_and_b32_e32 v13, vcc_lo, v4
	s_bcnt1_i32_b64 s33, vcc
	v_and_b32_e32 v12, vcc_hi, v5
	v_bcnt_u32_b32 v13, v13, 0
	v_mov_b32_e32 v2, s33
	v_bcnt_u32_b32 v12, v12, v13
	ds_write_b64 v15, v[2:3] offset:32768
	s_waitcnt lgkmcnt(0)
	s_barrier
	s_and_saveexec_b64 s[72:73], s[2:3]
	s_cbranch_execnz .LBB141_85
; %bb.53:                               ;   in Loop: Header=BB141_52 Depth=1
	s_or_b64 exec, exec, s[72:73]
	s_and_saveexec_b64 s[72:73], s[4:5]
	s_cbranch_execnz .LBB141_86
.LBB141_54:                             ;   in Loop: Header=BB141_52 Depth=1
	s_or_b64 exec, exec, s[72:73]
	s_and_saveexec_b64 s[72:73], s[6:7]
	s_cbranch_execnz .LBB141_87
.LBB141_55:                             ;   in Loop: Header=BB141_52 Depth=1
	s_or_b64 exec, exec, s[72:73]
	s_and_saveexec_b64 s[72:73], s[8:9]
	s_cbranch_execnz .LBB141_88
.LBB141_56:                             ;   in Loop: Header=BB141_52 Depth=1
	s_or_b64 exec, exec, s[72:73]
	s_and_saveexec_b64 s[72:73], s[10:11]
	s_cbranch_execnz .LBB141_89
.LBB141_57:                             ;   in Loop: Header=BB141_52 Depth=1
	s_or_b64 exec, exec, s[72:73]
	s_and_saveexec_b64 s[72:73], s[12:13]
	s_cbranch_execnz .LBB141_90
.LBB141_58:                             ;   in Loop: Header=BB141_52 Depth=1
	s_or_b64 exec, exec, s[72:73]
	s_and_saveexec_b64 s[72:73], s[14:15]
	s_cbranch_execnz .LBB141_91
.LBB141_59:                             ;   in Loop: Header=BB141_52 Depth=1
	s_or_b64 exec, exec, s[72:73]
	s_and_saveexec_b64 s[72:73], s[16:17]
	s_cbranch_execnz .LBB141_92
.LBB141_60:                             ;   in Loop: Header=BB141_52 Depth=1
	s_or_b64 exec, exec, s[72:73]
	s_and_saveexec_b64 s[72:73], s[18:19]
	s_cbranch_execnz .LBB141_93
.LBB141_61:                             ;   in Loop: Header=BB141_52 Depth=1
	s_or_b64 exec, exec, s[72:73]
	s_and_saveexec_b64 s[72:73], s[20:21]
	s_cbranch_execnz .LBB141_94
.LBB141_62:                             ;   in Loop: Header=BB141_52 Depth=1
	s_or_b64 exec, exec, s[72:73]
	s_and_saveexec_b64 s[72:73], s[22:23]
	s_cbranch_execnz .LBB141_95
.LBB141_63:                             ;   in Loop: Header=BB141_52 Depth=1
	s_or_b64 exec, exec, s[72:73]
	s_and_saveexec_b64 s[72:73], s[24:25]
	s_cbranch_execnz .LBB141_96
.LBB141_64:                             ;   in Loop: Header=BB141_52 Depth=1
	s_or_b64 exec, exec, s[72:73]
	s_and_saveexec_b64 s[72:73], s[26:27]
	s_cbranch_execnz .LBB141_97
.LBB141_65:                             ;   in Loop: Header=BB141_52 Depth=1
	s_or_b64 exec, exec, s[72:73]
	s_and_saveexec_b64 s[72:73], s[28:29]
	s_cbranch_execnz .LBB141_98
.LBB141_66:                             ;   in Loop: Header=BB141_52 Depth=1
	s_or_b64 exec, exec, s[72:73]
	s_and_saveexec_b64 s[72:73], s[30:31]
	s_cbranch_execnz .LBB141_99
.LBB141_67:                             ;   in Loop: Header=BB141_52 Depth=1
	s_or_b64 exec, exec, s[72:73]
	s_and_saveexec_b64 s[72:73], s[34:35]
	s_cbranch_execnz .LBB141_100
.LBB141_68:                             ;   in Loop: Header=BB141_52 Depth=1
	s_or_b64 exec, exec, s[72:73]
	s_and_saveexec_b64 s[72:73], s[36:37]
	s_cbranch_execnz .LBB141_101
.LBB141_69:                             ;   in Loop: Header=BB141_52 Depth=1
	s_or_b64 exec, exec, s[72:73]
	s_and_saveexec_b64 s[72:73], s[38:39]
	s_cbranch_execnz .LBB141_102
.LBB141_70:                             ;   in Loop: Header=BB141_52 Depth=1
	s_or_b64 exec, exec, s[72:73]
	s_and_saveexec_b64 s[72:73], s[40:41]
	s_cbranch_execnz .LBB141_103
.LBB141_71:                             ;   in Loop: Header=BB141_52 Depth=1
	s_or_b64 exec, exec, s[72:73]
	s_and_saveexec_b64 s[72:73], s[42:43]
	s_cbranch_execnz .LBB141_104
.LBB141_72:                             ;   in Loop: Header=BB141_52 Depth=1
	s_or_b64 exec, exec, s[72:73]
	s_and_saveexec_b64 s[72:73], s[44:45]
	s_cbranch_execnz .LBB141_105
.LBB141_73:                             ;   in Loop: Header=BB141_52 Depth=1
	s_or_b64 exec, exec, s[72:73]
	s_and_saveexec_b64 s[72:73], s[46:47]
	s_cbranch_execnz .LBB141_106
.LBB141_74:                             ;   in Loop: Header=BB141_52 Depth=1
	s_or_b64 exec, exec, s[72:73]
	s_and_saveexec_b64 s[72:73], s[48:49]
	s_cbranch_execnz .LBB141_107
.LBB141_75:                             ;   in Loop: Header=BB141_52 Depth=1
	s_or_b64 exec, exec, s[72:73]
	s_and_saveexec_b64 s[72:73], s[50:51]
	s_cbranch_execnz .LBB141_108
.LBB141_76:                             ;   in Loop: Header=BB141_52 Depth=1
	s_or_b64 exec, exec, s[72:73]
	s_and_saveexec_b64 s[72:73], s[52:53]
	s_cbranch_execnz .LBB141_109
.LBB141_77:                             ;   in Loop: Header=BB141_52 Depth=1
	s_or_b64 exec, exec, s[72:73]
	s_and_saveexec_b64 s[72:73], s[54:55]
	s_cbranch_execnz .LBB141_110
.LBB141_78:                             ;   in Loop: Header=BB141_52 Depth=1
	s_or_b64 exec, exec, s[72:73]
	s_and_saveexec_b64 s[72:73], s[56:57]
	s_cbranch_execnz .LBB141_111
.LBB141_79:                             ;   in Loop: Header=BB141_52 Depth=1
	s_or_b64 exec, exec, s[72:73]
	s_and_saveexec_b64 s[72:73], s[58:59]
	s_cbranch_execnz .LBB141_112
.LBB141_80:                             ;   in Loop: Header=BB141_52 Depth=1
	s_or_b64 exec, exec, s[72:73]
	s_and_saveexec_b64 s[72:73], s[60:61]
	s_cbranch_execnz .LBB141_113
.LBB141_81:                             ;   in Loop: Header=BB141_52 Depth=1
	s_or_b64 exec, exec, s[72:73]
	s_and_saveexec_b64 s[72:73], s[62:63]
	s_cbranch_execnz .LBB141_114
.LBB141_82:                             ;   in Loop: Header=BB141_52 Depth=1
	s_or_b64 exec, exec, s[72:73]
	s_and_saveexec_b64 s[72:73], s[64:65]
	s_cbranch_execnz .LBB141_115
.LBB141_83:                             ;   in Loop: Header=BB141_52 Depth=1
	s_or_b64 exec, exec, s[72:73]
	v_ashrrev_i32_e32 v13, 31, v12
	s_and_saveexec_b64 s[72:73], vcc
	s_cbranch_execnz .LBB141_116
.LBB141_84:                             ;   in Loop: Header=BB141_52 Depth=1
	s_or_b64 exec, exec, s[72:73]
	s_and_saveexec_b64 s[72:73], s[0:1]
	s_cbranch_execz .LBB141_51
	s_branch .LBB141_117
.LBB141_85:                             ;   in Loop: Header=BB141_52 Depth=1
	ds_read_b32 v2, v3 offset:32768
	s_waitcnt lgkmcnt(0)
	v_add_u32_e32 v12, v2, v12
	s_or_b64 exec, exec, s[72:73]
	s_and_saveexec_b64 s[72:73], s[4:5]
	s_cbranch_execz .LBB141_54
.LBB141_86:                             ;   in Loop: Header=BB141_52 Depth=1
	ds_read_b32 v2, v3 offset:32776
	s_waitcnt lgkmcnt(0)
	v_add_u32_e32 v12, v12, v2
	s_or_b64 exec, exec, s[72:73]
	s_and_saveexec_b64 s[72:73], s[6:7]
	s_cbranch_execz .LBB141_55
.LBB141_87:                             ;   in Loop: Header=BB141_52 Depth=1
	ds_read_b32 v2, v3 offset:32784
	s_waitcnt lgkmcnt(0)
	v_add_u32_e32 v12, v12, v2
	s_or_b64 exec, exec, s[72:73]
	s_and_saveexec_b64 s[72:73], s[8:9]
	s_cbranch_execz .LBB141_56
.LBB141_88:                             ;   in Loop: Header=BB141_52 Depth=1
	ds_read_b32 v2, v3 offset:32792
	s_waitcnt lgkmcnt(0)
	v_add_u32_e32 v12, v12, v2
	s_or_b64 exec, exec, s[72:73]
	s_and_saveexec_b64 s[72:73], s[10:11]
	s_cbranch_execz .LBB141_57
.LBB141_89:                             ;   in Loop: Header=BB141_52 Depth=1
	ds_read_b32 v2, v3 offset:32800
	s_waitcnt lgkmcnt(0)
	v_add_u32_e32 v12, v12, v2
	s_or_b64 exec, exec, s[72:73]
	s_and_saveexec_b64 s[72:73], s[12:13]
	s_cbranch_execz .LBB141_58
.LBB141_90:                             ;   in Loop: Header=BB141_52 Depth=1
	ds_read_b32 v2, v3 offset:32808
	s_waitcnt lgkmcnt(0)
	v_add_u32_e32 v12, v12, v2
	s_or_b64 exec, exec, s[72:73]
	s_and_saveexec_b64 s[72:73], s[14:15]
	s_cbranch_execz .LBB141_59
.LBB141_91:                             ;   in Loop: Header=BB141_52 Depth=1
	ds_read_b32 v2, v3 offset:32816
	s_waitcnt lgkmcnt(0)
	v_add_u32_e32 v12, v12, v2
	s_or_b64 exec, exec, s[72:73]
	s_and_saveexec_b64 s[72:73], s[16:17]
	s_cbranch_execz .LBB141_60
.LBB141_92:                             ;   in Loop: Header=BB141_52 Depth=1
	ds_read_b32 v2, v3 offset:32824
	s_waitcnt lgkmcnt(0)
	v_add_u32_e32 v12, v12, v2
	s_or_b64 exec, exec, s[72:73]
	s_and_saveexec_b64 s[72:73], s[18:19]
	s_cbranch_execz .LBB141_61
.LBB141_93:                             ;   in Loop: Header=BB141_52 Depth=1
	ds_read_b32 v2, v3 offset:32832
	s_waitcnt lgkmcnt(0)
	v_add_u32_e32 v12, v12, v2
	s_or_b64 exec, exec, s[72:73]
	s_and_saveexec_b64 s[72:73], s[20:21]
	s_cbranch_execz .LBB141_62
.LBB141_94:                             ;   in Loop: Header=BB141_52 Depth=1
	ds_read_b32 v2, v3 offset:32840
	s_waitcnt lgkmcnt(0)
	v_add_u32_e32 v12, v12, v2
	s_or_b64 exec, exec, s[72:73]
	s_and_saveexec_b64 s[72:73], s[22:23]
	s_cbranch_execz .LBB141_63
.LBB141_95:                             ;   in Loop: Header=BB141_52 Depth=1
	ds_read_b32 v2, v3 offset:32848
	s_waitcnt lgkmcnt(0)
	v_add_u32_e32 v12, v12, v2
	s_or_b64 exec, exec, s[72:73]
	s_and_saveexec_b64 s[72:73], s[24:25]
	s_cbranch_execz .LBB141_64
.LBB141_96:                             ;   in Loop: Header=BB141_52 Depth=1
	ds_read_b32 v2, v3 offset:32856
	s_waitcnt lgkmcnt(0)
	v_add_u32_e32 v12, v12, v2
	s_or_b64 exec, exec, s[72:73]
	s_and_saveexec_b64 s[72:73], s[26:27]
	s_cbranch_execz .LBB141_65
.LBB141_97:                             ;   in Loop: Header=BB141_52 Depth=1
	ds_read_b32 v2, v3 offset:32864
	s_waitcnt lgkmcnt(0)
	v_add_u32_e32 v12, v12, v2
	s_or_b64 exec, exec, s[72:73]
	s_and_saveexec_b64 s[72:73], s[28:29]
	s_cbranch_execz .LBB141_66
.LBB141_98:                             ;   in Loop: Header=BB141_52 Depth=1
	ds_read_b32 v2, v3 offset:32872
	s_waitcnt lgkmcnt(0)
	v_add_u32_e32 v12, v12, v2
	s_or_b64 exec, exec, s[72:73]
	s_and_saveexec_b64 s[72:73], s[30:31]
	s_cbranch_execz .LBB141_67
.LBB141_99:                             ;   in Loop: Header=BB141_52 Depth=1
	ds_read_b32 v2, v3 offset:32880
	s_waitcnt lgkmcnt(0)
	v_add_u32_e32 v12, v12, v2
	s_or_b64 exec, exec, s[72:73]
	s_and_saveexec_b64 s[72:73], s[34:35]
	s_cbranch_execz .LBB141_68
.LBB141_100:                            ;   in Loop: Header=BB141_52 Depth=1
	ds_read_b32 v2, v3 offset:32888
	s_waitcnt lgkmcnt(0)
	v_add_u32_e32 v12, v12, v2
	s_or_b64 exec, exec, s[72:73]
	s_and_saveexec_b64 s[72:73], s[36:37]
	s_cbranch_execz .LBB141_69
.LBB141_101:                            ;   in Loop: Header=BB141_52 Depth=1
	ds_read_b32 v2, v3 offset:32896
	s_waitcnt lgkmcnt(0)
	v_add_u32_e32 v12, v12, v2
	s_or_b64 exec, exec, s[72:73]
	s_and_saveexec_b64 s[72:73], s[38:39]
	s_cbranch_execz .LBB141_70
.LBB141_102:                            ;   in Loop: Header=BB141_52 Depth=1
	ds_read_b32 v2, v3 offset:32904
	s_waitcnt lgkmcnt(0)
	v_add_u32_e32 v12, v12, v2
	s_or_b64 exec, exec, s[72:73]
	s_and_saveexec_b64 s[72:73], s[40:41]
	s_cbranch_execz .LBB141_71
.LBB141_103:                            ;   in Loop: Header=BB141_52 Depth=1
	ds_read_b32 v2, v3 offset:32912
	s_waitcnt lgkmcnt(0)
	v_add_u32_e32 v12, v12, v2
	s_or_b64 exec, exec, s[72:73]
	s_and_saveexec_b64 s[72:73], s[42:43]
	s_cbranch_execz .LBB141_72
.LBB141_104:                            ;   in Loop: Header=BB141_52 Depth=1
	ds_read_b32 v2, v3 offset:32920
	s_waitcnt lgkmcnt(0)
	v_add_u32_e32 v12, v12, v2
	s_or_b64 exec, exec, s[72:73]
	s_and_saveexec_b64 s[72:73], s[44:45]
	s_cbranch_execz .LBB141_73
.LBB141_105:                            ;   in Loop: Header=BB141_52 Depth=1
	ds_read_b32 v2, v3 offset:32928
	s_waitcnt lgkmcnt(0)
	v_add_u32_e32 v12, v12, v2
	s_or_b64 exec, exec, s[72:73]
	s_and_saveexec_b64 s[72:73], s[46:47]
	s_cbranch_execz .LBB141_74
.LBB141_106:                            ;   in Loop: Header=BB141_52 Depth=1
	ds_read_b32 v2, v3 offset:32936
	s_waitcnt lgkmcnt(0)
	v_add_u32_e32 v12, v12, v2
	s_or_b64 exec, exec, s[72:73]
	s_and_saveexec_b64 s[72:73], s[48:49]
	s_cbranch_execz .LBB141_75
.LBB141_107:                            ;   in Loop: Header=BB141_52 Depth=1
	ds_read_b32 v2, v3 offset:32944
	s_waitcnt lgkmcnt(0)
	v_add_u32_e32 v12, v12, v2
	s_or_b64 exec, exec, s[72:73]
	s_and_saveexec_b64 s[72:73], s[50:51]
	s_cbranch_execz .LBB141_76
.LBB141_108:                            ;   in Loop: Header=BB141_52 Depth=1
	ds_read_b32 v2, v3 offset:32952
	s_waitcnt lgkmcnt(0)
	v_add_u32_e32 v12, v12, v2
	s_or_b64 exec, exec, s[72:73]
	s_and_saveexec_b64 s[72:73], s[52:53]
	s_cbranch_execz .LBB141_77
.LBB141_109:                            ;   in Loop: Header=BB141_52 Depth=1
	ds_read_b32 v2, v3 offset:32960
	s_waitcnt lgkmcnt(0)
	v_add_u32_e32 v12, v12, v2
	s_or_b64 exec, exec, s[72:73]
	s_and_saveexec_b64 s[72:73], s[54:55]
	s_cbranch_execz .LBB141_78
.LBB141_110:                            ;   in Loop: Header=BB141_52 Depth=1
	ds_read_b32 v2, v3 offset:32968
	s_waitcnt lgkmcnt(0)
	v_add_u32_e32 v12, v12, v2
	s_or_b64 exec, exec, s[72:73]
	s_and_saveexec_b64 s[72:73], s[56:57]
	s_cbranch_execz .LBB141_79
.LBB141_111:                            ;   in Loop: Header=BB141_52 Depth=1
	ds_read_b32 v2, v3 offset:32976
	s_waitcnt lgkmcnt(0)
	v_add_u32_e32 v12, v12, v2
	s_or_b64 exec, exec, s[72:73]
	s_and_saveexec_b64 s[72:73], s[58:59]
	s_cbranch_execz .LBB141_80
.LBB141_112:                            ;   in Loop: Header=BB141_52 Depth=1
	ds_read_b32 v2, v3 offset:32984
	s_waitcnt lgkmcnt(0)
	v_add_u32_e32 v12, v12, v2
	s_or_b64 exec, exec, s[72:73]
	s_and_saveexec_b64 s[72:73], s[60:61]
	s_cbranch_execz .LBB141_81
.LBB141_113:                            ;   in Loop: Header=BB141_52 Depth=1
	ds_read_b32 v2, v3 offset:32992
	s_waitcnt lgkmcnt(0)
	v_add_u32_e32 v12, v12, v2
	s_or_b64 exec, exec, s[72:73]
	s_and_saveexec_b64 s[72:73], s[62:63]
	s_cbranch_execz .LBB141_82
.LBB141_114:                            ;   in Loop: Header=BB141_52 Depth=1
	ds_read_b32 v2, v3 offset:33000
	s_waitcnt lgkmcnt(0)
	v_add_u32_e32 v12, v12, v2
	s_or_b64 exec, exec, s[72:73]
	s_and_saveexec_b64 s[72:73], s[64:65]
	s_cbranch_execz .LBB141_83
.LBB141_115:                            ;   in Loop: Header=BB141_52 Depth=1
	ds_read_b32 v2, v3 offset:33008
	s_waitcnt lgkmcnt(0)
	v_add_u32_e32 v12, v12, v2
	s_or_b64 exec, exec, s[72:73]
	v_ashrrev_i32_e32 v13, 31, v12
	s_and_saveexec_b64 s[72:73], vcc
	s_cbranch_execz .LBB141_84
.LBB141_116:                            ;   in Loop: Header=BB141_52 Depth=1
	v_add3_u32 v2, v6, -1, v12
	v_lshl_add_u32 v2, v2, 3, 0
	v_add_u32_e32 v16, 0x4000, v2
	ds_write_b64 v2, v[8:9]
	ds_write2_b32 v16, v10, v11 offset1:1
	s_or_b64 exec, exec, s[72:73]
	s_and_saveexec_b64 s[72:73], s[0:1]
	s_cbranch_execz .LBB141_51
.LBB141_117:                            ;   in Loop: Header=BB141_52 Depth=1
	ds_write_b64 v3, v[12:13] offset:33016
	s_branch .LBB141_51
.LBB141_118:
	s_or_b64 exec, exec, s[66:67]
	s_lshl_b64 s[0:1], s[80:81], 3
	s_add_u32 s0, s68, s0
	s_addc_u32 s1, s69, s1
	s_load_dwordx4 s[0:3], s[0:1], 0x0
	v_mov_b32_e32 v1, 0
	s_waitcnt lgkmcnt(0)
	s_sub_u32 s4, s2, s0
	s_subb_u32 s5, s3, s1
	v_cmp_gt_i64_e32 vcc, s[4:5], v[0:1]
	s_and_saveexec_b64 s[6:7], vcc
	s_cbranch_execz .LBB141_128
; %bb.119:
	s_sub_u32 s6, s0, s74
	s_subb_u32 s7, s1, 0
	s_and_b32 s8, s4, 7
	s_sub_u32 s0, s0, s2
	s_mov_b32 s16, 0
	s_subb_u32 s1, s1, s3
	s_mov_b32 s9, s16
	s_and_b32 s2, s4, -8
	v_cmp_lt_u64_e64 s[0:1], s[0:1], -7
	s_cmp_lg_u64 s[8:9], 0
	v_cndmask_b32_e64 v2, 0, 1, s[0:1]
	s_mov_b32 s3, s5
	s_mov_b64 s[10:11], 0
	s_cselect_b64 s[12:13], -1, 0
	v_cmp_ne_u32_e64 s[0:1], 1, v2
	s_branch .LBB141_121
.LBB141_120:                            ;   in Loop: Header=BB141_121 Depth=1
	v_mov_b32_e32 v8, s16
	s_waitcnt lgkmcnt(1)
	v_add_co_u32_e32 v4, vcc, s74, v4
	v_addc_co_u32_e32 v5, vcc, v5, v8, vcc
	v_lshlrev_b64 v[6:7], 3, v[6:7]
	v_mov_b32_e32 v9, s71
	v_add_co_u32_e32 v8, vcc, s70, v6
	v_addc_co_u32_e32 v9, vcc, v9, v7, vcc
	global_store_dwordx2 v[8:9], v[4:5], off
	v_mov_b32_e32 v5, s77
	v_add_co_u32_e32 v4, vcc, s76, v6
	v_addc_co_u32_e32 v5, vcc, v5, v7, vcc
	v_add_co_u32_e32 v0, vcc, 0x400, v0
	v_addc_co_u32_e32 v1, vcc, 0, v1, vcc
	v_cmp_le_i64_e32 vcc, s[4:5], v[0:1]
	s_or_b64 s[10:11], vcc, s[10:11]
	s_waitcnt lgkmcnt(0)
	global_store_dwordx2 v[4:5], v[2:3], off
	s_andn2_b64 exec, exec, s[10:11]
	s_cbranch_execz .LBB141_128
.LBB141_121:                            ; =>This Loop Header: Depth=1
                                        ;     Child Loop BB141_123 Depth 2
                                        ;     Child Loop BB141_127 Depth 2
	v_lshl_add_u32 v2, v0, 3, 0
	v_add_u32_e32 v3, 0x4000, v2
	ds_read_b64 v[4:5], v2
	ds_read2_b32 v[2:3], v3 offset1:1
	s_and_b64 vcc, exec, s[0:1]
	v_pk_mov_b32 v[6:7], s[6:7], s[6:7] op_sel:[0,1]
	s_mov_b64 s[14:15], 0
	s_cbranch_vccnz .LBB141_125
; %bb.122:                              ;   in Loop: Header=BB141_121 Depth=1
	s_mov_b32 s17, 0
	v_pk_mov_b32 v[6:7], s[6:7], s[6:7] op_sel:[0,1]
.LBB141_123:                            ;   Parent Loop BB141_121 Depth=1
                                        ; =>  This Inner Loop Header: Depth=2
	v_mov_b32_e32 v20, s17
	ds_read2_b64 v[8:11], v20 offset1:1
	ds_read2_b64 v[12:15], v20 offset0:2 offset1:3
	ds_read2_b64 v[16:19], v20 offset0:4 offset1:5
	;; [unrolled: 1-line block ×3, first 2 shown]
	s_add_u32 s14, s14, 8
	s_waitcnt lgkmcnt(3)
	v_cmp_gt_i64_e32 vcc, v[4:5], v[8:9]
	v_cndmask_b32_e64 v8, 0, 1, vcc
	v_cmp_gt_i64_e32 vcc, v[4:5], v[10:11]
	v_cndmask_b32_e64 v9, 0, 1, vcc
	s_waitcnt lgkmcnt(2)
	v_cmp_gt_i64_e32 vcc, v[4:5], v[12:13]
	v_cndmask_b32_e64 v10, 0, 1, vcc
	v_cmp_gt_i64_e32 vcc, v[4:5], v[14:15]
	v_cndmask_b32_e64 v11, 0, 1, vcc
	;; [unrolled: 5-line block ×4, first 2 shown]
	v_add_co_u32_e32 v6, vcc, v6, v8
	v_addc_co_u32_e32 v7, vcc, 0, v7, vcc
	v_add_co_u32_e32 v6, vcc, v6, v9
	v_addc_co_u32_e32 v7, vcc, 0, v7, vcc
	;; [unrolled: 2-line block ×7, first 2 shown]
	s_addc_u32 s15, s15, 0
	s_add_i32 s17, s17, 64
	v_add_co_u32_e32 v6, vcc, v6, v15
	s_cmp_eq_u64 s[2:3], s[14:15]
	v_addc_co_u32_e32 v7, vcc, 0, v7, vcc
	s_cbranch_scc0 .LBB141_123
; %bb.124:                              ;   in Loop: Header=BB141_121 Depth=1
	s_mov_b64 s[14:15], s[2:3]
.LBB141_125:                            ;   in Loop: Header=BB141_121 Depth=1
	s_andn2_b64 vcc, exec, s[12:13]
	s_cbranch_vccnz .LBB141_120
; %bb.126:                              ;   in Loop: Header=BB141_121 Depth=1
	s_lshl_b32 s14, s14, 3
	s_add_i32 s17, s14, 0
	s_mov_b64 s[14:15], s[8:9]
.LBB141_127:                            ;   Parent Loop BB141_121 Depth=1
                                        ; =>  This Inner Loop Header: Depth=2
	v_mov_b32_e32 v8, s17
	ds_read_b64 v[8:9], v8
	s_add_i32 s17, s17, 8
	s_add_u32 s14, s14, -1
	s_addc_u32 s15, s15, -1
	s_cmp_lg_u64 s[14:15], 0
	s_waitcnt lgkmcnt(0)
	v_cmp_gt_i64_e32 vcc, v[4:5], v[8:9]
	v_cndmask_b32_e64 v8, 0, 1, vcc
	v_add_co_u32_e32 v6, vcc, v6, v8
	v_addc_co_u32_e32 v7, vcc, 0, v7, vcc
	s_cbranch_scc1 .LBB141_127
	s_branch .LBB141_120
.LBB141_128:
	s_endpgm
	.section	.rodata,"a",@progbits
	.p2align	6, 0x0
	.amdhsa_kernel _ZN9rocsparseL26csrgemm_fill_block_per_rowILj1024ELj32ELj2048ELj137ELj32Ell21rocsparse_complex_numIfEEEvT5_PKS3_S5_NS_24const_host_device_scalarIT6_EEPKT4_S5_PKS7_SB_S5_SD_S8_SB_S5_SD_SB_PS3_PS7_21rocsparse_index_base_SG_SG_SG_bbb
		.amdhsa_group_segment_fixed_size 0
		.amdhsa_private_segment_fixed_size 0
		.amdhsa_kernarg_size 156
		.amdhsa_user_sgpr_count 6
		.amdhsa_user_sgpr_private_segment_buffer 1
		.amdhsa_user_sgpr_dispatch_ptr 0
		.amdhsa_user_sgpr_queue_ptr 0
		.amdhsa_user_sgpr_kernarg_segment_ptr 1
		.amdhsa_user_sgpr_dispatch_id 0
		.amdhsa_user_sgpr_flat_scratch_init 0
		.amdhsa_user_sgpr_kernarg_preload_length 0
		.amdhsa_user_sgpr_kernarg_preload_offset 0
		.amdhsa_user_sgpr_private_segment_size 0
		.amdhsa_uses_dynamic_stack 0
		.amdhsa_system_sgpr_private_segment_wavefront_offset 0
		.amdhsa_system_sgpr_workgroup_id_x 1
		.amdhsa_system_sgpr_workgroup_id_y 0
		.amdhsa_system_sgpr_workgroup_id_z 0
		.amdhsa_system_sgpr_workgroup_info 0
		.amdhsa_system_vgpr_workitem_id 0
		.amdhsa_next_free_vgpr 28
		.amdhsa_next_free_sgpr 82
		.amdhsa_accum_offset 28
		.amdhsa_reserve_vcc 1
		.amdhsa_reserve_flat_scratch 0
		.amdhsa_float_round_mode_32 0
		.amdhsa_float_round_mode_16_64 0
		.amdhsa_float_denorm_mode_32 3
		.amdhsa_float_denorm_mode_16_64 3
		.amdhsa_dx10_clamp 1
		.amdhsa_ieee_mode 1
		.amdhsa_fp16_overflow 0
		.amdhsa_tg_split 0
		.amdhsa_exception_fp_ieee_invalid_op 0
		.amdhsa_exception_fp_denorm_src 0
		.amdhsa_exception_fp_ieee_div_zero 0
		.amdhsa_exception_fp_ieee_overflow 0
		.amdhsa_exception_fp_ieee_underflow 0
		.amdhsa_exception_fp_ieee_inexact 0
		.amdhsa_exception_int_div_zero 0
	.end_amdhsa_kernel
	.section	.text._ZN9rocsparseL26csrgemm_fill_block_per_rowILj1024ELj32ELj2048ELj137ELj32Ell21rocsparse_complex_numIfEEEvT5_PKS3_S5_NS_24const_host_device_scalarIT6_EEPKT4_S5_PKS7_SB_S5_SD_S8_SB_S5_SD_SB_PS3_PS7_21rocsparse_index_base_SG_SG_SG_bbb,"axG",@progbits,_ZN9rocsparseL26csrgemm_fill_block_per_rowILj1024ELj32ELj2048ELj137ELj32Ell21rocsparse_complex_numIfEEEvT5_PKS3_S5_NS_24const_host_device_scalarIT6_EEPKT4_S5_PKS7_SB_S5_SD_S8_SB_S5_SD_SB_PS3_PS7_21rocsparse_index_base_SG_SG_SG_bbb,comdat
.Lfunc_end141:
	.size	_ZN9rocsparseL26csrgemm_fill_block_per_rowILj1024ELj32ELj2048ELj137ELj32Ell21rocsparse_complex_numIfEEEvT5_PKS3_S5_NS_24const_host_device_scalarIT6_EEPKT4_S5_PKS7_SB_S5_SD_S8_SB_S5_SD_SB_PS3_PS7_21rocsparse_index_base_SG_SG_SG_bbb, .Lfunc_end141-_ZN9rocsparseL26csrgemm_fill_block_per_rowILj1024ELj32ELj2048ELj137ELj32Ell21rocsparse_complex_numIfEEEvT5_PKS3_S5_NS_24const_host_device_scalarIT6_EEPKT4_S5_PKS7_SB_S5_SD_S8_SB_S5_SD_SB_PS3_PS7_21rocsparse_index_base_SG_SG_SG_bbb
                                        ; -- End function
	.section	.AMDGPU.csdata,"",@progbits
; Kernel info:
; codeLenInByte = 4060
; NumSgprs: 86
; NumVgprs: 28
; NumAgprs: 0
; TotalNumVgprs: 28
; ScratchSize: 0
; MemoryBound: 0
; FloatMode: 240
; IeeeMode: 1
; LDSByteSize: 0 bytes/workgroup (compile time only)
; SGPRBlocks: 10
; VGPRBlocks: 3
; NumSGPRsForWavesPerEU: 86
; NumVGPRsForWavesPerEU: 28
; AccumOffset: 28
; Occupancy: 8
; WaveLimiterHint : 1
; COMPUTE_PGM_RSRC2:SCRATCH_EN: 0
; COMPUTE_PGM_RSRC2:USER_SGPR: 6
; COMPUTE_PGM_RSRC2:TRAP_HANDLER: 0
; COMPUTE_PGM_RSRC2:TGID_X_EN: 1
; COMPUTE_PGM_RSRC2:TGID_Y_EN: 0
; COMPUTE_PGM_RSRC2:TGID_Z_EN: 0
; COMPUTE_PGM_RSRC2:TIDIG_COMP_CNT: 0
; COMPUTE_PGM_RSRC3_GFX90A:ACCUM_OFFSET: 6
; COMPUTE_PGM_RSRC3_GFX90A:TG_SPLIT: 0
	.section	.text._ZN9rocsparseL26csrgemm_fill_block_per_rowILj1024ELj32ELj2048ELj137ELj64Ell21rocsparse_complex_numIfEEEvT5_PKS3_S5_NS_24const_host_device_scalarIT6_EEPKT4_S5_PKS7_SB_S5_SD_S8_SB_S5_SD_SB_PS3_PS7_21rocsparse_index_base_SG_SG_SG_bbb,"axG",@progbits,_ZN9rocsparseL26csrgemm_fill_block_per_rowILj1024ELj32ELj2048ELj137ELj64Ell21rocsparse_complex_numIfEEEvT5_PKS3_S5_NS_24const_host_device_scalarIT6_EEPKT4_S5_PKS7_SB_S5_SD_S8_SB_S5_SD_SB_PS3_PS7_21rocsparse_index_base_SG_SG_SG_bbb,comdat
	.globl	_ZN9rocsparseL26csrgemm_fill_block_per_rowILj1024ELj32ELj2048ELj137ELj64Ell21rocsparse_complex_numIfEEEvT5_PKS3_S5_NS_24const_host_device_scalarIT6_EEPKT4_S5_PKS7_SB_S5_SD_S8_SB_S5_SD_SB_PS3_PS7_21rocsparse_index_base_SG_SG_SG_bbb ; -- Begin function _ZN9rocsparseL26csrgemm_fill_block_per_rowILj1024ELj32ELj2048ELj137ELj64Ell21rocsparse_complex_numIfEEEvT5_PKS3_S5_NS_24const_host_device_scalarIT6_EEPKT4_S5_PKS7_SB_S5_SD_S8_SB_S5_SD_SB_PS3_PS7_21rocsparse_index_base_SG_SG_SG_bbb
	.p2align	8
	.type	_ZN9rocsparseL26csrgemm_fill_block_per_rowILj1024ELj32ELj2048ELj137ELj64Ell21rocsparse_complex_numIfEEEvT5_PKS3_S5_NS_24const_host_device_scalarIT6_EEPKT4_S5_PKS7_SB_S5_SD_S8_SB_S5_SD_SB_PS3_PS7_21rocsparse_index_base_SG_SG_SG_bbb,@function
_ZN9rocsparseL26csrgemm_fill_block_per_rowILj1024ELj32ELj2048ELj137ELj64Ell21rocsparse_complex_numIfEEEvT5_PKS3_S5_NS_24const_host_device_scalarIT6_EEPKT4_S5_PKS7_SB_S5_SD_S8_SB_S5_SD_SB_PS3_PS7_21rocsparse_index_base_SG_SG_SG_bbb: ; @_ZN9rocsparseL26csrgemm_fill_block_per_rowILj1024ELj32ELj2048ELj137ELj64Ell21rocsparse_complex_numIfEEEvT5_PKS3_S5_NS_24const_host_device_scalarIT6_EEPKT4_S5_PKS7_SB_S5_SD_S8_SB_S5_SD_SB_PS3_PS7_21rocsparse_index_base_SG_SG_SG_bbb
; %bb.0:
	s_load_dwordx8 s[36:43], s[4:5], 0x60
	s_load_dwordx8 s[8:15], s[4:5], 0x40
	s_load_dword s7, s[4:5], 0x98
	s_load_dwordx4 s[24:27], s[4:5], 0x8
	s_load_dwordx8 s[16:23], s[4:5], 0x20
	s_load_dwordx2 s[34:35], s[4:5], 0x80
	s_load_dwordx4 s[44:47], s[4:5], 0x88
	s_waitcnt lgkmcnt(0)
	s_bitcmp1_b32 s7, 0
	s_cselect_b64 s[30:31], -1, 0
	s_bitcmp1_b32 s7, 16
	s_cselect_b64 s[0:1], -1, 0
	s_xor_b64 s[0:1], s[0:1], -1
	v_cndmask_b32_e64 v1, 0, 1, s[0:1]
	s_mov_b32 s3, 0
	s_bitcmp0_b32 s7, 0
	v_cmp_ne_u32_e64 s[0:1], 1, v1
	s_mov_b32 s57, 0
	s_cbranch_scc1 .LBB142_5
; %bb.1:
	s_load_dwordx2 s[2:3], s[4:5], 0x18
	s_and_b64 vcc, exec, s[0:1]
	s_waitcnt lgkmcnt(0)
	s_mov_b32 s57, s2
	s_cbranch_vccnz .LBB142_3
; %bb.2:
	s_load_dword s57, s[2:3], 0x0
.LBB142_3:
	s_and_b64 vcc, exec, s[0:1]
	s_cbranch_vccnz .LBB142_5
; %bb.4:
	s_load_dword s3, s[2:3], 0x4
.LBB142_5:
	s_bitcmp1_b32 s7, 8
	s_cselect_b64 s[28:29], -1, 0
	s_bfe_u32 s2, s7, 0x10008
	s_mov_b32 s56, 0
	s_cmp_eq_u32 s2, 0
	s_mov_b32 s33, 0
	s_cbranch_scc1 .LBB142_11
; %bb.6:
	s_and_b64 vcc, exec, s[0:1]
	s_mov_b32 s33, s12
	s_cbranch_vccnz .LBB142_8
; %bb.7:
	s_load_dword s33, s[12:13], 0x0
.LBB142_8:
	s_and_b64 vcc, exec, s[0:1]
	s_cbranch_vccnz .LBB142_10
; %bb.9:
	s_load_dword s13, s[12:13], 0x4
.LBB142_10:
	s_waitcnt lgkmcnt(0)
	s_mov_b32 s56, s13
.LBB142_11:
	s_load_dwordx2 s[48:49], s[4:5], 0x0
	v_or_b32_e32 v1, 0xfffffc00, v0
	v_lshl_add_u32 v14, v0, 3, 0
	s_mov_b64 s[0:1], 0
	v_mov_b32_e32 v4, 0
	s_waitcnt lgkmcnt(0)
	v_pk_mov_b32 v[2:3], s[48:49], s[48:49] op_sel:[0,1]
	v_mov_b32_e32 v5, v14
	v_mov_b32_e32 v6, v1
.LBB142_12:                             ; =>This Inner Loop Header: Depth=1
	v_add_co_u32_e32 v6, vcc, 0x400, v6
	s_xor_b64 s[4:5], vcc, -1
	s_and_b64 s[4:5], exec, s[4:5]
	ds_write_b64 v5, v[2:3]
	v_add_u32_e32 v7, 0x4000, v5
	v_add_u32_e32 v5, 0x2000, v5
	s_or_b64 s[0:1], s[4:5], s[0:1]
	ds_write2_b32 v7, v4, v4 offset1:1
	s_andn2_b64 exec, exec, s[0:1]
	s_cbranch_execnz .LBB142_12
; %bb.13:
	s_or_b64 exec, exec, s[0:1]
	s_waitcnt lgkmcnt(0)
	s_barrier
	s_load_dwordx2 s[0:1], s[24:25], 0x0
	s_mov_b32 s7, 0
	s_waitcnt lgkmcnt(0)
	s_lshl_b64 s[0:1], s[0:1], 3
	s_add_u32 s2, s26, s0
	s_addc_u32 s4, s27, s1
	s_lshl_b64 s[0:1], s[6:7], 3
	s_add_u32 s0, s2, s0
	s_addc_u32 s1, s4, s1
	s_load_dwordx2 s[50:51], s[0:1], 0x0
	s_and_b64 vcc, exec, s[30:31]
	s_cbranch_vccz .LBB142_33
; %bb.14:
	s_waitcnt lgkmcnt(0)
	s_lshl_b64 s[0:1], s[50:51], 3
	s_add_u32 s0, s16, s0
	s_addc_u32 s1, s17, s1
	s_load_dwordx4 s[24:27], s[0:1], 0x0
	v_lshrrev_b32_e32 v2, 5, v0
	v_subrev_co_u32_e32 v2, vcc, s44, v2
	v_subb_co_u32_e64 v3, s[4:5], 0, 0, vcc
	s_waitcnt lgkmcnt(0)
	s_sub_u32 s0, s26, s44
	v_mov_b32_e32 v4, s25
	v_add_co_u32_e32 v2, vcc, s24, v2
	s_subb_u32 s1, s27, 0
	v_addc_co_u32_e32 v3, vcc, v4, v3, vcc
	v_cmp_gt_i64_e32 vcc, s[0:1], v[2:3]
	s_and_saveexec_b64 s[4:5], vcc
	s_cbranch_execz .LBB142_32
; %bb.15:
	v_and_b32_e32 v4, 31, v0
	v_subrev_co_u32_e32 v11, vcc, s45, v4
	s_mov_b32 s6, 0
	v_subb_co_u32_e64 v15, s[12:13], 0, 0, vcc
	s_mov_b32 s2, s44
	s_mov_b32 s58, s45
	s_mov_b64 s[12:13], 0
	v_mov_b32_e32 v16, s19
	v_mov_b32_e32 v17, s7
	;; [unrolled: 1-line block ×4, first 2 shown]
	s_movk_i32 s19, 0x89
	s_branch .LBB142_17
.LBB142_16:                             ;   in Loop: Header=BB142_17 Depth=1
	s_or_b64 exec, exec, s[6:7]
	v_add_co_u32_e32 v2, vcc, 32, v2
	v_addc_co_u32_e32 v3, vcc, 0, v3, vcc
	v_cmp_le_i64_e32 vcc, s[0:1], v[2:3]
	s_or_b64 s[12:13], vcc, s[12:13]
	s_andn2_b64 exec, exec, s[12:13]
	s_cbranch_execz .LBB142_32
.LBB142_17:                             ; =>This Loop Header: Depth=1
                                        ;     Child Loop BB142_20 Depth 2
                                        ;       Child Loop BB142_22 Depth 3
	v_lshlrev_b64 v[8:9], 3, v[2:3]
	v_add_co_u32_e32 v4, vcc, s18, v8
	v_addc_co_u32_e32 v5, vcc, v16, v9, vcc
	global_load_dwordx2 v[4:5], v[4:5], off
	s_waitcnt vmcnt(0)
	v_subrev_co_u32_e32 v4, vcc, s2, v4
	v_subb_co_u32_e32 v5, vcc, v5, v17, vcc
	v_lshlrev_b64 v[4:5], 3, v[4:5]
	v_add_co_u32_e32 v4, vcc, s22, v4
	v_addc_co_u32_e32 v5, vcc, v18, v5, vcc
	global_load_dwordx4 v[20:23], v[4:5], off
	s_waitcnt vmcnt(0)
	v_subrev_co_u32_e32 v4, vcc, s58, v22
	v_subb_co_u32_e32 v5, vcc, v23, v19, vcc
	v_add_co_u32_e32 v6, vcc, v20, v11
	v_addc_co_u32_e32 v7, vcc, v21, v15, vcc
	v_cmp_lt_i64_e32 vcc, v[6:7], v[4:5]
	s_and_saveexec_b64 s[6:7], vcc
	s_cbranch_execz .LBB142_16
; %bb.18:                               ;   in Loop: Header=BB142_17 Depth=1
	v_mov_b32_e32 v10, s21
	v_add_co_u32_e32 v8, vcc, s20, v8
	v_addc_co_u32_e32 v9, vcc, v10, v9, vcc
	global_load_dwordx2 v[8:9], v[8:9], off
	s_mov_b64 s[16:17], 0
	s_waitcnt vmcnt(0)
	v_mul_f32_e64 v20, v9, -s3
	v_mul_f32_e32 v21, s57, v9
	v_fmac_f32_e32 v20, s57, v8
	v_fmac_f32_e32 v21, s3, v8
	s_branch .LBB142_20
.LBB142_19:                             ;   in Loop: Header=BB142_20 Depth=2
	s_or_b64 exec, exec, s[24:25]
	v_add_co_u32_e32 v6, vcc, 32, v6
	v_addc_co_u32_e32 v7, vcc, 0, v7, vcc
	v_cmp_ge_i64_e32 vcc, v[6:7], v[4:5]
	s_or_b64 s[16:17], vcc, s[16:17]
	s_andn2_b64 exec, exec, s[16:17]
	s_cbranch_execz .LBB142_16
.LBB142_20:                             ;   Parent Loop BB142_17 Depth=1
                                        ; =>  This Loop Header: Depth=2
                                        ;       Child Loop BB142_22 Depth 3
	v_lshlrev_b64 v[8:9], 3, v[6:7]
	v_mov_b32_e32 v10, s9
	v_add_co_u32_e32 v12, vcc, s8, v8
	v_addc_co_u32_e32 v13, vcc, v10, v9, vcc
	v_mov_b32_e32 v10, s11
	v_add_co_u32_e32 v8, vcc, s10, v8
	global_load_dwordx2 v[12:13], v[12:13], off
	v_addc_co_u32_e32 v9, vcc, v10, v9, vcc
	global_load_dwordx2 v[24:25], v[8:9], off
	s_mov_b64 s[24:25], 0
	s_waitcnt vmcnt(1)
	v_subrev_co_u32_e32 v8, vcc, s58, v12
	v_mul_lo_u32 v10, v8, s19
	s_waitcnt vmcnt(0)
	v_mul_f32_e64 v22, v25, -v21
	v_mul_f32_e32 v23, v20, v25
	v_subb_co_u32_e32 v9, vcc, v13, v19, vcc
	v_fmac_f32_e32 v22, v20, v24
	v_fmac_f32_e32 v23, v21, v24
	v_and_b32_e32 v10, 0x7ff, v10
	s_branch .LBB142_22
.LBB142_21:                             ;   in Loop: Header=BB142_22 Depth=3
	s_or_b64 exec, exec, s[26:27]
	s_xor_b64 s[26:27], s[30:31], -1
	s_and_b64 s[26:27], exec, s[26:27]
	s_or_b64 s[24:25], s[26:27], s[24:25]
	s_andn2_b64 exec, exec, s[24:25]
	s_cbranch_execz .LBB142_19
.LBB142_22:                             ;   Parent Loop BB142_17 Depth=1
                                        ;     Parent Loop BB142_20 Depth=2
                                        ; =>    This Inner Loop Header: Depth=3
	v_lshl_add_u32 v24, v10, 3, 0
	ds_read_b64 v[12:13], v24
                                        ; implicit-def: $sgpr30_sgpr31
	s_waitcnt lgkmcnt(0)
	v_cmp_ne_u64_e32 vcc, v[12:13], v[8:9]
	s_and_saveexec_b64 s[26:27], vcc
	s_xor_b64 s[26:27], exec, s[26:27]
	s_cbranch_execz .LBB142_30
; %bb.23:                               ;   in Loop: Header=BB142_22 Depth=3
	v_cmp_ne_u64_e32 vcc, s[48:49], v[12:13]
                                        ; implicit-def: $sgpr30_sgpr31
	s_and_saveexec_b64 s[44:45], vcc
	s_xor_b64 s[44:45], exec, s[44:45]
; %bb.24:                               ;   in Loop: Header=BB142_22 Depth=3
	v_add_u32_e32 v10, 1, v10
	v_and_b32_e32 v10, 0x7ff, v10
	s_mov_b64 s[30:31], -1
                                        ; implicit-def: $vgpr24
; %bb.25:                               ;   in Loop: Header=BB142_22 Depth=3
	s_andn2_saveexec_b64 s[44:45], s[44:45]
	s_cbranch_execz .LBB142_29
; %bb.26:                               ;   in Loop: Header=BB142_22 Depth=3
	v_pk_mov_b32 v[12:13], s[48:49], s[48:49] op_sel:[0,1]
	ds_cmpst_rtn_b64 v[12:13], v24, v[12:13], v[8:9]
	s_mov_b64 s[52:53], -1
	s_waitcnt lgkmcnt(0)
	v_cmp_eq_u64_e32 vcc, s[48:49], v[12:13]
	s_and_saveexec_b64 s[54:55], vcc
	s_cbranch_execz .LBB142_28
; %bb.27:                               ;   in Loop: Header=BB142_22 Depth=3
	ds_add_f32 v24, v22 offset:16384
	ds_add_f32 v24, v23 offset:16388
	s_xor_b64 s[52:53], exec, -1
.LBB142_28:                             ;   in Loop: Header=BB142_22 Depth=3
	s_or_b64 exec, exec, s[54:55]
	s_andn2_b64 s[30:31], s[30:31], exec
	s_and_b64 s[52:53], s[52:53], exec
	s_or_b64 s[30:31], s[30:31], s[52:53]
.LBB142_29:                             ;   in Loop: Header=BB142_22 Depth=3
	s_or_b64 exec, exec, s[44:45]
	s_and_b64 s[30:31], s[30:31], exec
                                        ; implicit-def: $vgpr24
.LBB142_30:                             ;   in Loop: Header=BB142_22 Depth=3
	s_andn2_saveexec_b64 s[26:27], s[26:27]
	s_cbranch_execz .LBB142_21
; %bb.31:                               ;   in Loop: Header=BB142_22 Depth=3
	ds_add_f32 v24, v22 offset:16384
	ds_add_f32 v24, v23 offset:16388
	s_andn2_b64 s[30:31], s[30:31], exec
	s_branch .LBB142_21
.LBB142_32:
	s_or_b64 exec, exec, s[4:5]
.LBB142_33:
	s_andn2_b64 vcc, exec, s[28:29]
	s_cbranch_vccnz .LBB142_50
; %bb.34:
	s_waitcnt lgkmcnt(0)
	s_lshl_b64 s[0:1], s[50:51], 3
	s_add_u32 s0, s14, s0
	s_addc_u32 s1, s15, s1
	s_load_dwordx4 s[8:11], s[0:1], 0x0
	v_subrev_co_u32_e32 v2, vcc, s47, v0
	v_subb_co_u32_e64 v3, s[2:3], 0, 0, vcc
	s_waitcnt lgkmcnt(0)
	s_sub_u32 s0, s10, s47
	v_mov_b32_e32 v4, s9
	v_add_co_u32_e32 v2, vcc, s8, v2
	s_subb_u32 s1, s11, 0
	v_addc_co_u32_e32 v3, vcc, v4, v3, vcc
	s_mov_b32 s6, 0
	v_cmp_gt_i64_e32 vcc, s[0:1], v[2:3]
	s_and_saveexec_b64 s[2:3], vcc
	s_cbranch_execz .LBB142_49
; %bb.35:
	s_mov_b32 s18, s47
	s_mov_b64 s[4:5], 0
	v_mov_b32_e32 v7, s37
	v_mov_b32_e32 v10, s6
	;; [unrolled: 1-line block ×3, first 2 shown]
	s_movk_i32 s19, 0x89
	s_branch .LBB142_37
.LBB142_36:                             ;   in Loop: Header=BB142_37 Depth=1
	s_or_b64 exec, exec, s[6:7]
	v_add_co_u32_e32 v2, vcc, 0x400, v2
	v_addc_co_u32_e32 v3, vcc, 0, v3, vcc
	v_cmp_le_i64_e32 vcc, s[0:1], v[2:3]
	s_or_b64 s[4:5], vcc, s[4:5]
	s_andn2_b64 exec, exec, s[4:5]
	s_cbranch_execz .LBB142_49
.LBB142_37:                             ; =>This Loop Header: Depth=1
                                        ;     Child Loop BB142_39 Depth 2
	v_lshlrev_b64 v[4:5], 3, v[2:3]
	v_add_co_u32_e32 v8, vcc, s36, v4
	v_addc_co_u32_e32 v9, vcc, v7, v5, vcc
	v_add_co_u32_e32 v4, vcc, s38, v4
	global_load_dwordx2 v[8:9], v[8:9], off
	v_addc_co_u32_e32 v5, vcc, v11, v5, vcc
	global_load_dwordx2 v[16:17], v[4:5], off
	s_mov_b64 s[6:7], 0
	s_waitcnt vmcnt(1)
	v_subrev_co_u32_e32 v4, vcc, s18, v8
	v_mul_lo_u32 v6, v4, s19
	s_waitcnt vmcnt(0)
	v_mul_f32_e64 v12, v17, -s56
	v_mul_f32_e32 v13, s33, v17
	v_subb_co_u32_e32 v5, vcc, v9, v10, vcc
	v_fmac_f32_e32 v12, s33, v16
	v_fmac_f32_e32 v13, s56, v16
	v_and_b32_e32 v6, 0x7ff, v6
	s_branch .LBB142_39
.LBB142_38:                             ;   in Loop: Header=BB142_39 Depth=2
	s_or_b64 exec, exec, s[8:9]
	s_xor_b64 s[8:9], s[10:11], -1
	s_and_b64 s[8:9], exec, s[8:9]
	s_or_b64 s[6:7], s[8:9], s[6:7]
	s_andn2_b64 exec, exec, s[6:7]
	s_cbranch_execz .LBB142_36
.LBB142_39:                             ;   Parent Loop BB142_37 Depth=1
                                        ; =>  This Inner Loop Header: Depth=2
	v_lshl_add_u32 v15, v6, 3, 0
	ds_read_b64 v[8:9], v15
                                        ; implicit-def: $sgpr10_sgpr11
	s_waitcnt lgkmcnt(0)
	v_cmp_ne_u64_e32 vcc, v[8:9], v[4:5]
	s_and_saveexec_b64 s[8:9], vcc
	s_xor_b64 s[8:9], exec, s[8:9]
	s_cbranch_execz .LBB142_47
; %bb.40:                               ;   in Loop: Header=BB142_39 Depth=2
	v_cmp_ne_u64_e32 vcc, s[48:49], v[8:9]
                                        ; implicit-def: $sgpr10_sgpr11
	s_and_saveexec_b64 s[12:13], vcc
	s_xor_b64 s[12:13], exec, s[12:13]
; %bb.41:                               ;   in Loop: Header=BB142_39 Depth=2
	v_add_u32_e32 v6, 1, v6
	v_and_b32_e32 v6, 0x7ff, v6
	s_mov_b64 s[10:11], -1
                                        ; implicit-def: $vgpr15
; %bb.42:                               ;   in Loop: Header=BB142_39 Depth=2
	s_andn2_saveexec_b64 s[12:13], s[12:13]
	s_cbranch_execz .LBB142_46
; %bb.43:                               ;   in Loop: Header=BB142_39 Depth=2
	v_pk_mov_b32 v[8:9], s[48:49], s[48:49] op_sel:[0,1]
	ds_cmpst_rtn_b64 v[8:9], v15, v[8:9], v[4:5]
	s_mov_b64 s[14:15], -1
	s_waitcnt lgkmcnt(0)
	v_cmp_eq_u64_e32 vcc, s[48:49], v[8:9]
	s_and_saveexec_b64 s[16:17], vcc
	s_cbranch_execz .LBB142_45
; %bb.44:                               ;   in Loop: Header=BB142_39 Depth=2
	ds_add_f32 v15, v12 offset:16384
	ds_add_f32 v15, v13 offset:16388
	s_xor_b64 s[14:15], exec, -1
.LBB142_45:                             ;   in Loop: Header=BB142_39 Depth=2
	s_or_b64 exec, exec, s[16:17]
	s_andn2_b64 s[10:11], s[10:11], exec
	s_and_b64 s[14:15], s[14:15], exec
	s_or_b64 s[10:11], s[10:11], s[14:15]
.LBB142_46:                             ;   in Loop: Header=BB142_39 Depth=2
	s_or_b64 exec, exec, s[12:13]
	s_and_b64 s[10:11], s[10:11], exec
                                        ; implicit-def: $vgpr15
.LBB142_47:                             ;   in Loop: Header=BB142_39 Depth=2
	s_andn2_saveexec_b64 s[8:9], s[8:9]
	s_cbranch_execz .LBB142_38
; %bb.48:                               ;   in Loop: Header=BB142_39 Depth=2
	ds_add_f32 v15, v12 offset:16384
	ds_add_f32 v15, v13 offset:16388
	s_andn2_b64 s[10:11], s[10:11], exec
	s_branch .LBB142_38
.LBB142_49:
	s_or_b64 exec, exec, s[2:3]
.LBB142_50:
	v_mbcnt_lo_u32_b32 v2, -1, 0
	v_mbcnt_hi_u32_b32 v2, -1, v2
	v_sub_u32_e32 v2, 63, v2
	v_lshrrev_b64 v[4:5], v2, -1
	v_lshrrev_b32_e32 v2, 3, v0
	v_and_b32_e32 v2, 0x78, v2
	s_movk_i32 s0, 0x3ff
	s_movk_i32 s4, 0x7f
	;; [unrolled: 1-line block ×15, first 2 shown]
	v_mov_b32_e32 v3, 0
	v_add_u32_e32 v15, 0, v2
	v_cmp_eq_u32_e64 s[0:1], s0, v0
	v_cmp_lt_u32_e64 s[2:3], 63, v0
	v_cmp_lt_u32_e64 s[4:5], s4, v0
	;; [unrolled: 1-line block ×15, first 2 shown]
	s_mov_b64 s[36:37], 0
	v_pk_mov_b32 v[6:7], 0, 0
	s_waitcnt lgkmcnt(0)
	s_barrier
	s_branch .LBB142_52
.LBB142_51:                             ;   in Loop: Header=BB142_52 Depth=1
	s_or_b64 exec, exec, s[38:39]
	s_waitcnt lgkmcnt(0)
	s_barrier
	ds_read_b64 v[8:9], v3 offset:32888
	v_add_u32_e32 v14, 0x2000, v14
	s_waitcnt lgkmcnt(0)
	v_add_co_u32_e32 v6, vcc, v8, v6
	v_addc_co_u32_e32 v7, vcc, v9, v7, vcc
	v_add_co_u32_e32 v1, vcc, 0x400, v1
	s_xor_b64 s[38:39], vcc, -1
	s_and_b64 s[38:39], exec, s[38:39]
	s_or_b64 s[36:37], s[38:39], s[36:37]
	s_andn2_b64 exec, exec, s[36:37]
	s_cbranch_execz .LBB142_86
.LBB142_52:                             ; =>This Inner Loop Header: Depth=1
	ds_read_b64 v[8:9], v14
	v_add_u32_e32 v2, 0x4000, v14
	ds_read2_b32 v[10:11], v2 offset1:1
	s_waitcnt lgkmcnt(0)
	s_barrier
	v_cmp_gt_i64_e32 vcc, s[48:49], v[8:9]
	v_and_b32_e32 v13, vcc_lo, v4
	s_bcnt1_i32_b64 s33, vcc
	v_and_b32_e32 v12, vcc_hi, v5
	v_bcnt_u32_b32 v13, v13, 0
	v_mov_b32_e32 v2, s33
	v_bcnt_u32_b32 v12, v12, v13
	ds_write_b64 v15, v[2:3] offset:32768
	s_waitcnt lgkmcnt(0)
	s_barrier
	s_and_saveexec_b64 s[38:39], s[2:3]
	s_cbranch_execnz .LBB142_69
; %bb.53:                               ;   in Loop: Header=BB142_52 Depth=1
	s_or_b64 exec, exec, s[38:39]
	s_and_saveexec_b64 s[38:39], s[4:5]
	s_cbranch_execnz .LBB142_70
.LBB142_54:                             ;   in Loop: Header=BB142_52 Depth=1
	s_or_b64 exec, exec, s[38:39]
	s_and_saveexec_b64 s[38:39], s[6:7]
	s_cbranch_execnz .LBB142_71
.LBB142_55:                             ;   in Loop: Header=BB142_52 Depth=1
	s_or_b64 exec, exec, s[38:39]
	s_and_saveexec_b64 s[38:39], s[8:9]
	s_cbranch_execnz .LBB142_72
.LBB142_56:                             ;   in Loop: Header=BB142_52 Depth=1
	s_or_b64 exec, exec, s[38:39]
	s_and_saveexec_b64 s[38:39], s[10:11]
	s_cbranch_execnz .LBB142_73
.LBB142_57:                             ;   in Loop: Header=BB142_52 Depth=1
	s_or_b64 exec, exec, s[38:39]
	s_and_saveexec_b64 s[38:39], s[12:13]
	s_cbranch_execnz .LBB142_74
.LBB142_58:                             ;   in Loop: Header=BB142_52 Depth=1
	s_or_b64 exec, exec, s[38:39]
	s_and_saveexec_b64 s[38:39], s[14:15]
	s_cbranch_execnz .LBB142_75
.LBB142_59:                             ;   in Loop: Header=BB142_52 Depth=1
	s_or_b64 exec, exec, s[38:39]
	s_and_saveexec_b64 s[38:39], s[16:17]
	s_cbranch_execnz .LBB142_76
.LBB142_60:                             ;   in Loop: Header=BB142_52 Depth=1
	s_or_b64 exec, exec, s[38:39]
	s_and_saveexec_b64 s[38:39], s[18:19]
	s_cbranch_execnz .LBB142_77
.LBB142_61:                             ;   in Loop: Header=BB142_52 Depth=1
	s_or_b64 exec, exec, s[38:39]
	s_and_saveexec_b64 s[38:39], s[20:21]
	s_cbranch_execnz .LBB142_78
.LBB142_62:                             ;   in Loop: Header=BB142_52 Depth=1
	s_or_b64 exec, exec, s[38:39]
	s_and_saveexec_b64 s[38:39], s[22:23]
	s_cbranch_execnz .LBB142_79
.LBB142_63:                             ;   in Loop: Header=BB142_52 Depth=1
	s_or_b64 exec, exec, s[38:39]
	s_and_saveexec_b64 s[38:39], s[24:25]
	s_cbranch_execnz .LBB142_80
.LBB142_64:                             ;   in Loop: Header=BB142_52 Depth=1
	s_or_b64 exec, exec, s[38:39]
	s_and_saveexec_b64 s[38:39], s[26:27]
	s_cbranch_execnz .LBB142_81
.LBB142_65:                             ;   in Loop: Header=BB142_52 Depth=1
	s_or_b64 exec, exec, s[38:39]
	s_and_saveexec_b64 s[38:39], s[28:29]
	s_cbranch_execnz .LBB142_82
.LBB142_66:                             ;   in Loop: Header=BB142_52 Depth=1
	s_or_b64 exec, exec, s[38:39]
	s_and_saveexec_b64 s[38:39], s[30:31]
	s_cbranch_execnz .LBB142_83
.LBB142_67:                             ;   in Loop: Header=BB142_52 Depth=1
	s_or_b64 exec, exec, s[38:39]
	v_ashrrev_i32_e32 v13, 31, v12
	s_and_saveexec_b64 s[38:39], vcc
	s_cbranch_execnz .LBB142_84
.LBB142_68:                             ;   in Loop: Header=BB142_52 Depth=1
	s_or_b64 exec, exec, s[38:39]
	s_and_saveexec_b64 s[38:39], s[0:1]
	s_cbranch_execz .LBB142_51
	s_branch .LBB142_85
.LBB142_69:                             ;   in Loop: Header=BB142_52 Depth=1
	ds_read_b32 v2, v3 offset:32768
	s_waitcnt lgkmcnt(0)
	v_add_u32_e32 v12, v2, v12
	s_or_b64 exec, exec, s[38:39]
	s_and_saveexec_b64 s[38:39], s[4:5]
	s_cbranch_execz .LBB142_54
.LBB142_70:                             ;   in Loop: Header=BB142_52 Depth=1
	ds_read_b32 v2, v3 offset:32776
	s_waitcnt lgkmcnt(0)
	v_add_u32_e32 v12, v12, v2
	s_or_b64 exec, exec, s[38:39]
	s_and_saveexec_b64 s[38:39], s[6:7]
	s_cbranch_execz .LBB142_55
.LBB142_71:                             ;   in Loop: Header=BB142_52 Depth=1
	ds_read_b32 v2, v3 offset:32784
	s_waitcnt lgkmcnt(0)
	v_add_u32_e32 v12, v12, v2
	s_or_b64 exec, exec, s[38:39]
	s_and_saveexec_b64 s[38:39], s[8:9]
	s_cbranch_execz .LBB142_56
.LBB142_72:                             ;   in Loop: Header=BB142_52 Depth=1
	ds_read_b32 v2, v3 offset:32792
	s_waitcnt lgkmcnt(0)
	v_add_u32_e32 v12, v12, v2
	s_or_b64 exec, exec, s[38:39]
	s_and_saveexec_b64 s[38:39], s[10:11]
	s_cbranch_execz .LBB142_57
.LBB142_73:                             ;   in Loop: Header=BB142_52 Depth=1
	ds_read_b32 v2, v3 offset:32800
	s_waitcnt lgkmcnt(0)
	v_add_u32_e32 v12, v12, v2
	s_or_b64 exec, exec, s[38:39]
	s_and_saveexec_b64 s[38:39], s[12:13]
	s_cbranch_execz .LBB142_58
.LBB142_74:                             ;   in Loop: Header=BB142_52 Depth=1
	ds_read_b32 v2, v3 offset:32808
	s_waitcnt lgkmcnt(0)
	v_add_u32_e32 v12, v12, v2
	s_or_b64 exec, exec, s[38:39]
	s_and_saveexec_b64 s[38:39], s[14:15]
	s_cbranch_execz .LBB142_59
.LBB142_75:                             ;   in Loop: Header=BB142_52 Depth=1
	ds_read_b32 v2, v3 offset:32816
	s_waitcnt lgkmcnt(0)
	v_add_u32_e32 v12, v12, v2
	s_or_b64 exec, exec, s[38:39]
	s_and_saveexec_b64 s[38:39], s[16:17]
	s_cbranch_execz .LBB142_60
.LBB142_76:                             ;   in Loop: Header=BB142_52 Depth=1
	ds_read_b32 v2, v3 offset:32824
	s_waitcnt lgkmcnt(0)
	v_add_u32_e32 v12, v12, v2
	s_or_b64 exec, exec, s[38:39]
	s_and_saveexec_b64 s[38:39], s[18:19]
	s_cbranch_execz .LBB142_61
.LBB142_77:                             ;   in Loop: Header=BB142_52 Depth=1
	ds_read_b32 v2, v3 offset:32832
	s_waitcnt lgkmcnt(0)
	v_add_u32_e32 v12, v12, v2
	s_or_b64 exec, exec, s[38:39]
	s_and_saveexec_b64 s[38:39], s[20:21]
	s_cbranch_execz .LBB142_62
.LBB142_78:                             ;   in Loop: Header=BB142_52 Depth=1
	ds_read_b32 v2, v3 offset:32840
	s_waitcnt lgkmcnt(0)
	v_add_u32_e32 v12, v12, v2
	s_or_b64 exec, exec, s[38:39]
	s_and_saveexec_b64 s[38:39], s[22:23]
	s_cbranch_execz .LBB142_63
.LBB142_79:                             ;   in Loop: Header=BB142_52 Depth=1
	ds_read_b32 v2, v3 offset:32848
	s_waitcnt lgkmcnt(0)
	v_add_u32_e32 v12, v12, v2
	s_or_b64 exec, exec, s[38:39]
	s_and_saveexec_b64 s[38:39], s[24:25]
	s_cbranch_execz .LBB142_64
.LBB142_80:                             ;   in Loop: Header=BB142_52 Depth=1
	ds_read_b32 v2, v3 offset:32856
	s_waitcnt lgkmcnt(0)
	v_add_u32_e32 v12, v12, v2
	s_or_b64 exec, exec, s[38:39]
	s_and_saveexec_b64 s[38:39], s[26:27]
	s_cbranch_execz .LBB142_65
.LBB142_81:                             ;   in Loop: Header=BB142_52 Depth=1
	ds_read_b32 v2, v3 offset:32864
	s_waitcnt lgkmcnt(0)
	v_add_u32_e32 v12, v12, v2
	s_or_b64 exec, exec, s[38:39]
	s_and_saveexec_b64 s[38:39], s[28:29]
	s_cbranch_execz .LBB142_66
.LBB142_82:                             ;   in Loop: Header=BB142_52 Depth=1
	ds_read_b32 v2, v3 offset:32872
	s_waitcnt lgkmcnt(0)
	v_add_u32_e32 v12, v12, v2
	s_or_b64 exec, exec, s[38:39]
	s_and_saveexec_b64 s[38:39], s[30:31]
	s_cbranch_execz .LBB142_67
.LBB142_83:                             ;   in Loop: Header=BB142_52 Depth=1
	ds_read_b32 v2, v3 offset:32880
	s_waitcnt lgkmcnt(0)
	v_add_u32_e32 v12, v12, v2
	s_or_b64 exec, exec, s[38:39]
	v_ashrrev_i32_e32 v13, 31, v12
	s_and_saveexec_b64 s[38:39], vcc
	s_cbranch_execz .LBB142_68
.LBB142_84:                             ;   in Loop: Header=BB142_52 Depth=1
	v_add3_u32 v2, v6, -1, v12
	v_lshl_add_u32 v2, v2, 3, 0
	v_add_u32_e32 v16, 0x4000, v2
	ds_write_b64 v2, v[8:9]
	ds_write2_b32 v16, v10, v11 offset1:1
	s_or_b64 exec, exec, s[38:39]
	s_and_saveexec_b64 s[38:39], s[0:1]
	s_cbranch_execz .LBB142_51
.LBB142_85:                             ;   in Loop: Header=BB142_52 Depth=1
	ds_write_b64 v3, v[12:13] offset:32888
	s_branch .LBB142_51
.LBB142_86:
	s_or_b64 exec, exec, s[36:37]
	s_lshl_b64 s[0:1], s[50:51], 3
	s_add_u32 s0, s40, s0
	s_addc_u32 s1, s41, s1
	s_load_dwordx4 s[0:3], s[0:1], 0x0
	v_mov_b32_e32 v1, 0
	s_waitcnt lgkmcnt(0)
	s_sub_u32 s4, s2, s0
	s_subb_u32 s5, s3, s1
	v_cmp_gt_i64_e32 vcc, s[4:5], v[0:1]
	s_and_saveexec_b64 s[6:7], vcc
	s_cbranch_execz .LBB142_96
; %bb.87:
	s_sub_u32 s6, s0, s46
	s_subb_u32 s7, s1, 0
	s_and_b32 s8, s4, 7
	s_sub_u32 s0, s0, s2
	s_mov_b32 s16, 0
	s_subb_u32 s1, s1, s3
	s_mov_b32 s9, s16
	s_and_b32 s2, s4, -8
	v_cmp_lt_u64_e64 s[0:1], s[0:1], -7
	s_cmp_lg_u64 s[8:9], 0
	v_cndmask_b32_e64 v2, 0, 1, s[0:1]
	s_mov_b32 s3, s5
	s_mov_b64 s[10:11], 0
	s_cselect_b64 s[12:13], -1, 0
	v_cmp_ne_u32_e64 s[0:1], 1, v2
	s_branch .LBB142_89
.LBB142_88:                             ;   in Loop: Header=BB142_89 Depth=1
	v_mov_b32_e32 v8, s16
	s_waitcnt lgkmcnt(1)
	v_add_co_u32_e32 v4, vcc, s46, v4
	v_addc_co_u32_e32 v5, vcc, v5, v8, vcc
	v_lshlrev_b64 v[6:7], 3, v[6:7]
	v_mov_b32_e32 v9, s43
	v_add_co_u32_e32 v8, vcc, s42, v6
	v_addc_co_u32_e32 v9, vcc, v9, v7, vcc
	global_store_dwordx2 v[8:9], v[4:5], off
	v_mov_b32_e32 v5, s35
	v_add_co_u32_e32 v4, vcc, s34, v6
	v_addc_co_u32_e32 v5, vcc, v5, v7, vcc
	v_add_co_u32_e32 v0, vcc, 0x400, v0
	v_addc_co_u32_e32 v1, vcc, 0, v1, vcc
	v_cmp_le_i64_e32 vcc, s[4:5], v[0:1]
	s_or_b64 s[10:11], vcc, s[10:11]
	s_waitcnt lgkmcnt(0)
	global_store_dwordx2 v[4:5], v[2:3], off
	s_andn2_b64 exec, exec, s[10:11]
	s_cbranch_execz .LBB142_96
.LBB142_89:                             ; =>This Loop Header: Depth=1
                                        ;     Child Loop BB142_91 Depth 2
                                        ;     Child Loop BB142_95 Depth 2
	v_lshl_add_u32 v2, v0, 3, 0
	v_add_u32_e32 v3, 0x4000, v2
	ds_read_b64 v[4:5], v2
	ds_read2_b32 v[2:3], v3 offset1:1
	s_and_b64 vcc, exec, s[0:1]
	v_pk_mov_b32 v[6:7], s[6:7], s[6:7] op_sel:[0,1]
	s_mov_b64 s[14:15], 0
	s_cbranch_vccnz .LBB142_93
; %bb.90:                               ;   in Loop: Header=BB142_89 Depth=1
	s_mov_b32 s17, 0
	v_pk_mov_b32 v[6:7], s[6:7], s[6:7] op_sel:[0,1]
.LBB142_91:                             ;   Parent Loop BB142_89 Depth=1
                                        ; =>  This Inner Loop Header: Depth=2
	v_mov_b32_e32 v20, s17
	ds_read2_b64 v[8:11], v20 offset1:1
	ds_read2_b64 v[12:15], v20 offset0:2 offset1:3
	ds_read2_b64 v[16:19], v20 offset0:4 offset1:5
	ds_read2_b64 v[20:23], v20 offset0:6 offset1:7
	s_add_u32 s14, s14, 8
	s_waitcnt lgkmcnt(3)
	v_cmp_gt_i64_e32 vcc, v[4:5], v[8:9]
	v_cndmask_b32_e64 v8, 0, 1, vcc
	v_cmp_gt_i64_e32 vcc, v[4:5], v[10:11]
	v_cndmask_b32_e64 v9, 0, 1, vcc
	s_waitcnt lgkmcnt(2)
	v_cmp_gt_i64_e32 vcc, v[4:5], v[12:13]
	v_cndmask_b32_e64 v10, 0, 1, vcc
	v_cmp_gt_i64_e32 vcc, v[4:5], v[14:15]
	v_cndmask_b32_e64 v11, 0, 1, vcc
	;; [unrolled: 5-line block ×4, first 2 shown]
	v_add_co_u32_e32 v6, vcc, v6, v8
	v_addc_co_u32_e32 v7, vcc, 0, v7, vcc
	v_add_co_u32_e32 v6, vcc, v6, v9
	v_addc_co_u32_e32 v7, vcc, 0, v7, vcc
	;; [unrolled: 2-line block ×7, first 2 shown]
	s_addc_u32 s15, s15, 0
	s_add_i32 s17, s17, 64
	v_add_co_u32_e32 v6, vcc, v6, v15
	s_cmp_eq_u64 s[2:3], s[14:15]
	v_addc_co_u32_e32 v7, vcc, 0, v7, vcc
	s_cbranch_scc0 .LBB142_91
; %bb.92:                               ;   in Loop: Header=BB142_89 Depth=1
	s_mov_b64 s[14:15], s[2:3]
.LBB142_93:                             ;   in Loop: Header=BB142_89 Depth=1
	s_andn2_b64 vcc, exec, s[12:13]
	s_cbranch_vccnz .LBB142_88
; %bb.94:                               ;   in Loop: Header=BB142_89 Depth=1
	s_lshl_b32 s14, s14, 3
	s_add_i32 s17, s14, 0
	s_mov_b64 s[14:15], s[8:9]
.LBB142_95:                             ;   Parent Loop BB142_89 Depth=1
                                        ; =>  This Inner Loop Header: Depth=2
	v_mov_b32_e32 v8, s17
	ds_read_b64 v[8:9], v8
	s_add_i32 s17, s17, 8
	s_add_u32 s14, s14, -1
	s_addc_u32 s15, s15, -1
	s_cmp_lg_u64 s[14:15], 0
	s_waitcnt lgkmcnt(0)
	v_cmp_gt_i64_e32 vcc, v[4:5], v[8:9]
	v_cndmask_b32_e64 v8, 0, 1, vcc
	v_add_co_u32_e32 v6, vcc, v6, v8
	v_addc_co_u32_e32 v7, vcc, 0, v7, vcc
	s_cbranch_scc1 .LBB142_95
	s_branch .LBB142_88
.LBB142_96:
	s_endpgm
	.section	.rodata,"a",@progbits
	.p2align	6, 0x0
	.amdhsa_kernel _ZN9rocsparseL26csrgemm_fill_block_per_rowILj1024ELj32ELj2048ELj137ELj64Ell21rocsparse_complex_numIfEEEvT5_PKS3_S5_NS_24const_host_device_scalarIT6_EEPKT4_S5_PKS7_SB_S5_SD_S8_SB_S5_SD_SB_PS3_PS7_21rocsparse_index_base_SG_SG_SG_bbb
		.amdhsa_group_segment_fixed_size 0
		.amdhsa_private_segment_fixed_size 0
		.amdhsa_kernarg_size 156
		.amdhsa_user_sgpr_count 6
		.amdhsa_user_sgpr_private_segment_buffer 1
		.amdhsa_user_sgpr_dispatch_ptr 0
		.amdhsa_user_sgpr_queue_ptr 0
		.amdhsa_user_sgpr_kernarg_segment_ptr 1
		.amdhsa_user_sgpr_dispatch_id 0
		.amdhsa_user_sgpr_flat_scratch_init 0
		.amdhsa_user_sgpr_kernarg_preload_length 0
		.amdhsa_user_sgpr_kernarg_preload_offset 0
		.amdhsa_user_sgpr_private_segment_size 0
		.amdhsa_uses_dynamic_stack 0
		.amdhsa_system_sgpr_private_segment_wavefront_offset 0
		.amdhsa_system_sgpr_workgroup_id_x 1
		.amdhsa_system_sgpr_workgroup_id_y 0
		.amdhsa_system_sgpr_workgroup_id_z 0
		.amdhsa_system_sgpr_workgroup_info 0
		.amdhsa_system_vgpr_workitem_id 0
		.amdhsa_next_free_vgpr 26
		.amdhsa_next_free_sgpr 59
		.amdhsa_accum_offset 28
		.amdhsa_reserve_vcc 1
		.amdhsa_reserve_flat_scratch 0
		.amdhsa_float_round_mode_32 0
		.amdhsa_float_round_mode_16_64 0
		.amdhsa_float_denorm_mode_32 3
		.amdhsa_float_denorm_mode_16_64 3
		.amdhsa_dx10_clamp 1
		.amdhsa_ieee_mode 1
		.amdhsa_fp16_overflow 0
		.amdhsa_tg_split 0
		.amdhsa_exception_fp_ieee_invalid_op 0
		.amdhsa_exception_fp_denorm_src 0
		.amdhsa_exception_fp_ieee_div_zero 0
		.amdhsa_exception_fp_ieee_overflow 0
		.amdhsa_exception_fp_ieee_underflow 0
		.amdhsa_exception_fp_ieee_inexact 0
		.amdhsa_exception_int_div_zero 0
	.end_amdhsa_kernel
	.section	.text._ZN9rocsparseL26csrgemm_fill_block_per_rowILj1024ELj32ELj2048ELj137ELj64Ell21rocsparse_complex_numIfEEEvT5_PKS3_S5_NS_24const_host_device_scalarIT6_EEPKT4_S5_PKS7_SB_S5_SD_S8_SB_S5_SD_SB_PS3_PS7_21rocsparse_index_base_SG_SG_SG_bbb,"axG",@progbits,_ZN9rocsparseL26csrgemm_fill_block_per_rowILj1024ELj32ELj2048ELj137ELj64Ell21rocsparse_complex_numIfEEEvT5_PKS3_S5_NS_24const_host_device_scalarIT6_EEPKT4_S5_PKS7_SB_S5_SD_S8_SB_S5_SD_SB_PS3_PS7_21rocsparse_index_base_SG_SG_SG_bbb,comdat
.Lfunc_end142:
	.size	_ZN9rocsparseL26csrgemm_fill_block_per_rowILj1024ELj32ELj2048ELj137ELj64Ell21rocsparse_complex_numIfEEEvT5_PKS3_S5_NS_24const_host_device_scalarIT6_EEPKT4_S5_PKS7_SB_S5_SD_S8_SB_S5_SD_SB_PS3_PS7_21rocsparse_index_base_SG_SG_SG_bbb, .Lfunc_end142-_ZN9rocsparseL26csrgemm_fill_block_per_rowILj1024ELj32ELj2048ELj137ELj64Ell21rocsparse_complex_numIfEEEvT5_PKS3_S5_NS_24const_host_device_scalarIT6_EEPKT4_S5_PKS7_SB_S5_SD_S8_SB_S5_SD_SB_PS3_PS7_21rocsparse_index_base_SG_SG_SG_bbb
                                        ; -- End function
	.section	.AMDGPU.csdata,"",@progbits
; Kernel info:
; codeLenInByte = 3240
; NumSgprs: 63
; NumVgprs: 26
; NumAgprs: 0
; TotalNumVgprs: 26
; ScratchSize: 0
; MemoryBound: 0
; FloatMode: 240
; IeeeMode: 1
; LDSByteSize: 0 bytes/workgroup (compile time only)
; SGPRBlocks: 7
; VGPRBlocks: 3
; NumSGPRsForWavesPerEU: 63
; NumVGPRsForWavesPerEU: 26
; AccumOffset: 28
; Occupancy: 8
; WaveLimiterHint : 1
; COMPUTE_PGM_RSRC2:SCRATCH_EN: 0
; COMPUTE_PGM_RSRC2:USER_SGPR: 6
; COMPUTE_PGM_RSRC2:TRAP_HANDLER: 0
; COMPUTE_PGM_RSRC2:TGID_X_EN: 1
; COMPUTE_PGM_RSRC2:TGID_Y_EN: 0
; COMPUTE_PGM_RSRC2:TGID_Z_EN: 0
; COMPUTE_PGM_RSRC2:TIDIG_COMP_CNT: 0
; COMPUTE_PGM_RSRC3_GFX90A:ACCUM_OFFSET: 6
; COMPUTE_PGM_RSRC3_GFX90A:TG_SPLIT: 0
	.section	.text._ZN9rocsparseL26csrgemm_fill_block_per_rowILj1024ELj64ELj4096ELj137ELj32Ell21rocsparse_complex_numIfEEEvT5_PKS3_S5_NS_24const_host_device_scalarIT6_EEPKT4_S5_PKS7_SB_S5_SD_S8_SB_S5_SD_SB_PS3_PS7_21rocsparse_index_base_SG_SG_SG_bbb,"axG",@progbits,_ZN9rocsparseL26csrgemm_fill_block_per_rowILj1024ELj64ELj4096ELj137ELj32Ell21rocsparse_complex_numIfEEEvT5_PKS3_S5_NS_24const_host_device_scalarIT6_EEPKT4_S5_PKS7_SB_S5_SD_S8_SB_S5_SD_SB_PS3_PS7_21rocsparse_index_base_SG_SG_SG_bbb,comdat
	.globl	_ZN9rocsparseL26csrgemm_fill_block_per_rowILj1024ELj64ELj4096ELj137ELj32Ell21rocsparse_complex_numIfEEEvT5_PKS3_S5_NS_24const_host_device_scalarIT6_EEPKT4_S5_PKS7_SB_S5_SD_S8_SB_S5_SD_SB_PS3_PS7_21rocsparse_index_base_SG_SG_SG_bbb ; -- Begin function _ZN9rocsparseL26csrgemm_fill_block_per_rowILj1024ELj64ELj4096ELj137ELj32Ell21rocsparse_complex_numIfEEEvT5_PKS3_S5_NS_24const_host_device_scalarIT6_EEPKT4_S5_PKS7_SB_S5_SD_S8_SB_S5_SD_SB_PS3_PS7_21rocsparse_index_base_SG_SG_SG_bbb
	.p2align	8
	.type	_ZN9rocsparseL26csrgemm_fill_block_per_rowILj1024ELj64ELj4096ELj137ELj32Ell21rocsparse_complex_numIfEEEvT5_PKS3_S5_NS_24const_host_device_scalarIT6_EEPKT4_S5_PKS7_SB_S5_SD_S8_SB_S5_SD_SB_PS3_PS7_21rocsparse_index_base_SG_SG_SG_bbb,@function
_ZN9rocsparseL26csrgemm_fill_block_per_rowILj1024ELj64ELj4096ELj137ELj32Ell21rocsparse_complex_numIfEEEvT5_PKS3_S5_NS_24const_host_device_scalarIT6_EEPKT4_S5_PKS7_SB_S5_SD_S8_SB_S5_SD_SB_PS3_PS7_21rocsparse_index_base_SG_SG_SG_bbb: ; @_ZN9rocsparseL26csrgemm_fill_block_per_rowILj1024ELj64ELj4096ELj137ELj32Ell21rocsparse_complex_numIfEEEvT5_PKS3_S5_NS_24const_host_device_scalarIT6_EEPKT4_S5_PKS7_SB_S5_SD_S8_SB_S5_SD_SB_PS3_PS7_21rocsparse_index_base_SG_SG_SG_bbb
; %bb.0:
	s_load_dwordx8 s[48:55], s[4:5], 0x60
	s_load_dwordx8 s[8:15], s[4:5], 0x40
	s_load_dword s7, s[4:5], 0x98
	s_load_dwordx4 s[24:27], s[4:5], 0x8
	s_load_dwordx8 s[16:23], s[4:5], 0x20
	s_load_dwordx2 s[0:1], s[4:5], 0x80
                                        ; implicit-def: $vgpr26 : SGPR spill to VGPR lane
	s_load_dwordx4 s[44:47], s[4:5], 0x88
	s_waitcnt lgkmcnt(0)
	s_bitcmp1_b32 s7, 0
	s_cselect_b64 s[30:31], -1, 0
	s_bitcmp1_b32 s7, 16
	v_writelane_b32 v26, s0, 0
	v_writelane_b32 v26, s1, 1
	s_cselect_b64 s[0:1], -1, 0
	s_xor_b64 s[0:1], s[0:1], -1
	v_cndmask_b32_e64 v1, 0, 1, s[0:1]
	s_mov_b32 s3, 0
	s_bitcmp0_b32 s7, 0
	v_cmp_ne_u32_e64 s[0:1], 1, v1
	s_mov_b32 s41, 0
	s_cbranch_scc1 .LBB143_5
; %bb.1:
	s_load_dwordx2 s[2:3], s[4:5], 0x18
	s_and_b64 vcc, exec, s[0:1]
	s_waitcnt lgkmcnt(0)
	s_mov_b32 s41, s2
	s_cbranch_vccnz .LBB143_3
; %bb.2:
	s_load_dword s41, s[2:3], 0x0
.LBB143_3:
	s_and_b64 vcc, exec, s[0:1]
	s_cbranch_vccnz .LBB143_5
; %bb.4:
	s_load_dword s3, s[2:3], 0x4
.LBB143_5:
	s_bitcmp1_b32 s7, 8
	s_cselect_b64 s[28:29], -1, 0
	s_bfe_u32 s2, s7, 0x10008
	s_mov_b32 s40, 0
	s_cmp_eq_u32 s2, 0
	s_mov_b32 s33, 0
	s_cbranch_scc1 .LBB143_11
; %bb.6:
	s_and_b64 vcc, exec, s[0:1]
	s_mov_b32 s33, s12
	s_cbranch_vccnz .LBB143_8
; %bb.7:
	s_load_dword s33, s[12:13], 0x0
.LBB143_8:
	s_and_b64 vcc, exec, s[0:1]
	s_cbranch_vccnz .LBB143_10
; %bb.9:
	s_load_dword s13, s[12:13], 0x4
.LBB143_10:
	s_waitcnt lgkmcnt(0)
	s_mov_b32 s40, s13
.LBB143_11:
	s_load_dwordx2 s[78:79], s[4:5], 0x0
	v_or_b32_e32 v1, 0xfffffc00, v0
	v_lshl_add_u32 v14, v0, 3, 0
	s_mov_b64 s[0:1], 0
	v_mov_b32_e32 v4, 0
	s_waitcnt lgkmcnt(0)
	v_pk_mov_b32 v[2:3], s[78:79], s[78:79] op_sel:[0,1]
	s_movk_i32 s2, 0xbff
	v_mov_b32_e32 v5, v14
	v_mov_b32_e32 v6, v1
.LBB143_12:                             ; =>This Inner Loop Header: Depth=1
	v_add_u32_e32 v6, 0x400, v6
	v_cmp_lt_u32_e32 vcc, s2, v6
	ds_write_b64 v5, v[2:3]
	v_add_u32_e32 v7, 0x8000, v5
	v_add_u32_e32 v5, 0x2000, v5
	s_or_b64 s[0:1], vcc, s[0:1]
	ds_write2_b32 v7, v4, v4 offset1:1
	s_andn2_b64 exec, exec, s[0:1]
	s_cbranch_execnz .LBB143_12
; %bb.13:
	s_or_b64 exec, exec, s[0:1]
	s_waitcnt lgkmcnt(0)
	s_barrier
	s_load_dwordx2 s[0:1], s[24:25], 0x0
	s_mov_b32 s7, 0
	s_waitcnt lgkmcnt(0)
	s_lshl_b64 s[0:1], s[0:1], 3
	s_add_u32 s2, s26, s0
	s_addc_u32 s4, s27, s1
	s_lshl_b64 s[0:1], s[6:7], 3
	s_add_u32 s0, s2, s0
	s_addc_u32 s1, s4, s1
	s_load_dwordx2 s[56:57], s[0:1], 0x0
	s_and_b64 vcc, exec, s[30:31]
	s_cbranch_vccz .LBB143_33
; %bb.14:
	s_waitcnt lgkmcnt(0)
	s_lshl_b64 s[0:1], s[56:57], 3
	s_add_u32 s0, s16, s0
	s_addc_u32 s1, s17, s1
	s_load_dwordx4 s[24:27], s[0:1], 0x0
	v_lshrrev_b32_e32 v2, 6, v0
	v_subrev_co_u32_e32 v2, vcc, s44, v2
	v_subb_co_u32_e64 v3, s[4:5], 0, 0, vcc
	s_waitcnt lgkmcnt(0)
	s_sub_u32 s0, s26, s44
	v_mov_b32_e32 v4, s25
	v_add_co_u32_e32 v2, vcc, s24, v2
	s_subb_u32 s1, s27, 0
	v_addc_co_u32_e32 v3, vcc, v4, v3, vcc
	v_cmp_gt_i64_e32 vcc, s[0:1], v[2:3]
	s_and_saveexec_b64 s[4:5], vcc
	s_cbranch_execz .LBB143_32
; %bb.15:
	v_and_b32_e32 v4, 63, v0
	v_subrev_co_u32_e32 v11, vcc, s45, v4
	s_mov_b32 s6, 0
	v_subb_co_u32_e64 v15, s[12:13], 0, 0, vcc
	s_mov_b32 s2, s44
	s_mov_b32 s42, s45
	s_mov_b64 s[12:13], 0
	v_mov_b32_e32 v16, s19
	v_mov_b32_e32 v17, s7
	;; [unrolled: 1-line block ×4, first 2 shown]
	s_movk_i32 s19, 0x89
	s_branch .LBB143_17
.LBB143_16:                             ;   in Loop: Header=BB143_17 Depth=1
	s_or_b64 exec, exec, s[6:7]
	v_add_co_u32_e32 v2, vcc, 16, v2
	v_addc_co_u32_e32 v3, vcc, 0, v3, vcc
	v_cmp_le_i64_e32 vcc, s[0:1], v[2:3]
	s_or_b64 s[12:13], vcc, s[12:13]
	s_andn2_b64 exec, exec, s[12:13]
	s_cbranch_execz .LBB143_32
.LBB143_17:                             ; =>This Loop Header: Depth=1
                                        ;     Child Loop BB143_20 Depth 2
                                        ;       Child Loop BB143_22 Depth 3
	v_lshlrev_b64 v[8:9], 3, v[2:3]
	v_add_co_u32_e32 v4, vcc, s18, v8
	v_addc_co_u32_e32 v5, vcc, v16, v9, vcc
	global_load_dwordx2 v[4:5], v[4:5], off
	s_waitcnt vmcnt(0)
	v_subrev_co_u32_e32 v4, vcc, s2, v4
	v_subb_co_u32_e32 v5, vcc, v5, v17, vcc
	v_lshlrev_b64 v[4:5], 3, v[4:5]
	v_add_co_u32_e32 v4, vcc, s22, v4
	v_addc_co_u32_e32 v5, vcc, v18, v5, vcc
	global_load_dwordx4 v[20:23], v[4:5], off
	s_waitcnt vmcnt(0)
	v_subrev_co_u32_e32 v4, vcc, s42, v22
	v_subb_co_u32_e32 v5, vcc, v23, v19, vcc
	v_add_co_u32_e32 v6, vcc, v20, v11
	v_addc_co_u32_e32 v7, vcc, v21, v15, vcc
	v_cmp_lt_i64_e32 vcc, v[6:7], v[4:5]
	s_and_saveexec_b64 s[6:7], vcc
	s_cbranch_execz .LBB143_16
; %bb.18:                               ;   in Loop: Header=BB143_17 Depth=1
	v_mov_b32_e32 v10, s21
	v_add_co_u32_e32 v8, vcc, s20, v8
	v_addc_co_u32_e32 v9, vcc, v10, v9, vcc
	global_load_dwordx2 v[8:9], v[8:9], off
	s_mov_b64 s[16:17], 0
	s_waitcnt vmcnt(0)
	v_mul_f32_e64 v20, v9, -s3
	v_mul_f32_e32 v21, s41, v9
	v_fmac_f32_e32 v20, s41, v8
	v_fmac_f32_e32 v21, s3, v8
	s_branch .LBB143_20
.LBB143_19:                             ;   in Loop: Header=BB143_20 Depth=2
	s_or_b64 exec, exec, s[24:25]
	v_add_co_u32_e32 v6, vcc, 64, v6
	v_addc_co_u32_e32 v7, vcc, 0, v7, vcc
	v_cmp_ge_i64_e32 vcc, v[6:7], v[4:5]
	s_or_b64 s[16:17], vcc, s[16:17]
	s_andn2_b64 exec, exec, s[16:17]
	s_cbranch_execz .LBB143_16
.LBB143_20:                             ;   Parent Loop BB143_17 Depth=1
                                        ; =>  This Loop Header: Depth=2
                                        ;       Child Loop BB143_22 Depth 3
	v_lshlrev_b64 v[8:9], 3, v[6:7]
	v_mov_b32_e32 v10, s9
	v_add_co_u32_e32 v12, vcc, s8, v8
	v_addc_co_u32_e32 v13, vcc, v10, v9, vcc
	v_mov_b32_e32 v10, s11
	v_add_co_u32_e32 v8, vcc, s10, v8
	global_load_dwordx2 v[12:13], v[12:13], off
	v_addc_co_u32_e32 v9, vcc, v10, v9, vcc
	global_load_dwordx2 v[24:25], v[8:9], off
	s_mov_b64 s[24:25], 0
	s_waitcnt vmcnt(1)
	v_subrev_co_u32_e32 v8, vcc, s42, v12
	v_mul_lo_u32 v10, v8, s19
	s_waitcnt vmcnt(0)
	v_mul_f32_e64 v22, v25, -v21
	v_mul_f32_e32 v23, v20, v25
	v_subb_co_u32_e32 v9, vcc, v13, v19, vcc
	v_fmac_f32_e32 v22, v20, v24
	v_fmac_f32_e32 v23, v21, v24
	v_and_b32_e32 v10, 0xfff, v10
	s_branch .LBB143_22
.LBB143_21:                             ;   in Loop: Header=BB143_22 Depth=3
	s_or_b64 exec, exec, s[26:27]
	s_xor_b64 s[26:27], s[30:31], -1
	s_and_b64 s[26:27], exec, s[26:27]
	s_or_b64 s[24:25], s[26:27], s[24:25]
	s_andn2_b64 exec, exec, s[24:25]
	s_cbranch_execz .LBB143_19
.LBB143_22:                             ;   Parent Loop BB143_17 Depth=1
                                        ;     Parent Loop BB143_20 Depth=2
                                        ; =>    This Inner Loop Header: Depth=3
	v_lshl_add_u32 v24, v10, 3, 0
	ds_read_b64 v[12:13], v24
                                        ; implicit-def: $sgpr30_sgpr31
	s_waitcnt lgkmcnt(0)
	v_cmp_ne_u64_e32 vcc, v[12:13], v[8:9]
	s_and_saveexec_b64 s[26:27], vcc
	s_xor_b64 s[26:27], exec, s[26:27]
	s_cbranch_execz .LBB143_30
; %bb.23:                               ;   in Loop: Header=BB143_22 Depth=3
	v_cmp_ne_u64_e32 vcc, s[78:79], v[12:13]
                                        ; implicit-def: $sgpr30_sgpr31
	s_and_saveexec_b64 s[34:35], vcc
	s_xor_b64 s[34:35], exec, s[34:35]
; %bb.24:                               ;   in Loop: Header=BB143_22 Depth=3
	v_add_u32_e32 v10, 1, v10
	v_and_b32_e32 v10, 0xfff, v10
	s_mov_b64 s[30:31], -1
                                        ; implicit-def: $vgpr24
; %bb.25:                               ;   in Loop: Header=BB143_22 Depth=3
	s_andn2_saveexec_b64 s[34:35], s[34:35]
	s_cbranch_execz .LBB143_29
; %bb.26:                               ;   in Loop: Header=BB143_22 Depth=3
	v_pk_mov_b32 v[12:13], s[78:79], s[78:79] op_sel:[0,1]
	ds_cmpst_rtn_b64 v[12:13], v24, v[12:13], v[8:9]
	s_mov_b64 s[36:37], -1
	s_waitcnt lgkmcnt(0)
	v_cmp_eq_u64_e32 vcc, s[78:79], v[12:13]
	s_and_saveexec_b64 s[38:39], vcc
	s_cbranch_execz .LBB143_28
; %bb.27:                               ;   in Loop: Header=BB143_22 Depth=3
	ds_add_f32 v24, v22 offset:32768
	ds_add_f32 v24, v23 offset:32772
	s_xor_b64 s[36:37], exec, -1
.LBB143_28:                             ;   in Loop: Header=BB143_22 Depth=3
	s_or_b64 exec, exec, s[38:39]
	s_andn2_b64 s[30:31], s[30:31], exec
	s_and_b64 s[36:37], s[36:37], exec
	s_or_b64 s[30:31], s[30:31], s[36:37]
.LBB143_29:                             ;   in Loop: Header=BB143_22 Depth=3
	s_or_b64 exec, exec, s[34:35]
	s_and_b64 s[30:31], s[30:31], exec
                                        ; implicit-def: $vgpr24
.LBB143_30:                             ;   in Loop: Header=BB143_22 Depth=3
	s_andn2_saveexec_b64 s[26:27], s[26:27]
	s_cbranch_execz .LBB143_21
; %bb.31:                               ;   in Loop: Header=BB143_22 Depth=3
	ds_add_f32 v24, v22 offset:32768
	ds_add_f32 v24, v23 offset:32772
	s_andn2_b64 s[30:31], s[30:31], exec
	s_branch .LBB143_21
.LBB143_32:
	s_or_b64 exec, exec, s[4:5]
.LBB143_33:
	s_andn2_b64 vcc, exec, s[28:29]
	s_cbranch_vccnz .LBB143_50
; %bb.34:
	s_waitcnt lgkmcnt(0)
	s_lshl_b64 s[0:1], s[56:57], 3
	s_add_u32 s0, s14, s0
	s_addc_u32 s1, s15, s1
	s_load_dwordx4 s[8:11], s[0:1], 0x0
	v_subrev_co_u32_e32 v2, vcc, s47, v0
	v_subb_co_u32_e64 v3, s[2:3], 0, 0, vcc
	s_waitcnt lgkmcnt(0)
	s_sub_u32 s0, s10, s47
	v_mov_b32_e32 v4, s9
	v_add_co_u32_e32 v2, vcc, s8, v2
	s_subb_u32 s1, s11, 0
	v_addc_co_u32_e32 v3, vcc, v4, v3, vcc
	s_mov_b32 s6, 0
	v_cmp_gt_i64_e32 vcc, s[0:1], v[2:3]
	s_and_saveexec_b64 s[2:3], vcc
	s_cbranch_execz .LBB143_49
; %bb.35:
	s_mov_b32 s18, s47
	s_mov_b64 s[4:5], 0
	v_mov_b32_e32 v7, s49
	v_mov_b32_e32 v10, s6
	;; [unrolled: 1-line block ×3, first 2 shown]
	s_movk_i32 s19, 0x89
	s_branch .LBB143_37
.LBB143_36:                             ;   in Loop: Header=BB143_37 Depth=1
	s_or_b64 exec, exec, s[6:7]
	v_add_co_u32_e32 v2, vcc, 0x400, v2
	v_addc_co_u32_e32 v3, vcc, 0, v3, vcc
	v_cmp_le_i64_e32 vcc, s[0:1], v[2:3]
	s_or_b64 s[4:5], vcc, s[4:5]
	s_andn2_b64 exec, exec, s[4:5]
	s_cbranch_execz .LBB143_49
.LBB143_37:                             ; =>This Loop Header: Depth=1
                                        ;     Child Loop BB143_39 Depth 2
	v_lshlrev_b64 v[4:5], 3, v[2:3]
	v_add_co_u32_e32 v8, vcc, s48, v4
	v_addc_co_u32_e32 v9, vcc, v7, v5, vcc
	v_add_co_u32_e32 v4, vcc, s50, v4
	global_load_dwordx2 v[8:9], v[8:9], off
	v_addc_co_u32_e32 v5, vcc, v11, v5, vcc
	global_load_dwordx2 v[16:17], v[4:5], off
	s_mov_b64 s[6:7], 0
	s_waitcnt vmcnt(1)
	v_subrev_co_u32_e32 v4, vcc, s18, v8
	v_mul_lo_u32 v6, v4, s19
	s_waitcnt vmcnt(0)
	v_mul_f32_e64 v12, v17, -s40
	v_mul_f32_e32 v13, s33, v17
	v_subb_co_u32_e32 v5, vcc, v9, v10, vcc
	v_fmac_f32_e32 v12, s33, v16
	v_fmac_f32_e32 v13, s40, v16
	v_and_b32_e32 v6, 0xfff, v6
	s_branch .LBB143_39
.LBB143_38:                             ;   in Loop: Header=BB143_39 Depth=2
	s_or_b64 exec, exec, s[8:9]
	s_xor_b64 s[8:9], s[10:11], -1
	s_and_b64 s[8:9], exec, s[8:9]
	s_or_b64 s[6:7], s[8:9], s[6:7]
	s_andn2_b64 exec, exec, s[6:7]
	s_cbranch_execz .LBB143_36
.LBB143_39:                             ;   Parent Loop BB143_37 Depth=1
                                        ; =>  This Inner Loop Header: Depth=2
	v_lshl_add_u32 v15, v6, 3, 0
	ds_read_b64 v[8:9], v15
                                        ; implicit-def: $sgpr10_sgpr11
	s_waitcnt lgkmcnt(0)
	v_cmp_ne_u64_e32 vcc, v[8:9], v[4:5]
	s_and_saveexec_b64 s[8:9], vcc
	s_xor_b64 s[8:9], exec, s[8:9]
	s_cbranch_execz .LBB143_47
; %bb.40:                               ;   in Loop: Header=BB143_39 Depth=2
	v_cmp_ne_u64_e32 vcc, s[78:79], v[8:9]
                                        ; implicit-def: $sgpr10_sgpr11
	s_and_saveexec_b64 s[12:13], vcc
	s_xor_b64 s[12:13], exec, s[12:13]
; %bb.41:                               ;   in Loop: Header=BB143_39 Depth=2
	v_add_u32_e32 v6, 1, v6
	v_and_b32_e32 v6, 0xfff, v6
	s_mov_b64 s[10:11], -1
                                        ; implicit-def: $vgpr15
; %bb.42:                               ;   in Loop: Header=BB143_39 Depth=2
	s_andn2_saveexec_b64 s[12:13], s[12:13]
	s_cbranch_execz .LBB143_46
; %bb.43:                               ;   in Loop: Header=BB143_39 Depth=2
	v_pk_mov_b32 v[8:9], s[78:79], s[78:79] op_sel:[0,1]
	ds_cmpst_rtn_b64 v[8:9], v15, v[8:9], v[4:5]
	s_mov_b64 s[14:15], -1
	s_waitcnt lgkmcnt(0)
	v_cmp_eq_u64_e32 vcc, s[78:79], v[8:9]
	s_and_saveexec_b64 s[16:17], vcc
	s_cbranch_execz .LBB143_45
; %bb.44:                               ;   in Loop: Header=BB143_39 Depth=2
	ds_add_f32 v15, v12 offset:32768
	ds_add_f32 v15, v13 offset:32772
	s_xor_b64 s[14:15], exec, -1
.LBB143_45:                             ;   in Loop: Header=BB143_39 Depth=2
	s_or_b64 exec, exec, s[16:17]
	s_andn2_b64 s[10:11], s[10:11], exec
	s_and_b64 s[14:15], s[14:15], exec
	s_or_b64 s[10:11], s[10:11], s[14:15]
.LBB143_46:                             ;   in Loop: Header=BB143_39 Depth=2
	s_or_b64 exec, exec, s[12:13]
	s_and_b64 s[10:11], s[10:11], exec
                                        ; implicit-def: $vgpr15
.LBB143_47:                             ;   in Loop: Header=BB143_39 Depth=2
	s_andn2_saveexec_b64 s[8:9], s[8:9]
	s_cbranch_execz .LBB143_38
; %bb.48:                               ;   in Loop: Header=BB143_39 Depth=2
	ds_add_f32 v15, v12 offset:32768
	ds_add_f32 v15, v13 offset:32772
	s_andn2_b64 s[10:11], s[10:11], exec
	s_branch .LBB143_38
.LBB143_49:
	s_or_b64 exec, exec, s[2:3]
.LBB143_50:
	s_waitcnt lgkmcnt(0)
	v_writelane_b32 v26, s56, 2
	v_writelane_b32 v26, s57, 3
	;; [unrolled: 1-line block ×6, first 2 shown]
	s_movk_i32 s33, 0x25f
	v_writelane_b32 v26, s48, 8
	v_cmp_lt_u32_e64 s[34:35], s33, v0
	s_movk_i32 s33, 0x27f
	v_writelane_b32 v26, s49, 9
	v_cmp_lt_u32_e64 s[36:37], s33, v0
	s_movk_i32 s33, 0x29f
	v_writelane_b32 v26, s50, 10
	v_cmp_lt_u32_e64 s[38:39], s33, v0
	s_movk_i32 s33, 0x2bf
	v_writelane_b32 v26, s51, 11
	v_cmp_lt_u32_e64 s[40:41], s33, v0
	s_movk_i32 s33, 0x2df
	v_writelane_b32 v26, s52, 12
	v_cmp_lt_u32_e64 s[42:43], s33, v0
	s_movk_i32 s33, 0x2ff
	v_writelane_b32 v26, s53, 13
	v_cmp_lt_u32_e64 s[44:45], s33, v0
	s_movk_i32 s33, 0x31f
	v_writelane_b32 v26, s54, 14
	v_cmp_lt_u32_e64 s[46:47], s33, v0
	s_movk_i32 s33, 0x33f
	v_writelane_b32 v26, s55, 15
	v_cmp_lt_u32_e64 s[48:49], s33, v0
	s_movk_i32 s33, 0x35f
	v_cmp_lt_u32_e64 s[50:51], s33, v0
	s_movk_i32 s33, 0x37f
	v_cmp_lt_u32_e64 s[52:53], s33, v0
	;; [unrolled: 2-line block ×3, first 2 shown]
	s_movk_i32 s33, 0x3bf
	s_add_i32 s0, 0, 0x10000
	v_cmp_lt_u32_e64 s[56:57], s33, v0
	s_movk_i32 s33, 0x3df
	v_writelane_b32 v26, s0, 16
	v_cmp_lt_u32_e64 s[58:59], s33, v0
	s_add_i32 s33, 0, 0x10008
	v_writelane_b32 v26, s33, 17
	s_add_i32 s33, 0, 0x10010
	v_mbcnt_lo_u32_b32 v2, -1, 0
	v_writelane_b32 v26, s33, 18
	s_add_i32 s33, 0, 0x10018
	v_mbcnt_hi_u32_b32 v2, -1, v2
	v_writelane_b32 v26, s33, 19
	s_add_i32 s33, 0, 0x10020
	v_sub_u32_e32 v2, 63, v2
	v_writelane_b32 v26, s33, 20
	s_add_i32 s33, 0, 0x10028
	v_lshrrev_b64 v[4:5], v2, -1
	v_lshrrev_b32_e32 v2, 2, v0
	v_writelane_b32 v26, s33, 21
	s_add_i32 s33, 0, 0x10030
	v_and_b32_e32 v2, 0xf8, v2
	v_writelane_b32 v26, s33, 22
	s_add_i32 s33, 0, 0x10038
	v_add_u32_e32 v15, s0, v2
	s_movk_i32 s0, 0x3ff
	v_writelane_b32 v26, s33, 23
	s_add_i32 s33, 0, 0x10040
	v_cmp_eq_u32_e32 vcc, s0, v0
	s_movk_i32 s0, 0x5f
	s_movk_i32 s2, 0x7f
	;; [unrolled: 1-line block ×16, first 2 shown]
	v_writelane_b32 v26, s33, 24
	s_add_i32 s33, 0, 0x10048
	v_mov_b32_e32 v3, 0
	v_cmp_lt_u32_e64 s[0:1], s0, v0
	v_cmp_lt_u32_e64 s[2:3], s2, v0
	;; [unrolled: 1-line block ×16, first 2 shown]
	v_pk_mov_b32 v[6:7], 0, 0
	v_writelane_b32 v26, s33, 25
	s_add_i32 s90, 0, 0x10050
	s_add_i32 s91, 0, 0x10058
	;; [unrolled: 1-line block ×22, first 2 shown]
	s_movk_i32 s87, 0xbff
	v_cmp_lt_u32_e64 s[60:61], 31, v0
	v_cmp_lt_u32_e64 s[62:63], 63, v0
	s_mov_b64 s[66:67], 0
	s_barrier
	s_branch .LBB143_52
.LBB143_51:                             ;   in Loop: Header=BB143_52 Depth=1
	s_or_b64 exec, exec, s[64:65]
	v_mov_b32_e32 v2, s86
	s_waitcnt lgkmcnt(0)
	s_barrier
	ds_read_b64 v[8:9], v2
	v_add_u32_e32 v1, 0x400, v1
	v_add_u32_e32 v14, 0x2000, v14
	s_waitcnt lgkmcnt(0)
	v_add_co_u32_e64 v6, s[64:65], v8, v6
	v_addc_co_u32_e64 v7, s[64:65], v9, v7, s[64:65]
	v_cmp_lt_u32_e64 s[64:65], s87, v1
	s_or_b64 s[66:67], s[64:65], s[66:67]
	s_andn2_b64 exec, exec, s[66:67]
	s_cbranch_execz .LBB143_118
.LBB143_52:                             ; =>This Inner Loop Header: Depth=1
	ds_read_b64 v[8:9], v14
	v_add_u32_e32 v2, 0x8000, v14
	ds_read2_b32 v[10:11], v2 offset1:1
	s_waitcnt lgkmcnt(0)
	s_barrier
	v_cmp_gt_i64_e64 s[64:65], s[78:79], v[8:9]
	v_and_b32_e32 v13, s64, v4
	s_bcnt1_i32_b64 s72, s[64:65]
	v_and_b32_e32 v12, s65, v5
	v_bcnt_u32_b32 v13, v13, 0
	v_mov_b32_e32 v2, s72
	v_bcnt_u32_b32 v12, v12, v13
	ds_write_b64 v15, v[2:3]
	s_waitcnt lgkmcnt(0)
	s_barrier
	s_and_saveexec_b64 s[72:73], s[60:61]
	s_cbranch_execnz .LBB143_85
; %bb.53:                               ;   in Loop: Header=BB143_52 Depth=1
	s_or_b64 exec, exec, s[72:73]
	s_and_saveexec_b64 s[72:73], s[62:63]
	s_cbranch_execnz .LBB143_86
.LBB143_54:                             ;   in Loop: Header=BB143_52 Depth=1
	s_or_b64 exec, exec, s[72:73]
	s_and_saveexec_b64 s[72:73], s[0:1]
	s_cbranch_execnz .LBB143_87
.LBB143_55:                             ;   in Loop: Header=BB143_52 Depth=1
	s_or_b64 exec, exec, s[72:73]
	s_and_saveexec_b64 s[72:73], s[2:3]
	s_cbranch_execnz .LBB143_88
.LBB143_56:                             ;   in Loop: Header=BB143_52 Depth=1
	s_or_b64 exec, exec, s[72:73]
	s_and_saveexec_b64 s[72:73], s[4:5]
	s_cbranch_execnz .LBB143_89
.LBB143_57:                             ;   in Loop: Header=BB143_52 Depth=1
	s_or_b64 exec, exec, s[72:73]
	s_and_saveexec_b64 s[72:73], s[6:7]
	s_cbranch_execnz .LBB143_90
.LBB143_58:                             ;   in Loop: Header=BB143_52 Depth=1
	s_or_b64 exec, exec, s[72:73]
	s_and_saveexec_b64 s[72:73], s[8:9]
	s_cbranch_execnz .LBB143_91
.LBB143_59:                             ;   in Loop: Header=BB143_52 Depth=1
	s_or_b64 exec, exec, s[72:73]
	s_and_saveexec_b64 s[72:73], s[10:11]
	s_cbranch_execnz .LBB143_92
.LBB143_60:                             ;   in Loop: Header=BB143_52 Depth=1
	s_or_b64 exec, exec, s[72:73]
	s_and_saveexec_b64 s[72:73], s[12:13]
	s_cbranch_execnz .LBB143_93
.LBB143_61:                             ;   in Loop: Header=BB143_52 Depth=1
	s_or_b64 exec, exec, s[72:73]
	s_and_saveexec_b64 s[72:73], s[14:15]
	s_cbranch_execnz .LBB143_94
.LBB143_62:                             ;   in Loop: Header=BB143_52 Depth=1
	s_or_b64 exec, exec, s[72:73]
	s_and_saveexec_b64 s[72:73], s[16:17]
	s_cbranch_execnz .LBB143_95
.LBB143_63:                             ;   in Loop: Header=BB143_52 Depth=1
	s_or_b64 exec, exec, s[72:73]
	s_and_saveexec_b64 s[72:73], s[18:19]
	s_cbranch_execnz .LBB143_96
.LBB143_64:                             ;   in Loop: Header=BB143_52 Depth=1
	s_or_b64 exec, exec, s[72:73]
	s_and_saveexec_b64 s[72:73], s[20:21]
	s_cbranch_execnz .LBB143_97
.LBB143_65:                             ;   in Loop: Header=BB143_52 Depth=1
	s_or_b64 exec, exec, s[72:73]
	s_and_saveexec_b64 s[72:73], s[22:23]
	s_cbranch_execnz .LBB143_98
.LBB143_66:                             ;   in Loop: Header=BB143_52 Depth=1
	s_or_b64 exec, exec, s[72:73]
	s_and_saveexec_b64 s[72:73], s[24:25]
	s_cbranch_execnz .LBB143_99
.LBB143_67:                             ;   in Loop: Header=BB143_52 Depth=1
	s_or_b64 exec, exec, s[72:73]
	s_and_saveexec_b64 s[72:73], s[26:27]
	s_cbranch_execnz .LBB143_100
.LBB143_68:                             ;   in Loop: Header=BB143_52 Depth=1
	s_or_b64 exec, exec, s[72:73]
	s_and_saveexec_b64 s[72:73], s[28:29]
	s_cbranch_execnz .LBB143_101
.LBB143_69:                             ;   in Loop: Header=BB143_52 Depth=1
	s_or_b64 exec, exec, s[72:73]
	s_and_saveexec_b64 s[72:73], s[30:31]
	s_cbranch_execnz .LBB143_102
.LBB143_70:                             ;   in Loop: Header=BB143_52 Depth=1
	s_or_b64 exec, exec, s[72:73]
	s_and_saveexec_b64 s[72:73], s[34:35]
	s_cbranch_execnz .LBB143_103
.LBB143_71:                             ;   in Loop: Header=BB143_52 Depth=1
	s_or_b64 exec, exec, s[72:73]
	s_and_saveexec_b64 s[72:73], s[36:37]
	s_cbranch_execnz .LBB143_104
.LBB143_72:                             ;   in Loop: Header=BB143_52 Depth=1
	s_or_b64 exec, exec, s[72:73]
	s_and_saveexec_b64 s[72:73], s[38:39]
	s_cbranch_execnz .LBB143_105
.LBB143_73:                             ;   in Loop: Header=BB143_52 Depth=1
	s_or_b64 exec, exec, s[72:73]
	s_and_saveexec_b64 s[72:73], s[40:41]
	s_cbranch_execnz .LBB143_106
.LBB143_74:                             ;   in Loop: Header=BB143_52 Depth=1
	s_or_b64 exec, exec, s[72:73]
	s_and_saveexec_b64 s[72:73], s[42:43]
	s_cbranch_execnz .LBB143_107
.LBB143_75:                             ;   in Loop: Header=BB143_52 Depth=1
	s_or_b64 exec, exec, s[72:73]
	s_and_saveexec_b64 s[72:73], s[44:45]
	s_cbranch_execnz .LBB143_108
.LBB143_76:                             ;   in Loop: Header=BB143_52 Depth=1
	s_or_b64 exec, exec, s[72:73]
	s_and_saveexec_b64 s[72:73], s[46:47]
	s_cbranch_execnz .LBB143_109
.LBB143_77:                             ;   in Loop: Header=BB143_52 Depth=1
	s_or_b64 exec, exec, s[72:73]
	s_and_saveexec_b64 s[72:73], s[48:49]
	s_cbranch_execnz .LBB143_110
.LBB143_78:                             ;   in Loop: Header=BB143_52 Depth=1
	s_or_b64 exec, exec, s[72:73]
	s_and_saveexec_b64 s[72:73], s[50:51]
	s_cbranch_execnz .LBB143_111
.LBB143_79:                             ;   in Loop: Header=BB143_52 Depth=1
	s_or_b64 exec, exec, s[72:73]
	s_and_saveexec_b64 s[72:73], s[52:53]
	s_cbranch_execnz .LBB143_112
.LBB143_80:                             ;   in Loop: Header=BB143_52 Depth=1
	s_or_b64 exec, exec, s[72:73]
	s_and_saveexec_b64 s[72:73], s[54:55]
	s_cbranch_execnz .LBB143_113
.LBB143_81:                             ;   in Loop: Header=BB143_52 Depth=1
	s_or_b64 exec, exec, s[72:73]
	s_and_saveexec_b64 s[72:73], s[56:57]
	s_cbranch_execnz .LBB143_114
.LBB143_82:                             ;   in Loop: Header=BB143_52 Depth=1
	s_or_b64 exec, exec, s[72:73]
	s_and_saveexec_b64 s[72:73], s[58:59]
	s_cbranch_execnz .LBB143_115
.LBB143_83:                             ;   in Loop: Header=BB143_52 Depth=1
	s_or_b64 exec, exec, s[72:73]
	v_ashrrev_i32_e32 v13, 31, v12
	s_and_saveexec_b64 s[72:73], s[64:65]
	s_cbranch_execnz .LBB143_116
.LBB143_84:                             ;   in Loop: Header=BB143_52 Depth=1
	s_or_b64 exec, exec, s[72:73]
	s_and_saveexec_b64 s[64:65], vcc
	s_cbranch_execz .LBB143_51
	s_branch .LBB143_117
.LBB143_85:                             ;   in Loop: Header=BB143_52 Depth=1
	v_readlane_b32 s88, v26, 16
	v_mov_b32_e32 v2, s88
	ds_read_b32 v2, v2
	s_waitcnt lgkmcnt(0)
	v_add_u32_e32 v12, v2, v12
	s_or_b64 exec, exec, s[72:73]
	s_and_saveexec_b64 s[72:73], s[62:63]
	s_cbranch_execz .LBB143_54
.LBB143_86:                             ;   in Loop: Header=BB143_52 Depth=1
	v_readlane_b32 s88, v26, 17
	v_mov_b32_e32 v2, s88
	ds_read_b32 v2, v2
	s_waitcnt lgkmcnt(0)
	v_add_u32_e32 v12, v12, v2
	s_or_b64 exec, exec, s[72:73]
	s_and_saveexec_b64 s[72:73], s[0:1]
	s_cbranch_execz .LBB143_55
.LBB143_87:                             ;   in Loop: Header=BB143_52 Depth=1
	v_readlane_b32 s88, v26, 18
	v_mov_b32_e32 v2, s88
	ds_read_b32 v2, v2
	s_waitcnt lgkmcnt(0)
	v_add_u32_e32 v12, v12, v2
	s_or_b64 exec, exec, s[72:73]
	s_and_saveexec_b64 s[72:73], s[2:3]
	s_cbranch_execz .LBB143_56
.LBB143_88:                             ;   in Loop: Header=BB143_52 Depth=1
	v_readlane_b32 s88, v26, 19
	v_mov_b32_e32 v2, s88
	ds_read_b32 v2, v2
	s_waitcnt lgkmcnt(0)
	v_add_u32_e32 v12, v12, v2
	s_or_b64 exec, exec, s[72:73]
	s_and_saveexec_b64 s[72:73], s[4:5]
	s_cbranch_execz .LBB143_57
.LBB143_89:                             ;   in Loop: Header=BB143_52 Depth=1
	v_readlane_b32 s88, v26, 20
	v_mov_b32_e32 v2, s88
	ds_read_b32 v2, v2
	s_waitcnt lgkmcnt(0)
	v_add_u32_e32 v12, v12, v2
	s_or_b64 exec, exec, s[72:73]
	s_and_saveexec_b64 s[72:73], s[6:7]
	s_cbranch_execz .LBB143_58
.LBB143_90:                             ;   in Loop: Header=BB143_52 Depth=1
	v_readlane_b32 s88, v26, 21
	v_mov_b32_e32 v2, s88
	ds_read_b32 v2, v2
	s_waitcnt lgkmcnt(0)
	v_add_u32_e32 v12, v12, v2
	s_or_b64 exec, exec, s[72:73]
	s_and_saveexec_b64 s[72:73], s[8:9]
	s_cbranch_execz .LBB143_59
.LBB143_91:                             ;   in Loop: Header=BB143_52 Depth=1
	v_readlane_b32 s88, v26, 22
	v_mov_b32_e32 v2, s88
	ds_read_b32 v2, v2
	s_waitcnt lgkmcnt(0)
	v_add_u32_e32 v12, v12, v2
	s_or_b64 exec, exec, s[72:73]
	s_and_saveexec_b64 s[72:73], s[10:11]
	s_cbranch_execz .LBB143_60
.LBB143_92:                             ;   in Loop: Header=BB143_52 Depth=1
	v_readlane_b32 s88, v26, 23
	v_mov_b32_e32 v2, s88
	ds_read_b32 v2, v2
	s_waitcnt lgkmcnt(0)
	v_add_u32_e32 v12, v12, v2
	s_or_b64 exec, exec, s[72:73]
	s_and_saveexec_b64 s[72:73], s[12:13]
	s_cbranch_execz .LBB143_61
.LBB143_93:                             ;   in Loop: Header=BB143_52 Depth=1
	v_readlane_b32 s88, v26, 24
	v_mov_b32_e32 v2, s88
	ds_read_b32 v2, v2
	s_waitcnt lgkmcnt(0)
	v_add_u32_e32 v12, v12, v2
	s_or_b64 exec, exec, s[72:73]
	s_and_saveexec_b64 s[72:73], s[14:15]
	s_cbranch_execz .LBB143_62
.LBB143_94:                             ;   in Loop: Header=BB143_52 Depth=1
	v_readlane_b32 s88, v26, 25
	v_mov_b32_e32 v2, s88
	ds_read_b32 v2, v2
	s_waitcnt lgkmcnt(0)
	v_add_u32_e32 v12, v12, v2
	s_or_b64 exec, exec, s[72:73]
	s_and_saveexec_b64 s[72:73], s[16:17]
	s_cbranch_execz .LBB143_63
.LBB143_95:                             ;   in Loop: Header=BB143_52 Depth=1
	v_mov_b32_e32 v2, s90
	ds_read_b32 v2, v2
	s_waitcnt lgkmcnt(0)
	v_add_u32_e32 v12, v12, v2
	s_or_b64 exec, exec, s[72:73]
	s_and_saveexec_b64 s[72:73], s[18:19]
	s_cbranch_execz .LBB143_64
.LBB143_96:                             ;   in Loop: Header=BB143_52 Depth=1
	v_mov_b32_e32 v2, s91
	ds_read_b32 v2, v2
	s_waitcnt lgkmcnt(0)
	v_add_u32_e32 v12, v12, v2
	s_or_b64 exec, exec, s[72:73]
	s_and_saveexec_b64 s[72:73], s[20:21]
	s_cbranch_execz .LBB143_65
.LBB143_97:                             ;   in Loop: Header=BB143_52 Depth=1
	v_mov_b32_e32 v2, s92
	ds_read_b32 v2, v2
	s_waitcnt lgkmcnt(0)
	v_add_u32_e32 v12, v12, v2
	s_or_b64 exec, exec, s[72:73]
	s_and_saveexec_b64 s[72:73], s[22:23]
	s_cbranch_execz .LBB143_66
.LBB143_98:                             ;   in Loop: Header=BB143_52 Depth=1
	v_mov_b32_e32 v2, s93
	ds_read_b32 v2, v2
	s_waitcnt lgkmcnt(0)
	v_add_u32_e32 v12, v12, v2
	s_or_b64 exec, exec, s[72:73]
	s_and_saveexec_b64 s[72:73], s[24:25]
	s_cbranch_execz .LBB143_67
.LBB143_99:                             ;   in Loop: Header=BB143_52 Depth=1
	v_mov_b32_e32 v2, s94
	ds_read_b32 v2, v2
	s_waitcnt lgkmcnt(0)
	v_add_u32_e32 v12, v12, v2
	s_or_b64 exec, exec, s[72:73]
	s_and_saveexec_b64 s[72:73], s[26:27]
	s_cbranch_execz .LBB143_68
.LBB143_100:                            ;   in Loop: Header=BB143_52 Depth=1
	v_mov_b32_e32 v2, s95
	ds_read_b32 v2, v2
	s_waitcnt lgkmcnt(0)
	v_add_u32_e32 v12, v12, v2
	s_or_b64 exec, exec, s[72:73]
	s_and_saveexec_b64 s[72:73], s[28:29]
	s_cbranch_execz .LBB143_69
.LBB143_101:                            ;   in Loop: Header=BB143_52 Depth=1
	v_mov_b32_e32 v2, s80
	ds_read_b32 v2, v2
	s_waitcnt lgkmcnt(0)
	v_add_u32_e32 v12, v12, v2
	s_or_b64 exec, exec, s[72:73]
	s_and_saveexec_b64 s[72:73], s[30:31]
	s_cbranch_execz .LBB143_70
.LBB143_102:                            ;   in Loop: Header=BB143_52 Depth=1
	v_mov_b32_e32 v2, s81
	ds_read_b32 v2, v2
	s_waitcnt lgkmcnt(0)
	v_add_u32_e32 v12, v12, v2
	s_or_b64 exec, exec, s[72:73]
	s_and_saveexec_b64 s[72:73], s[34:35]
	s_cbranch_execz .LBB143_71
.LBB143_103:                            ;   in Loop: Header=BB143_52 Depth=1
	v_mov_b32_e32 v2, s74
	ds_read_b32 v2, v2
	s_waitcnt lgkmcnt(0)
	v_add_u32_e32 v12, v12, v2
	s_or_b64 exec, exec, s[72:73]
	s_and_saveexec_b64 s[72:73], s[36:37]
	s_cbranch_execz .LBB143_72
.LBB143_104:                            ;   in Loop: Header=BB143_52 Depth=1
	v_mov_b32_e32 v2, s76
	ds_read_b32 v2, v2
	s_waitcnt lgkmcnt(0)
	v_add_u32_e32 v12, v12, v2
	s_or_b64 exec, exec, s[72:73]
	s_and_saveexec_b64 s[72:73], s[38:39]
	s_cbranch_execz .LBB143_73
.LBB143_105:                            ;   in Loop: Header=BB143_52 Depth=1
	v_mov_b32_e32 v2, s77
	ds_read_b32 v2, v2
	s_waitcnt lgkmcnt(0)
	v_add_u32_e32 v12, v12, v2
	s_or_b64 exec, exec, s[72:73]
	s_and_saveexec_b64 s[72:73], s[40:41]
	s_cbranch_execz .LBB143_74
.LBB143_106:                            ;   in Loop: Header=BB143_52 Depth=1
	v_mov_b32_e32 v2, s68
	ds_read_b32 v2, v2
	s_waitcnt lgkmcnt(0)
	v_add_u32_e32 v12, v12, v2
	s_or_b64 exec, exec, s[72:73]
	s_and_saveexec_b64 s[72:73], s[42:43]
	s_cbranch_execz .LBB143_75
.LBB143_107:                            ;   in Loop: Header=BB143_52 Depth=1
	v_mov_b32_e32 v2, s69
	ds_read_b32 v2, v2
	s_waitcnt lgkmcnt(0)
	v_add_u32_e32 v12, v12, v2
	s_or_b64 exec, exec, s[72:73]
	s_and_saveexec_b64 s[72:73], s[44:45]
	s_cbranch_execz .LBB143_76
.LBB143_108:                            ;   in Loop: Header=BB143_52 Depth=1
	v_mov_b32_e32 v2, s70
	ds_read_b32 v2, v2
	s_waitcnt lgkmcnt(0)
	v_add_u32_e32 v12, v12, v2
	s_or_b64 exec, exec, s[72:73]
	s_and_saveexec_b64 s[72:73], s[46:47]
	s_cbranch_execz .LBB143_77
.LBB143_109:                            ;   in Loop: Header=BB143_52 Depth=1
	v_mov_b32_e32 v2, s71
	ds_read_b32 v2, v2
	s_waitcnt lgkmcnt(0)
	v_add_u32_e32 v12, v12, v2
	s_or_b64 exec, exec, s[72:73]
	s_and_saveexec_b64 s[72:73], s[48:49]
	s_cbranch_execz .LBB143_78
.LBB143_110:                            ;   in Loop: Header=BB143_52 Depth=1
	v_mov_b32_e32 v2, s33
	ds_read_b32 v2, v2
	s_waitcnt lgkmcnt(0)
	v_add_u32_e32 v12, v12, v2
	s_or_b64 exec, exec, s[72:73]
	s_and_saveexec_b64 s[72:73], s[50:51]
	s_cbranch_execz .LBB143_79
.LBB143_111:                            ;   in Loop: Header=BB143_52 Depth=1
	v_mov_b32_e32 v2, s75
	ds_read_b32 v2, v2
	s_waitcnt lgkmcnt(0)
	v_add_u32_e32 v12, v12, v2
	s_or_b64 exec, exec, s[72:73]
	s_and_saveexec_b64 s[72:73], s[52:53]
	s_cbranch_execz .LBB143_80
.LBB143_112:                            ;   in Loop: Header=BB143_52 Depth=1
	v_mov_b32_e32 v2, s82
	ds_read_b32 v2, v2
	s_waitcnt lgkmcnt(0)
	v_add_u32_e32 v12, v12, v2
	s_or_b64 exec, exec, s[72:73]
	s_and_saveexec_b64 s[72:73], s[54:55]
	s_cbranch_execz .LBB143_81
.LBB143_113:                            ;   in Loop: Header=BB143_52 Depth=1
	v_mov_b32_e32 v2, s83
	ds_read_b32 v2, v2
	s_waitcnt lgkmcnt(0)
	v_add_u32_e32 v12, v12, v2
	s_or_b64 exec, exec, s[72:73]
	s_and_saveexec_b64 s[72:73], s[56:57]
	s_cbranch_execz .LBB143_82
.LBB143_114:                            ;   in Loop: Header=BB143_52 Depth=1
	v_mov_b32_e32 v2, s84
	ds_read_b32 v2, v2
	s_waitcnt lgkmcnt(0)
	v_add_u32_e32 v12, v12, v2
	s_or_b64 exec, exec, s[72:73]
	s_and_saveexec_b64 s[72:73], s[58:59]
	s_cbranch_execz .LBB143_83
.LBB143_115:                            ;   in Loop: Header=BB143_52 Depth=1
	v_mov_b32_e32 v2, s85
	ds_read_b32 v2, v2
	s_waitcnt lgkmcnt(0)
	v_add_u32_e32 v12, v12, v2
	s_or_b64 exec, exec, s[72:73]
	v_ashrrev_i32_e32 v13, 31, v12
	s_and_saveexec_b64 s[72:73], s[64:65]
	s_cbranch_execz .LBB143_84
.LBB143_116:                            ;   in Loop: Header=BB143_52 Depth=1
	v_add3_u32 v2, v6, -1, v12
	v_lshl_add_u32 v2, v2, 3, 0
	v_add_u32_e32 v16, 0x8000, v2
	ds_write_b64 v2, v[8:9]
	ds_write2_b32 v16, v10, v11 offset1:1
	s_or_b64 exec, exec, s[72:73]
	s_and_saveexec_b64 s[64:65], vcc
	s_cbranch_execz .LBB143_51
.LBB143_117:                            ;   in Loop: Header=BB143_52 Depth=1
	v_mov_b32_e32 v2, s86
	ds_write_b64 v2, v[12:13]
	s_branch .LBB143_51
.LBB143_118:
	s_or_b64 exec, exec, s[66:67]
	v_readlane_b32 s0, v26, 2
	v_readlane_b32 s1, v26, 3
	;; [unrolled: 1-line block ×3, first 2 shown]
	s_lshl_b64 s[0:1], s[0:1], 3
	v_readlane_b32 s16, v26, 12
	v_readlane_b32 s17, v26, 13
	s_add_u32 s0, s16, s0
	s_addc_u32 s1, s17, s1
	s_load_dwordx4 s[0:3], s[0:1], 0x0
	v_mov_b32_e32 v1, 0
	v_readlane_b32 s18, v26, 14
	v_readlane_b32 s19, v26, 15
	;; [unrolled: 1-line block ×3, first 2 shown]
	s_waitcnt lgkmcnt(0)
	s_sub_u32 s4, s2, s0
	s_subb_u32 s5, s3, s1
	v_cmp_gt_i64_e32 vcc, s[4:5], v[0:1]
	v_readlane_b32 s14, v26, 10
	v_readlane_b32 s15, v26, 11
	s_and_saveexec_b64 s[6:7], vcc
	v_readlane_b32 s20, v26, 4
	v_readlane_b32 s22, v26, 6
	;; [unrolled: 1-line block ×4, first 2 shown]
	s_cbranch_execz .LBB143_128
; %bb.119:
	s_sub_u32 s6, s0, s22
	s_subb_u32 s7, s1, 0
	s_and_b32 s8, s4, 7
	s_sub_u32 s0, s0, s2
	s_mov_b32 s16, 0
	s_subb_u32 s1, s1, s3
	s_mov_b32 s9, s16
	s_and_b32 s2, s4, -8
	v_cmp_lt_u64_e64 s[0:1], s[0:1], -7
	s_cmp_lg_u64 s[8:9], 0
	v_cndmask_b32_e64 v2, 0, 1, s[0:1]
	s_mov_b32 s3, s5
	s_mov_b64 s[10:11], 0
	s_cselect_b64 s[12:13], -1, 0
	v_cmp_ne_u32_e64 s[0:1], 1, v2
	s_branch .LBB143_121
.LBB143_120:                            ;   in Loop: Header=BB143_121 Depth=1
	v_mov_b32_e32 v8, s16
	s_waitcnt lgkmcnt(1)
	v_add_co_u32_e32 v4, vcc, s22, v4
	v_addc_co_u32_e32 v5, vcc, v5, v8, vcc
	v_lshlrev_b64 v[6:7], 3, v[6:7]
	v_mov_b32_e32 v9, s19
	v_add_co_u32_e32 v8, vcc, s18, v6
	v_readlane_b32 s14, v26, 0
	v_addc_co_u32_e32 v9, vcc, v9, v7, vcc
	v_readlane_b32 s15, v26, 1
	global_store_dwordx2 v[8:9], v[4:5], off
	v_mov_b32_e32 v5, s15
	v_add_co_u32_e32 v4, vcc, s14, v6
	v_addc_co_u32_e32 v5, vcc, v5, v7, vcc
	v_add_co_u32_e32 v0, vcc, 0x400, v0
	v_addc_co_u32_e32 v1, vcc, 0, v1, vcc
	v_cmp_le_i64_e32 vcc, s[4:5], v[0:1]
	s_or_b64 s[10:11], vcc, s[10:11]
	s_waitcnt lgkmcnt(0)
	global_store_dwordx2 v[4:5], v[2:3], off
	s_andn2_b64 exec, exec, s[10:11]
	s_cbranch_execz .LBB143_128
.LBB143_121:                            ; =>This Loop Header: Depth=1
                                        ;     Child Loop BB143_123 Depth 2
                                        ;     Child Loop BB143_127 Depth 2
	v_lshl_add_u32 v2, v0, 3, 0
	v_add_u32_e32 v3, 0x8000, v2
	ds_read_b64 v[4:5], v2
	ds_read2_b32 v[2:3], v3 offset1:1
	s_and_b64 vcc, exec, s[0:1]
	v_pk_mov_b32 v[6:7], s[6:7], s[6:7] op_sel:[0,1]
	s_mov_b64 s[14:15], 0
	s_cbranch_vccnz .LBB143_125
; %bb.122:                              ;   in Loop: Header=BB143_121 Depth=1
	s_mov_b32 s17, 0
	v_pk_mov_b32 v[6:7], s[6:7], s[6:7] op_sel:[0,1]
.LBB143_123:                            ;   Parent Loop BB143_121 Depth=1
                                        ; =>  This Inner Loop Header: Depth=2
	v_mov_b32_e32 v20, s17
	ds_read2_b64 v[8:11], v20 offset1:1
	ds_read2_b64 v[12:15], v20 offset0:2 offset1:3
	ds_read2_b64 v[16:19], v20 offset0:4 offset1:5
	;; [unrolled: 1-line block ×3, first 2 shown]
	s_add_u32 s14, s14, 8
	s_waitcnt lgkmcnt(3)
	v_cmp_gt_i64_e32 vcc, v[4:5], v[8:9]
	v_cndmask_b32_e64 v8, 0, 1, vcc
	v_cmp_gt_i64_e32 vcc, v[4:5], v[10:11]
	v_cndmask_b32_e64 v9, 0, 1, vcc
	s_waitcnt lgkmcnt(2)
	v_cmp_gt_i64_e32 vcc, v[4:5], v[12:13]
	v_cndmask_b32_e64 v10, 0, 1, vcc
	v_cmp_gt_i64_e32 vcc, v[4:5], v[14:15]
	v_cndmask_b32_e64 v11, 0, 1, vcc
	;; [unrolled: 5-line block ×4, first 2 shown]
	v_add_co_u32_e32 v6, vcc, v6, v8
	v_addc_co_u32_e32 v7, vcc, 0, v7, vcc
	v_add_co_u32_e32 v6, vcc, v6, v9
	v_addc_co_u32_e32 v7, vcc, 0, v7, vcc
	;; [unrolled: 2-line block ×7, first 2 shown]
	s_addc_u32 s15, s15, 0
	s_add_i32 s17, s17, 64
	v_add_co_u32_e32 v6, vcc, v6, v15
	s_cmp_eq_u64 s[2:3], s[14:15]
	v_addc_co_u32_e32 v7, vcc, 0, v7, vcc
	s_cbranch_scc0 .LBB143_123
; %bb.124:                              ;   in Loop: Header=BB143_121 Depth=1
	s_mov_b64 s[14:15], s[2:3]
.LBB143_125:                            ;   in Loop: Header=BB143_121 Depth=1
	s_andn2_b64 vcc, exec, s[12:13]
	s_cbranch_vccnz .LBB143_120
; %bb.126:                              ;   in Loop: Header=BB143_121 Depth=1
	s_lshl_b32 s14, s14, 3
	s_add_i32 s17, s14, 0
	s_mov_b64 s[14:15], s[8:9]
.LBB143_127:                            ;   Parent Loop BB143_121 Depth=1
                                        ; =>  This Inner Loop Header: Depth=2
	v_mov_b32_e32 v8, s17
	ds_read_b64 v[8:9], v8
	s_add_i32 s17, s17, 8
	s_add_u32 s14, s14, -1
	s_addc_u32 s15, s15, -1
	s_cmp_lg_u64 s[14:15], 0
	s_waitcnt lgkmcnt(0)
	v_cmp_gt_i64_e32 vcc, v[4:5], v[8:9]
	v_cndmask_b32_e64 v8, 0, 1, vcc
	v_add_co_u32_e32 v6, vcc, v6, v8
	v_addc_co_u32_e32 v7, vcc, 0, v7, vcc
	s_cbranch_scc1 .LBB143_127
	s_branch .LBB143_120
.LBB143_128:
	s_endpgm
	.section	.rodata,"a",@progbits
	.p2align	6, 0x0
	.amdhsa_kernel _ZN9rocsparseL26csrgemm_fill_block_per_rowILj1024ELj64ELj4096ELj137ELj32Ell21rocsparse_complex_numIfEEEvT5_PKS3_S5_NS_24const_host_device_scalarIT6_EEPKT4_S5_PKS7_SB_S5_SD_S8_SB_S5_SD_SB_PS3_PS7_21rocsparse_index_base_SG_SG_SG_bbb
		.amdhsa_group_segment_fixed_size 0
		.amdhsa_private_segment_fixed_size 0
		.amdhsa_kernarg_size 156
		.amdhsa_user_sgpr_count 6
		.amdhsa_user_sgpr_private_segment_buffer 1
		.amdhsa_user_sgpr_dispatch_ptr 0
		.amdhsa_user_sgpr_queue_ptr 0
		.amdhsa_user_sgpr_kernarg_segment_ptr 1
		.amdhsa_user_sgpr_dispatch_id 0
		.amdhsa_user_sgpr_flat_scratch_init 0
		.amdhsa_user_sgpr_kernarg_preload_length 0
		.amdhsa_user_sgpr_kernarg_preload_offset 0
		.amdhsa_user_sgpr_private_segment_size 0
		.amdhsa_uses_dynamic_stack 0
		.amdhsa_system_sgpr_private_segment_wavefront_offset 0
		.amdhsa_system_sgpr_workgroup_id_x 1
		.amdhsa_system_sgpr_workgroup_id_y 0
		.amdhsa_system_sgpr_workgroup_id_z 0
		.amdhsa_system_sgpr_workgroup_info 0
		.amdhsa_system_vgpr_workitem_id 0
		.amdhsa_next_free_vgpr 27
		.amdhsa_next_free_sgpr 96
		.amdhsa_accum_offset 28
		.amdhsa_reserve_vcc 1
		.amdhsa_reserve_flat_scratch 0
		.amdhsa_float_round_mode_32 0
		.amdhsa_float_round_mode_16_64 0
		.amdhsa_float_denorm_mode_32 3
		.amdhsa_float_denorm_mode_16_64 3
		.amdhsa_dx10_clamp 1
		.amdhsa_ieee_mode 1
		.amdhsa_fp16_overflow 0
		.amdhsa_tg_split 0
		.amdhsa_exception_fp_ieee_invalid_op 0
		.amdhsa_exception_fp_denorm_src 0
		.amdhsa_exception_fp_ieee_div_zero 0
		.amdhsa_exception_fp_ieee_overflow 0
		.amdhsa_exception_fp_ieee_underflow 0
		.amdhsa_exception_fp_ieee_inexact 0
		.amdhsa_exception_int_div_zero 0
	.end_amdhsa_kernel
	.section	.text._ZN9rocsparseL26csrgemm_fill_block_per_rowILj1024ELj64ELj4096ELj137ELj32Ell21rocsparse_complex_numIfEEEvT5_PKS3_S5_NS_24const_host_device_scalarIT6_EEPKT4_S5_PKS7_SB_S5_SD_S8_SB_S5_SD_SB_PS3_PS7_21rocsparse_index_base_SG_SG_SG_bbb,"axG",@progbits,_ZN9rocsparseL26csrgemm_fill_block_per_rowILj1024ELj64ELj4096ELj137ELj32Ell21rocsparse_complex_numIfEEEvT5_PKS3_S5_NS_24const_host_device_scalarIT6_EEPKT4_S5_PKS7_SB_S5_SD_S8_SB_S5_SD_SB_PS3_PS7_21rocsparse_index_base_SG_SG_SG_bbb,comdat
.Lfunc_end143:
	.size	_ZN9rocsparseL26csrgemm_fill_block_per_rowILj1024ELj64ELj4096ELj137ELj32Ell21rocsparse_complex_numIfEEEvT5_PKS3_S5_NS_24const_host_device_scalarIT6_EEPKT4_S5_PKS7_SB_S5_SD_S8_SB_S5_SD_SB_PS3_PS7_21rocsparse_index_base_SG_SG_SG_bbb, .Lfunc_end143-_ZN9rocsparseL26csrgemm_fill_block_per_rowILj1024ELj64ELj4096ELj137ELj32Ell21rocsparse_complex_numIfEEEvT5_PKS3_S5_NS_24const_host_device_scalarIT6_EEPKT4_S5_PKS7_SB_S5_SD_S8_SB_S5_SD_SB_PS3_PS7_21rocsparse_index_base_SG_SG_SG_bbb
                                        ; -- End function
	.section	.AMDGPU.csdata,"",@progbits
; Kernel info:
; codeLenInByte = 4884
; NumSgprs: 100
; NumVgprs: 27
; NumAgprs: 0
; TotalNumVgprs: 27
; ScratchSize: 0
; MemoryBound: 0
; FloatMode: 240
; IeeeMode: 1
; LDSByteSize: 0 bytes/workgroup (compile time only)
; SGPRBlocks: 12
; VGPRBlocks: 3
; NumSGPRsForWavesPerEU: 100
; NumVGPRsForWavesPerEU: 27
; AccumOffset: 28
; Occupancy: 8
; WaveLimiterHint : 1
; COMPUTE_PGM_RSRC2:SCRATCH_EN: 0
; COMPUTE_PGM_RSRC2:USER_SGPR: 6
; COMPUTE_PGM_RSRC2:TRAP_HANDLER: 0
; COMPUTE_PGM_RSRC2:TGID_X_EN: 1
; COMPUTE_PGM_RSRC2:TGID_Y_EN: 0
; COMPUTE_PGM_RSRC2:TGID_Z_EN: 0
; COMPUTE_PGM_RSRC2:TIDIG_COMP_CNT: 0
; COMPUTE_PGM_RSRC3_GFX90A:ACCUM_OFFSET: 6
; COMPUTE_PGM_RSRC3_GFX90A:TG_SPLIT: 0
	.section	.text._ZN9rocsparseL26csrgemm_fill_block_per_rowILj1024ELj64ELj4096ELj137ELj64Ell21rocsparse_complex_numIfEEEvT5_PKS3_S5_NS_24const_host_device_scalarIT6_EEPKT4_S5_PKS7_SB_S5_SD_S8_SB_S5_SD_SB_PS3_PS7_21rocsparse_index_base_SG_SG_SG_bbb,"axG",@progbits,_ZN9rocsparseL26csrgemm_fill_block_per_rowILj1024ELj64ELj4096ELj137ELj64Ell21rocsparse_complex_numIfEEEvT5_PKS3_S5_NS_24const_host_device_scalarIT6_EEPKT4_S5_PKS7_SB_S5_SD_S8_SB_S5_SD_SB_PS3_PS7_21rocsparse_index_base_SG_SG_SG_bbb,comdat
	.globl	_ZN9rocsparseL26csrgemm_fill_block_per_rowILj1024ELj64ELj4096ELj137ELj64Ell21rocsparse_complex_numIfEEEvT5_PKS3_S5_NS_24const_host_device_scalarIT6_EEPKT4_S5_PKS7_SB_S5_SD_S8_SB_S5_SD_SB_PS3_PS7_21rocsparse_index_base_SG_SG_SG_bbb ; -- Begin function _ZN9rocsparseL26csrgemm_fill_block_per_rowILj1024ELj64ELj4096ELj137ELj64Ell21rocsparse_complex_numIfEEEvT5_PKS3_S5_NS_24const_host_device_scalarIT6_EEPKT4_S5_PKS7_SB_S5_SD_S8_SB_S5_SD_SB_PS3_PS7_21rocsparse_index_base_SG_SG_SG_bbb
	.p2align	8
	.type	_ZN9rocsparseL26csrgemm_fill_block_per_rowILj1024ELj64ELj4096ELj137ELj64Ell21rocsparse_complex_numIfEEEvT5_PKS3_S5_NS_24const_host_device_scalarIT6_EEPKT4_S5_PKS7_SB_S5_SD_S8_SB_S5_SD_SB_PS3_PS7_21rocsparse_index_base_SG_SG_SG_bbb,@function
_ZN9rocsparseL26csrgemm_fill_block_per_rowILj1024ELj64ELj4096ELj137ELj64Ell21rocsparse_complex_numIfEEEvT5_PKS3_S5_NS_24const_host_device_scalarIT6_EEPKT4_S5_PKS7_SB_S5_SD_S8_SB_S5_SD_SB_PS3_PS7_21rocsparse_index_base_SG_SG_SG_bbb: ; @_ZN9rocsparseL26csrgemm_fill_block_per_rowILj1024ELj64ELj4096ELj137ELj64Ell21rocsparse_complex_numIfEEEvT5_PKS3_S5_NS_24const_host_device_scalarIT6_EEPKT4_S5_PKS7_SB_S5_SD_S8_SB_S5_SD_SB_PS3_PS7_21rocsparse_index_base_SG_SG_SG_bbb
; %bb.0:
	s_load_dwordx8 s[36:43], s[4:5], 0x60
	s_load_dwordx8 s[8:15], s[4:5], 0x40
	s_load_dword s7, s[4:5], 0x98
	s_load_dwordx4 s[24:27], s[4:5], 0x8
	s_load_dwordx8 s[16:23], s[4:5], 0x20
	s_load_dwordx2 s[34:35], s[4:5], 0x80
	s_load_dwordx4 s[44:47], s[4:5], 0x88
	s_waitcnt lgkmcnt(0)
	s_bitcmp1_b32 s7, 0
	s_cselect_b64 s[30:31], -1, 0
	s_bitcmp1_b32 s7, 16
	s_cselect_b64 s[0:1], -1, 0
	s_xor_b64 s[0:1], s[0:1], -1
	v_cndmask_b32_e64 v1, 0, 1, s[0:1]
	s_mov_b32 s3, 0
	s_bitcmp0_b32 s7, 0
	v_cmp_ne_u32_e64 s[0:1], 1, v1
	s_mov_b32 s57, 0
	s_cbranch_scc1 .LBB144_5
; %bb.1:
	s_load_dwordx2 s[2:3], s[4:5], 0x18
	s_and_b64 vcc, exec, s[0:1]
	s_waitcnt lgkmcnt(0)
	s_mov_b32 s57, s2
	s_cbranch_vccnz .LBB144_3
; %bb.2:
	s_load_dword s57, s[2:3], 0x0
.LBB144_3:
	s_and_b64 vcc, exec, s[0:1]
	s_cbranch_vccnz .LBB144_5
; %bb.4:
	s_load_dword s3, s[2:3], 0x4
.LBB144_5:
	s_bitcmp1_b32 s7, 8
	s_cselect_b64 s[28:29], -1, 0
	s_bfe_u32 s2, s7, 0x10008
	s_mov_b32 s56, 0
	s_cmp_eq_u32 s2, 0
	s_mov_b32 s33, 0
	s_cbranch_scc1 .LBB144_11
; %bb.6:
	s_and_b64 vcc, exec, s[0:1]
	s_mov_b32 s33, s12
	s_cbranch_vccnz .LBB144_8
; %bb.7:
	s_load_dword s33, s[12:13], 0x0
.LBB144_8:
	s_and_b64 vcc, exec, s[0:1]
	s_cbranch_vccnz .LBB144_10
; %bb.9:
	s_load_dword s13, s[12:13], 0x4
.LBB144_10:
	s_waitcnt lgkmcnt(0)
	s_mov_b32 s56, s13
.LBB144_11:
	s_load_dwordx2 s[48:49], s[4:5], 0x0
	v_or_b32_e32 v1, 0xfffffc00, v0
	v_lshl_add_u32 v14, v0, 3, 0
	s_mov_b64 s[0:1], 0
	v_mov_b32_e32 v4, 0
	s_waitcnt lgkmcnt(0)
	v_pk_mov_b32 v[2:3], s[48:49], s[48:49] op_sel:[0,1]
	s_movk_i32 s2, 0xbff
	v_mov_b32_e32 v5, v14
	v_mov_b32_e32 v6, v1
.LBB144_12:                             ; =>This Inner Loop Header: Depth=1
	v_add_u32_e32 v6, 0x400, v6
	v_cmp_lt_u32_e32 vcc, s2, v6
	ds_write_b64 v5, v[2:3]
	v_add_u32_e32 v7, 0x8000, v5
	v_add_u32_e32 v5, 0x2000, v5
	s_or_b64 s[0:1], vcc, s[0:1]
	ds_write2_b32 v7, v4, v4 offset1:1
	s_andn2_b64 exec, exec, s[0:1]
	s_cbranch_execnz .LBB144_12
; %bb.13:
	s_or_b64 exec, exec, s[0:1]
	s_waitcnt lgkmcnt(0)
	s_barrier
	s_load_dwordx2 s[0:1], s[24:25], 0x0
	s_mov_b32 s7, 0
	v_lshrrev_b32_e32 v11, 6, v0
	s_waitcnt lgkmcnt(0)
	s_lshl_b64 s[0:1], s[0:1], 3
	s_add_u32 s2, s26, s0
	s_addc_u32 s4, s27, s1
	s_lshl_b64 s[0:1], s[6:7], 3
	s_add_u32 s0, s2, s0
	s_addc_u32 s1, s4, s1
	s_load_dwordx2 s[50:51], s[0:1], 0x0
	s_and_b64 vcc, exec, s[30:31]
	s_cbranch_vccz .LBB144_33
; %bb.14:
	s_waitcnt lgkmcnt(0)
	s_lshl_b64 s[0:1], s[50:51], 3
	s_add_u32 s0, s16, s0
	s_addc_u32 s1, s17, s1
	s_load_dwordx4 s[24:27], s[0:1], 0x0
	v_subrev_co_u32_e32 v2, vcc, s44, v11
	v_subb_co_u32_e64 v3, s[4:5], 0, 0, vcc
	s_waitcnt lgkmcnt(0)
	s_sub_u32 s0, s26, s44
	v_mov_b32_e32 v4, s25
	v_add_co_u32_e32 v2, vcc, s24, v2
	s_subb_u32 s1, s27, 0
	v_addc_co_u32_e32 v3, vcc, v4, v3, vcc
	v_cmp_gt_i64_e32 vcc, s[0:1], v[2:3]
	s_and_saveexec_b64 s[4:5], vcc
	s_cbranch_execz .LBB144_32
; %bb.15:
	v_and_b32_e32 v4, 63, v0
	v_subrev_co_u32_e32 v15, vcc, s45, v4
	s_mov_b32 s6, 0
	v_subb_co_u32_e64 v16, s[12:13], 0, 0, vcc
	s_mov_b32 s2, s44
	s_mov_b32 s58, s45
	s_mov_b64 s[12:13], 0
	v_mov_b32_e32 v17, s19
	v_mov_b32_e32 v18, s7
	;; [unrolled: 1-line block ×4, first 2 shown]
	s_movk_i32 s19, 0x89
	s_branch .LBB144_17
.LBB144_16:                             ;   in Loop: Header=BB144_17 Depth=1
	s_or_b64 exec, exec, s[6:7]
	v_add_co_u32_e32 v2, vcc, 16, v2
	v_addc_co_u32_e32 v3, vcc, 0, v3, vcc
	v_cmp_le_i64_e32 vcc, s[0:1], v[2:3]
	s_or_b64 s[12:13], vcc, s[12:13]
	s_andn2_b64 exec, exec, s[12:13]
	s_cbranch_execz .LBB144_32
.LBB144_17:                             ; =>This Loop Header: Depth=1
                                        ;     Child Loop BB144_20 Depth 2
                                        ;       Child Loop BB144_22 Depth 3
	v_lshlrev_b64 v[8:9], 3, v[2:3]
	v_add_co_u32_e32 v4, vcc, s18, v8
	v_addc_co_u32_e32 v5, vcc, v17, v9, vcc
	global_load_dwordx2 v[4:5], v[4:5], off
	s_waitcnt vmcnt(0)
	v_subrev_co_u32_e32 v4, vcc, s2, v4
	v_subb_co_u32_e32 v5, vcc, v5, v18, vcc
	v_lshlrev_b64 v[4:5], 3, v[4:5]
	v_add_co_u32_e32 v4, vcc, s22, v4
	v_addc_co_u32_e32 v5, vcc, v19, v5, vcc
	global_load_dwordx4 v[22:25], v[4:5], off
	s_waitcnt vmcnt(0)
	v_subrev_co_u32_e32 v4, vcc, s58, v24
	v_subb_co_u32_e32 v5, vcc, v25, v20, vcc
	v_add_co_u32_e32 v6, vcc, v22, v15
	v_addc_co_u32_e32 v7, vcc, v23, v16, vcc
	v_cmp_lt_i64_e32 vcc, v[6:7], v[4:5]
	s_and_saveexec_b64 s[6:7], vcc
	s_cbranch_execz .LBB144_16
; %bb.18:                               ;   in Loop: Header=BB144_17 Depth=1
	v_mov_b32_e32 v10, s21
	v_add_co_u32_e32 v8, vcc, s20, v8
	v_addc_co_u32_e32 v9, vcc, v10, v9, vcc
	global_load_dwordx2 v[8:9], v[8:9], off
	s_mov_b64 s[16:17], 0
	s_waitcnt vmcnt(0)
	v_mul_f32_e64 v21, v9, -s3
	v_mul_f32_e32 v22, s57, v9
	v_fmac_f32_e32 v21, s57, v8
	v_fmac_f32_e32 v22, s3, v8
	s_branch .LBB144_20
.LBB144_19:                             ;   in Loop: Header=BB144_20 Depth=2
	s_or_b64 exec, exec, s[24:25]
	v_add_co_u32_e32 v6, vcc, 64, v6
	v_addc_co_u32_e32 v7, vcc, 0, v7, vcc
	v_cmp_ge_i64_e32 vcc, v[6:7], v[4:5]
	s_or_b64 s[16:17], vcc, s[16:17]
	s_andn2_b64 exec, exec, s[16:17]
	s_cbranch_execz .LBB144_16
.LBB144_20:                             ;   Parent Loop BB144_17 Depth=1
                                        ; =>  This Loop Header: Depth=2
                                        ;       Child Loop BB144_22 Depth 3
	v_lshlrev_b64 v[8:9], 3, v[6:7]
	v_mov_b32_e32 v10, s9
	v_add_co_u32_e32 v12, vcc, s8, v8
	v_addc_co_u32_e32 v13, vcc, v10, v9, vcc
	v_mov_b32_e32 v10, s11
	v_add_co_u32_e32 v8, vcc, s10, v8
	global_load_dwordx2 v[12:13], v[12:13], off
	v_addc_co_u32_e32 v9, vcc, v10, v9, vcc
	global_load_dwordx2 v[26:27], v[8:9], off
	s_mov_b64 s[24:25], 0
	s_waitcnt vmcnt(1)
	v_subrev_co_u32_e32 v8, vcc, s58, v12
	v_mul_lo_u32 v10, v8, s19
	s_waitcnt vmcnt(0)
	v_mul_f32_e64 v23, v27, -v22
	v_mul_f32_e32 v24, v21, v27
	v_subb_co_u32_e32 v9, vcc, v13, v20, vcc
	v_fmac_f32_e32 v23, v21, v26
	v_fmac_f32_e32 v24, v22, v26
	v_and_b32_e32 v10, 0xfff, v10
	s_branch .LBB144_22
.LBB144_21:                             ;   in Loop: Header=BB144_22 Depth=3
	s_or_b64 exec, exec, s[26:27]
	s_xor_b64 s[26:27], s[30:31], -1
	s_and_b64 s[26:27], exec, s[26:27]
	s_or_b64 s[24:25], s[26:27], s[24:25]
	s_andn2_b64 exec, exec, s[24:25]
	s_cbranch_execz .LBB144_19
.LBB144_22:                             ;   Parent Loop BB144_17 Depth=1
                                        ;     Parent Loop BB144_20 Depth=2
                                        ; =>    This Inner Loop Header: Depth=3
	v_lshl_add_u32 v25, v10, 3, 0
	ds_read_b64 v[12:13], v25
                                        ; implicit-def: $sgpr30_sgpr31
	s_waitcnt lgkmcnt(0)
	v_cmp_ne_u64_e32 vcc, v[12:13], v[8:9]
	s_and_saveexec_b64 s[26:27], vcc
	s_xor_b64 s[26:27], exec, s[26:27]
	s_cbranch_execz .LBB144_30
; %bb.23:                               ;   in Loop: Header=BB144_22 Depth=3
	v_cmp_ne_u64_e32 vcc, s[48:49], v[12:13]
                                        ; implicit-def: $sgpr30_sgpr31
	s_and_saveexec_b64 s[44:45], vcc
	s_xor_b64 s[44:45], exec, s[44:45]
; %bb.24:                               ;   in Loop: Header=BB144_22 Depth=3
	v_add_u32_e32 v10, 1, v10
	v_and_b32_e32 v10, 0xfff, v10
	s_mov_b64 s[30:31], -1
                                        ; implicit-def: $vgpr25
; %bb.25:                               ;   in Loop: Header=BB144_22 Depth=3
	s_andn2_saveexec_b64 s[44:45], s[44:45]
	s_cbranch_execz .LBB144_29
; %bb.26:                               ;   in Loop: Header=BB144_22 Depth=3
	v_pk_mov_b32 v[12:13], s[48:49], s[48:49] op_sel:[0,1]
	ds_cmpst_rtn_b64 v[12:13], v25, v[12:13], v[8:9]
	s_mov_b64 s[52:53], -1
	s_waitcnt lgkmcnt(0)
	v_cmp_eq_u64_e32 vcc, s[48:49], v[12:13]
	s_and_saveexec_b64 s[54:55], vcc
	s_cbranch_execz .LBB144_28
; %bb.27:                               ;   in Loop: Header=BB144_22 Depth=3
	ds_add_f32 v25, v23 offset:32768
	ds_add_f32 v25, v24 offset:32772
	s_xor_b64 s[52:53], exec, -1
.LBB144_28:                             ;   in Loop: Header=BB144_22 Depth=3
	s_or_b64 exec, exec, s[54:55]
	s_andn2_b64 s[30:31], s[30:31], exec
	s_and_b64 s[52:53], s[52:53], exec
	s_or_b64 s[30:31], s[30:31], s[52:53]
.LBB144_29:                             ;   in Loop: Header=BB144_22 Depth=3
	s_or_b64 exec, exec, s[44:45]
	s_and_b64 s[30:31], s[30:31], exec
                                        ; implicit-def: $vgpr25
.LBB144_30:                             ;   in Loop: Header=BB144_22 Depth=3
	s_andn2_saveexec_b64 s[26:27], s[26:27]
	s_cbranch_execz .LBB144_21
; %bb.31:                               ;   in Loop: Header=BB144_22 Depth=3
	ds_add_f32 v25, v23 offset:32768
	ds_add_f32 v25, v24 offset:32772
	s_andn2_b64 s[30:31], s[30:31], exec
	s_branch .LBB144_21
.LBB144_32:
	s_or_b64 exec, exec, s[4:5]
.LBB144_33:
	s_andn2_b64 vcc, exec, s[28:29]
	s_cbranch_vccnz .LBB144_50
; %bb.34:
	s_waitcnt lgkmcnt(0)
	s_lshl_b64 s[0:1], s[50:51], 3
	s_add_u32 s0, s14, s0
	s_addc_u32 s1, s15, s1
	s_load_dwordx4 s[8:11], s[0:1], 0x0
	v_subrev_co_u32_e32 v2, vcc, s47, v0
	v_subb_co_u32_e64 v3, s[2:3], 0, 0, vcc
	s_waitcnt lgkmcnt(0)
	s_sub_u32 s0, s10, s47
	v_mov_b32_e32 v4, s9
	v_add_co_u32_e32 v2, vcc, s8, v2
	s_subb_u32 s1, s11, 0
	v_addc_co_u32_e32 v3, vcc, v4, v3, vcc
	s_mov_b32 s6, 0
	v_cmp_gt_i64_e32 vcc, s[0:1], v[2:3]
	s_and_saveexec_b64 s[2:3], vcc
	s_cbranch_execz .LBB144_49
; %bb.35:
	s_mov_b32 s18, s47
	s_mov_b64 s[4:5], 0
	v_mov_b32_e32 v7, s37
	v_mov_b32_e32 v10, s6
	;; [unrolled: 1-line block ×3, first 2 shown]
	s_movk_i32 s19, 0x89
	s_branch .LBB144_37
.LBB144_36:                             ;   in Loop: Header=BB144_37 Depth=1
	s_or_b64 exec, exec, s[6:7]
	v_add_co_u32_e32 v2, vcc, 0x400, v2
	v_addc_co_u32_e32 v3, vcc, 0, v3, vcc
	v_cmp_le_i64_e32 vcc, s[0:1], v[2:3]
	s_or_b64 s[4:5], vcc, s[4:5]
	s_andn2_b64 exec, exec, s[4:5]
	s_cbranch_execz .LBB144_49
.LBB144_37:                             ; =>This Loop Header: Depth=1
                                        ;     Child Loop BB144_39 Depth 2
	v_lshlrev_b64 v[4:5], 3, v[2:3]
	v_add_co_u32_e32 v8, vcc, s36, v4
	v_addc_co_u32_e32 v9, vcc, v7, v5, vcc
	v_add_co_u32_e32 v4, vcc, s38, v4
	global_load_dwordx2 v[8:9], v[8:9], off
	v_addc_co_u32_e32 v5, vcc, v12, v5, vcc
	global_load_dwordx2 v[16:17], v[4:5], off
	s_mov_b64 s[6:7], 0
	s_waitcnt vmcnt(1)
	v_subrev_co_u32_e32 v4, vcc, s18, v8
	v_mul_lo_u32 v6, v4, s19
	s_waitcnt vmcnt(0)
	v_mul_f32_e64 v13, v17, -s56
	v_mul_f32_e32 v15, s33, v17
	v_subb_co_u32_e32 v5, vcc, v9, v10, vcc
	v_fmac_f32_e32 v13, s33, v16
	v_fmac_f32_e32 v15, s56, v16
	v_and_b32_e32 v6, 0xfff, v6
	s_branch .LBB144_39
.LBB144_38:                             ;   in Loop: Header=BB144_39 Depth=2
	s_or_b64 exec, exec, s[8:9]
	s_xor_b64 s[8:9], s[10:11], -1
	s_and_b64 s[8:9], exec, s[8:9]
	s_or_b64 s[6:7], s[8:9], s[6:7]
	s_andn2_b64 exec, exec, s[6:7]
	s_cbranch_execz .LBB144_36
.LBB144_39:                             ;   Parent Loop BB144_37 Depth=1
                                        ; =>  This Inner Loop Header: Depth=2
	v_lshl_add_u32 v16, v6, 3, 0
	ds_read_b64 v[8:9], v16
                                        ; implicit-def: $sgpr10_sgpr11
	s_waitcnt lgkmcnt(0)
	v_cmp_ne_u64_e32 vcc, v[8:9], v[4:5]
	s_and_saveexec_b64 s[8:9], vcc
	s_xor_b64 s[8:9], exec, s[8:9]
	s_cbranch_execz .LBB144_47
; %bb.40:                               ;   in Loop: Header=BB144_39 Depth=2
	v_cmp_ne_u64_e32 vcc, s[48:49], v[8:9]
                                        ; implicit-def: $sgpr10_sgpr11
	s_and_saveexec_b64 s[12:13], vcc
	s_xor_b64 s[12:13], exec, s[12:13]
; %bb.41:                               ;   in Loop: Header=BB144_39 Depth=2
	v_add_u32_e32 v6, 1, v6
	v_and_b32_e32 v6, 0xfff, v6
	s_mov_b64 s[10:11], -1
                                        ; implicit-def: $vgpr16
; %bb.42:                               ;   in Loop: Header=BB144_39 Depth=2
	s_andn2_saveexec_b64 s[12:13], s[12:13]
	s_cbranch_execz .LBB144_46
; %bb.43:                               ;   in Loop: Header=BB144_39 Depth=2
	v_pk_mov_b32 v[8:9], s[48:49], s[48:49] op_sel:[0,1]
	ds_cmpst_rtn_b64 v[8:9], v16, v[8:9], v[4:5]
	s_mov_b64 s[14:15], -1
	s_waitcnt lgkmcnt(0)
	v_cmp_eq_u64_e32 vcc, s[48:49], v[8:9]
	s_and_saveexec_b64 s[16:17], vcc
	s_cbranch_execz .LBB144_45
; %bb.44:                               ;   in Loop: Header=BB144_39 Depth=2
	ds_add_f32 v16, v13 offset:32768
	ds_add_f32 v16, v15 offset:32772
	s_xor_b64 s[14:15], exec, -1
.LBB144_45:                             ;   in Loop: Header=BB144_39 Depth=2
	s_or_b64 exec, exec, s[16:17]
	s_andn2_b64 s[10:11], s[10:11], exec
	s_and_b64 s[14:15], s[14:15], exec
	s_or_b64 s[10:11], s[10:11], s[14:15]
.LBB144_46:                             ;   in Loop: Header=BB144_39 Depth=2
	s_or_b64 exec, exec, s[12:13]
	s_and_b64 s[10:11], s[10:11], exec
                                        ; implicit-def: $vgpr16
.LBB144_47:                             ;   in Loop: Header=BB144_39 Depth=2
	s_andn2_saveexec_b64 s[8:9], s[8:9]
	s_cbranch_execz .LBB144_38
; %bb.48:                               ;   in Loop: Header=BB144_39 Depth=2
	ds_add_f32 v16, v13 offset:32768
	ds_add_f32 v16, v15 offset:32772
	s_andn2_b64 s[10:11], s[10:11], exec
	s_branch .LBB144_38
.LBB144_49:
	s_or_b64 exec, exec, s[2:3]
.LBB144_50:
	v_mbcnt_lo_u32_b32 v2, -1, 0
	v_mbcnt_hi_u32_b32 v2, -1, v2
	v_sub_u32_e32 v2, 63, v2
	s_add_i32 s33, 0, 0x10000
	s_movk_i32 s0, 0x3ff
	s_movk_i32 s2, 0x7f
	s_movk_i32 s4, 0xbf
	s_movk_i32 s6, 0xff
	s_movk_i32 s8, 0x13f
	s_movk_i32 s10, 0x17f
	s_movk_i32 s12, 0x1bf
	s_movk_i32 s14, 0x1ff
	s_movk_i32 s16, 0x23f
	s_movk_i32 s18, 0x27f
	s_movk_i32 s20, 0x2bf
	s_movk_i32 s22, 0x2ff
	s_movk_i32 s24, 0x33f
	s_movk_i32 s26, 0x37f
	s_movk_i32 s28, 0x3bf
	s_add_i32 s63, 0, 0x10078
	v_mov_b32_e32 v3, 0
	v_lshrrev_b64 v[4:5], v2, -1
	v_lshl_add_u32 v15, v11, 3, s33
	v_cmp_eq_u32_e32 vcc, s0, v0
	v_cmp_lt_u32_e64 s[0:1], 63, v0
	v_cmp_lt_u32_e64 s[2:3], s2, v0
	;; [unrolled: 1-line block ×15, first 2 shown]
	s_mov_b64 s[36:37], 0
	v_pk_mov_b32 v[6:7], 0, 0
	s_add_i32 s44, 0, 0x10008
	s_add_i32 s45, 0, 0x10010
	;; [unrolled: 1-line block ×14, first 2 shown]
	v_mov_b32_e32 v16, s63
	s_movk_i32 s64, 0xbff
	s_waitcnt lgkmcnt(0)
	s_barrier
	s_branch .LBB144_52
.LBB144_51:                             ;   in Loop: Header=BB144_52 Depth=1
	s_or_b64 exec, exec, s[30:31]
	s_waitcnt lgkmcnt(0)
	s_barrier
	ds_read_b64 v[8:9], v16
	v_add_u32_e32 v1, 0x400, v1
	v_add_u32_e32 v14, 0x2000, v14
	s_waitcnt lgkmcnt(0)
	v_add_co_u32_e64 v6, s[30:31], v8, v6
	v_addc_co_u32_e64 v7, s[30:31], v9, v7, s[30:31]
	v_cmp_lt_u32_e64 s[30:31], s64, v1
	s_or_b64 s[36:37], s[30:31], s[36:37]
	s_andn2_b64 exec, exec, s[36:37]
	s_cbranch_execz .LBB144_86
.LBB144_52:                             ; =>This Inner Loop Header: Depth=1
	ds_read_b64 v[8:9], v14
	v_add_u32_e32 v2, 0x8000, v14
	ds_read2_b32 v[10:11], v2 offset1:1
	s_waitcnt lgkmcnt(0)
	s_barrier
	v_cmp_gt_i64_e64 s[30:31], s[48:49], v[8:9]
	v_and_b32_e32 v13, s30, v4
	s_bcnt1_i32_b64 s38, s[30:31]
	v_and_b32_e32 v12, s31, v5
	v_bcnt_u32_b32 v13, v13, 0
	v_mov_b32_e32 v2, s38
	v_bcnt_u32_b32 v12, v12, v13
	ds_write_b64 v15, v[2:3]
	s_waitcnt lgkmcnt(0)
	s_barrier
	s_and_saveexec_b64 s[38:39], s[0:1]
	s_cbranch_execnz .LBB144_69
; %bb.53:                               ;   in Loop: Header=BB144_52 Depth=1
	s_or_b64 exec, exec, s[38:39]
	s_and_saveexec_b64 s[38:39], s[2:3]
	s_cbranch_execnz .LBB144_70
.LBB144_54:                             ;   in Loop: Header=BB144_52 Depth=1
	s_or_b64 exec, exec, s[38:39]
	s_and_saveexec_b64 s[38:39], s[4:5]
	s_cbranch_execnz .LBB144_71
.LBB144_55:                             ;   in Loop: Header=BB144_52 Depth=1
	s_or_b64 exec, exec, s[38:39]
	s_and_saveexec_b64 s[38:39], s[6:7]
	s_cbranch_execnz .LBB144_72
.LBB144_56:                             ;   in Loop: Header=BB144_52 Depth=1
	s_or_b64 exec, exec, s[38:39]
	s_and_saveexec_b64 s[38:39], s[8:9]
	s_cbranch_execnz .LBB144_73
.LBB144_57:                             ;   in Loop: Header=BB144_52 Depth=1
	s_or_b64 exec, exec, s[38:39]
	s_and_saveexec_b64 s[38:39], s[10:11]
	s_cbranch_execnz .LBB144_74
.LBB144_58:                             ;   in Loop: Header=BB144_52 Depth=1
	s_or_b64 exec, exec, s[38:39]
	s_and_saveexec_b64 s[38:39], s[12:13]
	s_cbranch_execnz .LBB144_75
.LBB144_59:                             ;   in Loop: Header=BB144_52 Depth=1
	s_or_b64 exec, exec, s[38:39]
	s_and_saveexec_b64 s[38:39], s[14:15]
	s_cbranch_execnz .LBB144_76
.LBB144_60:                             ;   in Loop: Header=BB144_52 Depth=1
	s_or_b64 exec, exec, s[38:39]
	s_and_saveexec_b64 s[38:39], s[16:17]
	s_cbranch_execnz .LBB144_77
.LBB144_61:                             ;   in Loop: Header=BB144_52 Depth=1
	s_or_b64 exec, exec, s[38:39]
	s_and_saveexec_b64 s[38:39], s[18:19]
	s_cbranch_execnz .LBB144_78
.LBB144_62:                             ;   in Loop: Header=BB144_52 Depth=1
	s_or_b64 exec, exec, s[38:39]
	s_and_saveexec_b64 s[38:39], s[20:21]
	s_cbranch_execnz .LBB144_79
.LBB144_63:                             ;   in Loop: Header=BB144_52 Depth=1
	s_or_b64 exec, exec, s[38:39]
	s_and_saveexec_b64 s[38:39], s[22:23]
	s_cbranch_execnz .LBB144_80
.LBB144_64:                             ;   in Loop: Header=BB144_52 Depth=1
	s_or_b64 exec, exec, s[38:39]
	s_and_saveexec_b64 s[38:39], s[24:25]
	s_cbranch_execnz .LBB144_81
.LBB144_65:                             ;   in Loop: Header=BB144_52 Depth=1
	s_or_b64 exec, exec, s[38:39]
	s_and_saveexec_b64 s[38:39], s[26:27]
	s_cbranch_execnz .LBB144_82
.LBB144_66:                             ;   in Loop: Header=BB144_52 Depth=1
	s_or_b64 exec, exec, s[38:39]
	s_and_saveexec_b64 s[38:39], s[28:29]
	s_cbranch_execnz .LBB144_83
.LBB144_67:                             ;   in Loop: Header=BB144_52 Depth=1
	s_or_b64 exec, exec, s[38:39]
	v_ashrrev_i32_e32 v13, 31, v12
	s_and_saveexec_b64 s[38:39], s[30:31]
	s_cbranch_execnz .LBB144_84
.LBB144_68:                             ;   in Loop: Header=BB144_52 Depth=1
	s_or_b64 exec, exec, s[38:39]
	s_and_saveexec_b64 s[30:31], vcc
	s_cbranch_execz .LBB144_51
	s_branch .LBB144_85
.LBB144_69:                             ;   in Loop: Header=BB144_52 Depth=1
	v_mov_b32_e32 v2, s33
	ds_read_b32 v2, v2
	s_waitcnt lgkmcnt(0)
	v_add_u32_e32 v12, v2, v12
	s_or_b64 exec, exec, s[38:39]
	s_and_saveexec_b64 s[38:39], s[2:3]
	s_cbranch_execz .LBB144_54
.LBB144_70:                             ;   in Loop: Header=BB144_52 Depth=1
	v_mov_b32_e32 v2, s44
	ds_read_b32 v2, v2
	s_waitcnt lgkmcnt(0)
	v_add_u32_e32 v12, v12, v2
	s_or_b64 exec, exec, s[38:39]
	s_and_saveexec_b64 s[38:39], s[4:5]
	s_cbranch_execz .LBB144_55
.LBB144_71:                             ;   in Loop: Header=BB144_52 Depth=1
	v_mov_b32_e32 v2, s45
	ds_read_b32 v2, v2
	s_waitcnt lgkmcnt(0)
	v_add_u32_e32 v12, v12, v2
	s_or_b64 exec, exec, s[38:39]
	s_and_saveexec_b64 s[38:39], s[6:7]
	s_cbranch_execz .LBB144_56
.LBB144_72:                             ;   in Loop: Header=BB144_52 Depth=1
	v_mov_b32_e32 v2, s47
	ds_read_b32 v2, v2
	s_waitcnt lgkmcnt(0)
	v_add_u32_e32 v12, v12, v2
	s_or_b64 exec, exec, s[38:39]
	s_and_saveexec_b64 s[38:39], s[8:9]
	s_cbranch_execz .LBB144_57
.LBB144_73:                             ;   in Loop: Header=BB144_52 Depth=1
	v_mov_b32_e32 v2, s52
	ds_read_b32 v2, v2
	s_waitcnt lgkmcnt(0)
	v_add_u32_e32 v12, v12, v2
	s_or_b64 exec, exec, s[38:39]
	s_and_saveexec_b64 s[38:39], s[10:11]
	s_cbranch_execz .LBB144_58
.LBB144_74:                             ;   in Loop: Header=BB144_52 Depth=1
	v_mov_b32_e32 v2, s53
	ds_read_b32 v2, v2
	s_waitcnt lgkmcnt(0)
	v_add_u32_e32 v12, v12, v2
	s_or_b64 exec, exec, s[38:39]
	s_and_saveexec_b64 s[38:39], s[12:13]
	s_cbranch_execz .LBB144_59
.LBB144_75:                             ;   in Loop: Header=BB144_52 Depth=1
	v_mov_b32_e32 v2, s54
	ds_read_b32 v2, v2
	s_waitcnt lgkmcnt(0)
	v_add_u32_e32 v12, v12, v2
	s_or_b64 exec, exec, s[38:39]
	s_and_saveexec_b64 s[38:39], s[14:15]
	s_cbranch_execz .LBB144_60
.LBB144_76:                             ;   in Loop: Header=BB144_52 Depth=1
	v_mov_b32_e32 v2, s55
	ds_read_b32 v2, v2
	s_waitcnt lgkmcnt(0)
	v_add_u32_e32 v12, v12, v2
	s_or_b64 exec, exec, s[38:39]
	s_and_saveexec_b64 s[38:39], s[16:17]
	s_cbranch_execz .LBB144_61
.LBB144_77:                             ;   in Loop: Header=BB144_52 Depth=1
	v_mov_b32_e32 v2, s56
	ds_read_b32 v2, v2
	s_waitcnt lgkmcnt(0)
	v_add_u32_e32 v12, v12, v2
	s_or_b64 exec, exec, s[38:39]
	s_and_saveexec_b64 s[38:39], s[18:19]
	s_cbranch_execz .LBB144_62
.LBB144_78:                             ;   in Loop: Header=BB144_52 Depth=1
	v_mov_b32_e32 v2, s57
	ds_read_b32 v2, v2
	s_waitcnt lgkmcnt(0)
	v_add_u32_e32 v12, v12, v2
	s_or_b64 exec, exec, s[38:39]
	s_and_saveexec_b64 s[38:39], s[20:21]
	s_cbranch_execz .LBB144_63
.LBB144_79:                             ;   in Loop: Header=BB144_52 Depth=1
	v_mov_b32_e32 v2, s58
	ds_read_b32 v2, v2
	s_waitcnt lgkmcnt(0)
	v_add_u32_e32 v12, v12, v2
	s_or_b64 exec, exec, s[38:39]
	s_and_saveexec_b64 s[38:39], s[22:23]
	s_cbranch_execz .LBB144_64
.LBB144_80:                             ;   in Loop: Header=BB144_52 Depth=1
	v_mov_b32_e32 v2, s59
	ds_read_b32 v2, v2
	s_waitcnt lgkmcnt(0)
	v_add_u32_e32 v12, v12, v2
	s_or_b64 exec, exec, s[38:39]
	s_and_saveexec_b64 s[38:39], s[24:25]
	s_cbranch_execz .LBB144_65
.LBB144_81:                             ;   in Loop: Header=BB144_52 Depth=1
	v_mov_b32_e32 v2, s60
	ds_read_b32 v2, v2
	s_waitcnt lgkmcnt(0)
	v_add_u32_e32 v12, v12, v2
	s_or_b64 exec, exec, s[38:39]
	s_and_saveexec_b64 s[38:39], s[26:27]
	s_cbranch_execz .LBB144_66
.LBB144_82:                             ;   in Loop: Header=BB144_52 Depth=1
	v_mov_b32_e32 v2, s61
	ds_read_b32 v2, v2
	s_waitcnt lgkmcnt(0)
	v_add_u32_e32 v12, v12, v2
	s_or_b64 exec, exec, s[38:39]
	s_and_saveexec_b64 s[38:39], s[28:29]
	s_cbranch_execz .LBB144_67
.LBB144_83:                             ;   in Loop: Header=BB144_52 Depth=1
	v_mov_b32_e32 v2, s62
	ds_read_b32 v2, v2
	s_waitcnt lgkmcnt(0)
	v_add_u32_e32 v12, v12, v2
	s_or_b64 exec, exec, s[38:39]
	v_ashrrev_i32_e32 v13, 31, v12
	s_and_saveexec_b64 s[38:39], s[30:31]
	s_cbranch_execz .LBB144_68
.LBB144_84:                             ;   in Loop: Header=BB144_52 Depth=1
	v_add3_u32 v2, v6, -1, v12
	v_lshl_add_u32 v2, v2, 3, 0
	v_add_u32_e32 v17, 0x8000, v2
	ds_write_b64 v2, v[8:9]
	ds_write2_b32 v17, v10, v11 offset1:1
	s_or_b64 exec, exec, s[38:39]
	s_and_saveexec_b64 s[30:31], vcc
	s_cbranch_execz .LBB144_51
.LBB144_85:                             ;   in Loop: Header=BB144_52 Depth=1
	v_mov_b32_e32 v2, s63
	ds_write_b64 v2, v[12:13]
	s_branch .LBB144_51
.LBB144_86:
	s_or_b64 exec, exec, s[36:37]
	s_lshl_b64 s[0:1], s[50:51], 3
	s_add_u32 s0, s40, s0
	s_addc_u32 s1, s41, s1
	s_load_dwordx4 s[0:3], s[0:1], 0x0
	v_mov_b32_e32 v1, 0
	s_waitcnt lgkmcnt(0)
	s_sub_u32 s4, s2, s0
	s_subb_u32 s5, s3, s1
	v_cmp_gt_i64_e32 vcc, s[4:5], v[0:1]
	s_and_saveexec_b64 s[6:7], vcc
	s_cbranch_execz .LBB144_96
; %bb.87:
	s_sub_u32 s6, s0, s46
	s_subb_u32 s7, s1, 0
	s_and_b32 s8, s4, 7
	s_sub_u32 s0, s0, s2
	s_mov_b32 s16, 0
	s_subb_u32 s1, s1, s3
	s_mov_b32 s9, s16
	s_and_b32 s2, s4, -8
	v_cmp_lt_u64_e64 s[0:1], s[0:1], -7
	s_cmp_lg_u64 s[8:9], 0
	v_cndmask_b32_e64 v2, 0, 1, s[0:1]
	s_mov_b32 s3, s5
	s_mov_b64 s[10:11], 0
	s_cselect_b64 s[12:13], -1, 0
	v_cmp_ne_u32_e64 s[0:1], 1, v2
	s_branch .LBB144_89
.LBB144_88:                             ;   in Loop: Header=BB144_89 Depth=1
	v_mov_b32_e32 v8, s16
	s_waitcnt lgkmcnt(1)
	v_add_co_u32_e32 v4, vcc, s46, v4
	v_addc_co_u32_e32 v5, vcc, v5, v8, vcc
	v_lshlrev_b64 v[6:7], 3, v[6:7]
	v_mov_b32_e32 v9, s43
	v_add_co_u32_e32 v8, vcc, s42, v6
	v_addc_co_u32_e32 v9, vcc, v9, v7, vcc
	global_store_dwordx2 v[8:9], v[4:5], off
	v_mov_b32_e32 v5, s35
	v_add_co_u32_e32 v4, vcc, s34, v6
	v_addc_co_u32_e32 v5, vcc, v5, v7, vcc
	v_add_co_u32_e32 v0, vcc, 0x400, v0
	v_addc_co_u32_e32 v1, vcc, 0, v1, vcc
	v_cmp_le_i64_e32 vcc, s[4:5], v[0:1]
	s_or_b64 s[10:11], vcc, s[10:11]
	s_waitcnt lgkmcnt(0)
	global_store_dwordx2 v[4:5], v[2:3], off
	s_andn2_b64 exec, exec, s[10:11]
	s_cbranch_execz .LBB144_96
.LBB144_89:                             ; =>This Loop Header: Depth=1
                                        ;     Child Loop BB144_91 Depth 2
                                        ;     Child Loop BB144_95 Depth 2
	v_lshl_add_u32 v2, v0, 3, 0
	v_add_u32_e32 v3, 0x8000, v2
	ds_read_b64 v[4:5], v2
	ds_read2_b32 v[2:3], v3 offset1:1
	s_and_b64 vcc, exec, s[0:1]
	v_pk_mov_b32 v[6:7], s[6:7], s[6:7] op_sel:[0,1]
	s_mov_b64 s[14:15], 0
	s_cbranch_vccnz .LBB144_93
; %bb.90:                               ;   in Loop: Header=BB144_89 Depth=1
	s_mov_b32 s17, 0
	v_pk_mov_b32 v[6:7], s[6:7], s[6:7] op_sel:[0,1]
.LBB144_91:                             ;   Parent Loop BB144_89 Depth=1
                                        ; =>  This Inner Loop Header: Depth=2
	v_mov_b32_e32 v20, s17
	ds_read2_b64 v[8:11], v20 offset1:1
	ds_read2_b64 v[12:15], v20 offset0:2 offset1:3
	ds_read2_b64 v[16:19], v20 offset0:4 offset1:5
	;; [unrolled: 1-line block ×3, first 2 shown]
	s_add_u32 s14, s14, 8
	s_waitcnt lgkmcnt(3)
	v_cmp_gt_i64_e32 vcc, v[4:5], v[8:9]
	v_cndmask_b32_e64 v8, 0, 1, vcc
	v_cmp_gt_i64_e32 vcc, v[4:5], v[10:11]
	v_cndmask_b32_e64 v9, 0, 1, vcc
	s_waitcnt lgkmcnt(2)
	v_cmp_gt_i64_e32 vcc, v[4:5], v[12:13]
	v_cndmask_b32_e64 v10, 0, 1, vcc
	v_cmp_gt_i64_e32 vcc, v[4:5], v[14:15]
	v_cndmask_b32_e64 v11, 0, 1, vcc
	;; [unrolled: 5-line block ×4, first 2 shown]
	v_add_co_u32_e32 v6, vcc, v6, v8
	v_addc_co_u32_e32 v7, vcc, 0, v7, vcc
	v_add_co_u32_e32 v6, vcc, v6, v9
	v_addc_co_u32_e32 v7, vcc, 0, v7, vcc
	;; [unrolled: 2-line block ×7, first 2 shown]
	s_addc_u32 s15, s15, 0
	s_add_i32 s17, s17, 64
	v_add_co_u32_e32 v6, vcc, v6, v15
	s_cmp_eq_u64 s[2:3], s[14:15]
	v_addc_co_u32_e32 v7, vcc, 0, v7, vcc
	s_cbranch_scc0 .LBB144_91
; %bb.92:                               ;   in Loop: Header=BB144_89 Depth=1
	s_mov_b64 s[14:15], s[2:3]
.LBB144_93:                             ;   in Loop: Header=BB144_89 Depth=1
	s_andn2_b64 vcc, exec, s[12:13]
	s_cbranch_vccnz .LBB144_88
; %bb.94:                               ;   in Loop: Header=BB144_89 Depth=1
	s_lshl_b32 s14, s14, 3
	s_add_i32 s17, s14, 0
	s_mov_b64 s[14:15], s[8:9]
.LBB144_95:                             ;   Parent Loop BB144_89 Depth=1
                                        ; =>  This Inner Loop Header: Depth=2
	v_mov_b32_e32 v8, s17
	ds_read_b64 v[8:9], v8
	s_add_i32 s17, s17, 8
	s_add_u32 s14, s14, -1
	s_addc_u32 s15, s15, -1
	s_cmp_lg_u64 s[14:15], 0
	s_waitcnt lgkmcnt(0)
	v_cmp_gt_i64_e32 vcc, v[4:5], v[8:9]
	v_cndmask_b32_e64 v8, 0, 1, vcc
	v_add_co_u32_e32 v6, vcc, v6, v8
	v_addc_co_u32_e32 v7, vcc, 0, v7, vcc
	s_cbranch_scc1 .LBB144_95
	s_branch .LBB144_88
.LBB144_96:
	s_endpgm
	.section	.rodata,"a",@progbits
	.p2align	6, 0x0
	.amdhsa_kernel _ZN9rocsparseL26csrgemm_fill_block_per_rowILj1024ELj64ELj4096ELj137ELj64Ell21rocsparse_complex_numIfEEEvT5_PKS3_S5_NS_24const_host_device_scalarIT6_EEPKT4_S5_PKS7_SB_S5_SD_S8_SB_S5_SD_SB_PS3_PS7_21rocsparse_index_base_SG_SG_SG_bbb
		.amdhsa_group_segment_fixed_size 0
		.amdhsa_private_segment_fixed_size 0
		.amdhsa_kernarg_size 156
		.amdhsa_user_sgpr_count 6
		.amdhsa_user_sgpr_private_segment_buffer 1
		.amdhsa_user_sgpr_dispatch_ptr 0
		.amdhsa_user_sgpr_queue_ptr 0
		.amdhsa_user_sgpr_kernarg_segment_ptr 1
		.amdhsa_user_sgpr_dispatch_id 0
		.amdhsa_user_sgpr_flat_scratch_init 0
		.amdhsa_user_sgpr_kernarg_preload_length 0
		.amdhsa_user_sgpr_kernarg_preload_offset 0
		.amdhsa_user_sgpr_private_segment_size 0
		.amdhsa_uses_dynamic_stack 0
		.amdhsa_system_sgpr_private_segment_wavefront_offset 0
		.amdhsa_system_sgpr_workgroup_id_x 1
		.amdhsa_system_sgpr_workgroup_id_y 0
		.amdhsa_system_sgpr_workgroup_id_z 0
		.amdhsa_system_sgpr_workgroup_info 0
		.amdhsa_system_vgpr_workitem_id 0
		.amdhsa_next_free_vgpr 28
		.amdhsa_next_free_sgpr 65
		.amdhsa_accum_offset 28
		.amdhsa_reserve_vcc 1
		.amdhsa_reserve_flat_scratch 0
		.amdhsa_float_round_mode_32 0
		.amdhsa_float_round_mode_16_64 0
		.amdhsa_float_denorm_mode_32 3
		.amdhsa_float_denorm_mode_16_64 3
		.amdhsa_dx10_clamp 1
		.amdhsa_ieee_mode 1
		.amdhsa_fp16_overflow 0
		.amdhsa_tg_split 0
		.amdhsa_exception_fp_ieee_invalid_op 0
		.amdhsa_exception_fp_denorm_src 0
		.amdhsa_exception_fp_ieee_div_zero 0
		.amdhsa_exception_fp_ieee_overflow 0
		.amdhsa_exception_fp_ieee_underflow 0
		.amdhsa_exception_fp_ieee_inexact 0
		.amdhsa_exception_int_div_zero 0
	.end_amdhsa_kernel
	.section	.text._ZN9rocsparseL26csrgemm_fill_block_per_rowILj1024ELj64ELj4096ELj137ELj64Ell21rocsparse_complex_numIfEEEvT5_PKS3_S5_NS_24const_host_device_scalarIT6_EEPKT4_S5_PKS7_SB_S5_SD_S8_SB_S5_SD_SB_PS3_PS7_21rocsparse_index_base_SG_SG_SG_bbb,"axG",@progbits,_ZN9rocsparseL26csrgemm_fill_block_per_rowILj1024ELj64ELj4096ELj137ELj64Ell21rocsparse_complex_numIfEEEvT5_PKS3_S5_NS_24const_host_device_scalarIT6_EEPKT4_S5_PKS7_SB_S5_SD_S8_SB_S5_SD_SB_PS3_PS7_21rocsparse_index_base_SG_SG_SG_bbb,comdat
.Lfunc_end144:
	.size	_ZN9rocsparseL26csrgemm_fill_block_per_rowILj1024ELj64ELj4096ELj137ELj64Ell21rocsparse_complex_numIfEEEvT5_PKS3_S5_NS_24const_host_device_scalarIT6_EEPKT4_S5_PKS7_SB_S5_SD_S8_SB_S5_SD_SB_PS3_PS7_21rocsparse_index_base_SG_SG_SG_bbb, .Lfunc_end144-_ZN9rocsparseL26csrgemm_fill_block_per_rowILj1024ELj64ELj4096ELj137ELj64Ell21rocsparse_complex_numIfEEEvT5_PKS3_S5_NS_24const_host_device_scalarIT6_EEPKT4_S5_PKS7_SB_S5_SD_S8_SB_S5_SD_SB_PS3_PS7_21rocsparse_index_base_SG_SG_SG_bbb
                                        ; -- End function
	.section	.AMDGPU.csdata,"",@progbits
; Kernel info:
; codeLenInByte = 3440
; NumSgprs: 69
; NumVgprs: 28
; NumAgprs: 0
; TotalNumVgprs: 28
; ScratchSize: 0
; MemoryBound: 0
; FloatMode: 240
; IeeeMode: 1
; LDSByteSize: 0 bytes/workgroup (compile time only)
; SGPRBlocks: 8
; VGPRBlocks: 3
; NumSGPRsForWavesPerEU: 69
; NumVGPRsForWavesPerEU: 28
; AccumOffset: 28
; Occupancy: 8
; WaveLimiterHint : 1
; COMPUTE_PGM_RSRC2:SCRATCH_EN: 0
; COMPUTE_PGM_RSRC2:USER_SGPR: 6
; COMPUTE_PGM_RSRC2:TRAP_HANDLER: 0
; COMPUTE_PGM_RSRC2:TGID_X_EN: 1
; COMPUTE_PGM_RSRC2:TGID_Y_EN: 0
; COMPUTE_PGM_RSRC2:TGID_Z_EN: 0
; COMPUTE_PGM_RSRC2:TIDIG_COMP_CNT: 0
; COMPUTE_PGM_RSRC3_GFX90A:ACCUM_OFFSET: 6
; COMPUTE_PGM_RSRC3_GFX90A:TG_SPLIT: 0
	.section	.text._ZN9rocsparseL26csrgemm_fill_block_per_rowILj1024ELj64ELj8192ELj137ELj32Ell21rocsparse_complex_numIfEEEvT5_PKS3_S5_NS_24const_host_device_scalarIT6_EEPKT4_S5_PKS7_SB_S5_SD_S8_SB_S5_SD_SB_PS3_PS7_21rocsparse_index_base_SG_SG_SG_bbb,"axG",@progbits,_ZN9rocsparseL26csrgemm_fill_block_per_rowILj1024ELj64ELj8192ELj137ELj32Ell21rocsparse_complex_numIfEEEvT5_PKS3_S5_NS_24const_host_device_scalarIT6_EEPKT4_S5_PKS7_SB_S5_SD_S8_SB_S5_SD_SB_PS3_PS7_21rocsparse_index_base_SG_SG_SG_bbb,comdat
	.globl	_ZN9rocsparseL26csrgemm_fill_block_per_rowILj1024ELj64ELj8192ELj137ELj32Ell21rocsparse_complex_numIfEEEvT5_PKS3_S5_NS_24const_host_device_scalarIT6_EEPKT4_S5_PKS7_SB_S5_SD_S8_SB_S5_SD_SB_PS3_PS7_21rocsparse_index_base_SG_SG_SG_bbb ; -- Begin function _ZN9rocsparseL26csrgemm_fill_block_per_rowILj1024ELj64ELj8192ELj137ELj32Ell21rocsparse_complex_numIfEEEvT5_PKS3_S5_NS_24const_host_device_scalarIT6_EEPKT4_S5_PKS7_SB_S5_SD_S8_SB_S5_SD_SB_PS3_PS7_21rocsparse_index_base_SG_SG_SG_bbb
	.p2align	8
	.type	_ZN9rocsparseL26csrgemm_fill_block_per_rowILj1024ELj64ELj8192ELj137ELj32Ell21rocsparse_complex_numIfEEEvT5_PKS3_S5_NS_24const_host_device_scalarIT6_EEPKT4_S5_PKS7_SB_S5_SD_S8_SB_S5_SD_SB_PS3_PS7_21rocsparse_index_base_SG_SG_SG_bbb,@function
_ZN9rocsparseL26csrgemm_fill_block_per_rowILj1024ELj64ELj8192ELj137ELj32Ell21rocsparse_complex_numIfEEEvT5_PKS3_S5_NS_24const_host_device_scalarIT6_EEPKT4_S5_PKS7_SB_S5_SD_S8_SB_S5_SD_SB_PS3_PS7_21rocsparse_index_base_SG_SG_SG_bbb: ; @_ZN9rocsparseL26csrgemm_fill_block_per_rowILj1024ELj64ELj8192ELj137ELj32Ell21rocsparse_complex_numIfEEEvT5_PKS3_S5_NS_24const_host_device_scalarIT6_EEPKT4_S5_PKS7_SB_S5_SD_S8_SB_S5_SD_SB_PS3_PS7_21rocsparse_index_base_SG_SG_SG_bbb
; %bb.0:
	s_load_dwordx8 s[48:55], s[4:5], 0x60
	s_load_dwordx8 s[8:15], s[4:5], 0x40
	s_load_dword s7, s[4:5], 0x98
	s_load_dwordx4 s[24:27], s[4:5], 0x8
	s_load_dwordx8 s[16:23], s[4:5], 0x20
	s_load_dwordx2 s[0:1], s[4:5], 0x80
                                        ; implicit-def: $vgpr26 : SGPR spill to VGPR lane
	s_load_dwordx4 s[44:47], s[4:5], 0x88
	s_waitcnt lgkmcnt(0)
	s_bitcmp1_b32 s7, 0
	s_cselect_b64 s[30:31], -1, 0
	s_bitcmp1_b32 s7, 16
	v_writelane_b32 v26, s0, 0
	v_writelane_b32 v26, s1, 1
	s_cselect_b64 s[0:1], -1, 0
	s_xor_b64 s[0:1], s[0:1], -1
	v_cndmask_b32_e64 v1, 0, 1, s[0:1]
	s_mov_b32 s3, 0
	s_bitcmp0_b32 s7, 0
	v_cmp_ne_u32_e64 s[0:1], 1, v1
	s_mov_b32 s41, 0
	s_cbranch_scc1 .LBB145_5
; %bb.1:
	s_load_dwordx2 s[2:3], s[4:5], 0x18
	s_and_b64 vcc, exec, s[0:1]
	s_waitcnt lgkmcnt(0)
	s_mov_b32 s41, s2
	s_cbranch_vccnz .LBB145_3
; %bb.2:
	s_load_dword s41, s[2:3], 0x0
.LBB145_3:
	s_and_b64 vcc, exec, s[0:1]
	s_cbranch_vccnz .LBB145_5
; %bb.4:
	s_load_dword s3, s[2:3], 0x4
.LBB145_5:
	s_bitcmp1_b32 s7, 8
	s_cselect_b64 s[28:29], -1, 0
	s_bfe_u32 s2, s7, 0x10008
	s_mov_b32 s40, 0
	s_cmp_eq_u32 s2, 0
	s_mov_b32 s33, 0
	s_cbranch_scc1 .LBB145_11
; %bb.6:
	s_and_b64 vcc, exec, s[0:1]
	s_mov_b32 s33, s12
	s_cbranch_vccnz .LBB145_8
; %bb.7:
	s_load_dword s33, s[12:13], 0x0
.LBB145_8:
	s_and_b64 vcc, exec, s[0:1]
	s_cbranch_vccnz .LBB145_10
; %bb.9:
	s_load_dword s13, s[12:13], 0x4
.LBB145_10:
	s_waitcnt lgkmcnt(0)
	s_mov_b32 s40, s13
.LBB145_11:
	s_load_dwordx2 s[78:79], s[4:5], 0x0
	v_lshl_add_u32 v1, v0, 3, 0
	v_add_u32_e32 v7, 0x10000, v1
	v_mov_b32_e32 v6, 0
	ds_write2_b32 v7, v6, v6 offset1:1
	s_waitcnt lgkmcnt(0)
	v_pk_mov_b32 v[2:3], s[78:79], s[78:79] op_sel:[0,1]
	v_pk_mov_b32 v[4:5], s[78:79], s[78:79] op_sel:[0,1]
	ds_write2st64_b64 v1, v[2:3], v[4:5] offset1:16
	v_add_u32_e32 v2, 0x2000, v7
	v_add_u32_e32 v4, 0x4000, v7
	ds_write2_b32 v2, v6, v6 offset1:1
	v_pk_mov_b32 v[2:3], s[78:79], s[78:79] op_sel:[0,1]
	ds_write2_b32 v4, v6, v6 offset1:1
	v_pk_mov_b32 v[4:5], s[78:79], s[78:79] op_sel:[0,1]
	ds_write2st64_b64 v1, v[2:3], v[4:5] offset0:32 offset1:48
	v_add_u32_e32 v2, 0x6000, v7
	v_add_u32_e32 v4, 0x8000, v7
	ds_write2_b32 v2, v6, v6 offset1:1
	v_pk_mov_b32 v[2:3], s[78:79], s[78:79] op_sel:[0,1]
	ds_write2_b32 v4, v6, v6 offset1:1
	v_pk_mov_b32 v[4:5], s[78:79], s[78:79] op_sel:[0,1]
	ds_write2st64_b64 v1, v[2:3], v[4:5] offset0:64 offset1:80
	;; [unrolled: 7-line block ×3, first 2 shown]
	v_add_u32_e32 v2, 0xe000, v7
	ds_write2_b32 v2, v6, v6 offset1:1
	s_waitcnt lgkmcnt(0)
	s_barrier
	s_load_dwordx2 s[0:1], s[24:25], 0x0
	s_mov_b32 s7, 0
	s_waitcnt lgkmcnt(0)
	s_lshl_b64 s[0:1], s[0:1], 3
	s_add_u32 s2, s26, s0
	s_addc_u32 s4, s27, s1
	s_lshl_b64 s[0:1], s[6:7], 3
	s_add_u32 s0, s2, s0
	s_addc_u32 s1, s4, s1
	s_load_dwordx2 s[56:57], s[0:1], 0x0
	s_andn2_b64 vcc, exec, s[30:31]
	s_cbranch_vccnz .LBB145_31
; %bb.12:
	s_waitcnt lgkmcnt(0)
	s_lshl_b64 s[0:1], s[56:57], 3
	s_add_u32 s0, s16, s0
	s_addc_u32 s1, s17, s1
	s_load_dwordx4 s[24:27], s[0:1], 0x0
	v_lshrrev_b32_e32 v2, 6, v0
	v_subrev_co_u32_e32 v2, vcc, s44, v2
	v_subb_co_u32_e64 v3, s[4:5], 0, 0, vcc
	s_waitcnt lgkmcnt(0)
	s_sub_u32 s0, s26, s44
	v_mov_b32_e32 v4, s25
	v_add_co_u32_e32 v2, vcc, s24, v2
	s_subb_u32 s1, s27, 0
	v_addc_co_u32_e32 v3, vcc, v4, v3, vcc
	v_cmp_gt_i64_e32 vcc, s[0:1], v[2:3]
	s_and_saveexec_b64 s[4:5], vcc
	s_cbranch_execz .LBB145_30
; %bb.13:
	v_and_b32_e32 v4, 63, v0
	v_subrev_co_u32_e32 v11, vcc, s45, v4
	s_mov_b32 s6, 0
	v_subb_co_u32_e64 v14, s[12:13], 0, 0, vcc
	s_mov_b32 s2, s44
	s_mov_b32 s42, s45
	s_mov_b64 s[12:13], 0
	v_mov_b32_e32 v15, s19
	v_mov_b32_e32 v16, s7
	;; [unrolled: 1-line block ×4, first 2 shown]
	s_movk_i32 s19, 0x89
	s_branch .LBB145_15
.LBB145_14:                             ;   in Loop: Header=BB145_15 Depth=1
	s_or_b64 exec, exec, s[6:7]
	v_add_co_u32_e32 v2, vcc, 16, v2
	v_addc_co_u32_e32 v3, vcc, 0, v3, vcc
	v_cmp_le_i64_e32 vcc, s[0:1], v[2:3]
	s_or_b64 s[12:13], vcc, s[12:13]
	s_andn2_b64 exec, exec, s[12:13]
	s_cbranch_execz .LBB145_30
.LBB145_15:                             ; =>This Loop Header: Depth=1
                                        ;     Child Loop BB145_18 Depth 2
                                        ;       Child Loop BB145_20 Depth 3
	v_lshlrev_b64 v[8:9], 3, v[2:3]
	v_add_co_u32_e32 v4, vcc, s18, v8
	v_addc_co_u32_e32 v5, vcc, v15, v9, vcc
	global_load_dwordx2 v[4:5], v[4:5], off
	s_waitcnt vmcnt(0)
	v_subrev_co_u32_e32 v4, vcc, s2, v4
	v_subb_co_u32_e32 v5, vcc, v5, v16, vcc
	v_lshlrev_b64 v[4:5], 3, v[4:5]
	v_add_co_u32_e32 v4, vcc, s22, v4
	v_addc_co_u32_e32 v5, vcc, v17, v5, vcc
	global_load_dwordx4 v[20:23], v[4:5], off
	s_waitcnt vmcnt(0)
	v_subrev_co_u32_e32 v4, vcc, s42, v22
	v_subb_co_u32_e32 v5, vcc, v23, v18, vcc
	v_add_co_u32_e32 v6, vcc, v20, v11
	v_addc_co_u32_e32 v7, vcc, v21, v14, vcc
	v_cmp_lt_i64_e32 vcc, v[6:7], v[4:5]
	s_and_saveexec_b64 s[6:7], vcc
	s_cbranch_execz .LBB145_14
; %bb.16:                               ;   in Loop: Header=BB145_15 Depth=1
	v_mov_b32_e32 v10, s21
	v_add_co_u32_e32 v8, vcc, s20, v8
	v_addc_co_u32_e32 v9, vcc, v10, v9, vcc
	global_load_dwordx2 v[8:9], v[8:9], off
	s_mov_b64 s[16:17], 0
	s_waitcnt vmcnt(0)
	v_mul_f32_e64 v19, v9, -s3
	v_mul_f32_e32 v20, s41, v9
	v_fmac_f32_e32 v19, s41, v8
	v_fmac_f32_e32 v20, s3, v8
	s_branch .LBB145_18
.LBB145_17:                             ;   in Loop: Header=BB145_18 Depth=2
	s_or_b64 exec, exec, s[24:25]
	v_add_co_u32_e32 v6, vcc, 64, v6
	v_addc_co_u32_e32 v7, vcc, 0, v7, vcc
	v_cmp_ge_i64_e32 vcc, v[6:7], v[4:5]
	s_or_b64 s[16:17], vcc, s[16:17]
	s_andn2_b64 exec, exec, s[16:17]
	s_cbranch_execz .LBB145_14
.LBB145_18:                             ;   Parent Loop BB145_15 Depth=1
                                        ; =>  This Loop Header: Depth=2
                                        ;       Child Loop BB145_20 Depth 3
	v_lshlrev_b64 v[8:9], 3, v[6:7]
	v_mov_b32_e32 v10, s9
	v_add_co_u32_e32 v12, vcc, s8, v8
	v_addc_co_u32_e32 v13, vcc, v10, v9, vcc
	v_mov_b32_e32 v10, s11
	v_add_co_u32_e32 v8, vcc, s10, v8
	global_load_dwordx2 v[12:13], v[12:13], off
	v_addc_co_u32_e32 v9, vcc, v10, v9, vcc
	global_load_dwordx2 v[24:25], v[8:9], off
	s_mov_b64 s[24:25], 0
	s_waitcnt vmcnt(1)
	v_subrev_co_u32_e32 v8, vcc, s42, v12
	v_mul_lo_u32 v10, v8, s19
	s_waitcnt vmcnt(0)
	v_mul_f32_e64 v21, v25, -v20
	v_mul_f32_e32 v22, v19, v25
	v_subb_co_u32_e32 v9, vcc, v13, v18, vcc
	v_fmac_f32_e32 v21, v19, v24
	v_fmac_f32_e32 v22, v20, v24
	v_and_b32_e32 v10, 0x1fff, v10
	s_branch .LBB145_20
.LBB145_19:                             ;   in Loop: Header=BB145_20 Depth=3
	s_or_b64 exec, exec, s[26:27]
	s_xor_b64 s[26:27], s[30:31], -1
	s_and_b64 s[26:27], exec, s[26:27]
	s_or_b64 s[24:25], s[26:27], s[24:25]
	s_andn2_b64 exec, exec, s[24:25]
	s_cbranch_execz .LBB145_17
.LBB145_20:                             ;   Parent Loop BB145_15 Depth=1
                                        ;     Parent Loop BB145_18 Depth=2
                                        ; =>    This Inner Loop Header: Depth=3
	v_lshl_add_u32 v23, v10, 3, 0
	ds_read_b64 v[12:13], v23
                                        ; implicit-def: $sgpr30_sgpr31
	s_waitcnt lgkmcnt(0)
	v_cmp_ne_u64_e32 vcc, v[12:13], v[8:9]
	s_and_saveexec_b64 s[26:27], vcc
	s_xor_b64 s[26:27], exec, s[26:27]
	s_cbranch_execz .LBB145_28
; %bb.21:                               ;   in Loop: Header=BB145_20 Depth=3
	v_cmp_ne_u64_e32 vcc, s[78:79], v[12:13]
                                        ; implicit-def: $sgpr30_sgpr31
	s_and_saveexec_b64 s[34:35], vcc
	s_xor_b64 s[34:35], exec, s[34:35]
; %bb.22:                               ;   in Loop: Header=BB145_20 Depth=3
	v_add_u32_e32 v10, 1, v10
	v_and_b32_e32 v10, 0x1fff, v10
	s_mov_b64 s[30:31], -1
                                        ; implicit-def: $vgpr23
; %bb.23:                               ;   in Loop: Header=BB145_20 Depth=3
	s_andn2_saveexec_b64 s[34:35], s[34:35]
	s_cbranch_execz .LBB145_27
; %bb.24:                               ;   in Loop: Header=BB145_20 Depth=3
	v_pk_mov_b32 v[12:13], s[78:79], s[78:79] op_sel:[0,1]
	ds_cmpst_rtn_b64 v[12:13], v23, v[12:13], v[8:9]
	s_mov_b64 s[36:37], -1
	s_waitcnt lgkmcnt(0)
	v_cmp_eq_u64_e32 vcc, s[78:79], v[12:13]
	s_and_saveexec_b64 s[38:39], vcc
	s_cbranch_execz .LBB145_26
; %bb.25:                               ;   in Loop: Header=BB145_20 Depth=3
	v_add_u32_e32 v12, 0x10000, v23
	ds_add_f32 v12, v21
	ds_add_f32 v12, v22 offset:4
	s_xor_b64 s[36:37], exec, -1
.LBB145_26:                             ;   in Loop: Header=BB145_20 Depth=3
	s_or_b64 exec, exec, s[38:39]
	s_andn2_b64 s[30:31], s[30:31], exec
	s_and_b64 s[36:37], s[36:37], exec
	s_or_b64 s[30:31], s[30:31], s[36:37]
.LBB145_27:                             ;   in Loop: Header=BB145_20 Depth=3
	s_or_b64 exec, exec, s[34:35]
	s_and_b64 s[30:31], s[30:31], exec
                                        ; implicit-def: $vgpr23
.LBB145_28:                             ;   in Loop: Header=BB145_20 Depth=3
	s_andn2_saveexec_b64 s[26:27], s[26:27]
	s_cbranch_execz .LBB145_19
; %bb.29:                               ;   in Loop: Header=BB145_20 Depth=3
	v_add_u32_e32 v12, 0x10000, v23
	ds_add_f32 v12, v21
	ds_add_f32 v12, v22 offset:4
	s_andn2_b64 s[30:31], s[30:31], exec
	s_branch .LBB145_19
.LBB145_30:
	s_or_b64 exec, exec, s[4:5]
.LBB145_31:
	s_andn2_b64 vcc, exec, s[28:29]
	s_cbranch_vccnz .LBB145_48
; %bb.32:
	s_waitcnt lgkmcnt(0)
	s_lshl_b64 s[0:1], s[56:57], 3
	s_add_u32 s0, s14, s0
	s_addc_u32 s1, s15, s1
	s_load_dwordx4 s[8:11], s[0:1], 0x0
	v_subrev_co_u32_e32 v2, vcc, s47, v0
	v_subb_co_u32_e64 v3, s[2:3], 0, 0, vcc
	s_waitcnt lgkmcnt(0)
	s_sub_u32 s0, s10, s47
	v_mov_b32_e32 v4, s9
	v_add_co_u32_e32 v2, vcc, s8, v2
	s_subb_u32 s1, s11, 0
	v_addc_co_u32_e32 v3, vcc, v4, v3, vcc
	s_mov_b32 s6, 0
	v_cmp_gt_i64_e32 vcc, s[0:1], v[2:3]
	s_and_saveexec_b64 s[2:3], vcc
	s_cbranch_execz .LBB145_47
; %bb.33:
	s_mov_b32 s18, s47
	s_mov_b64 s[4:5], 0
	v_mov_b32_e32 v7, s49
	v_mov_b32_e32 v10, s6
	;; [unrolled: 1-line block ×3, first 2 shown]
	s_movk_i32 s19, 0x89
	s_branch .LBB145_35
.LBB145_34:                             ;   in Loop: Header=BB145_35 Depth=1
	s_or_b64 exec, exec, s[6:7]
	v_add_co_u32_e32 v2, vcc, 0x400, v2
	v_addc_co_u32_e32 v3, vcc, 0, v3, vcc
	v_cmp_le_i64_e32 vcc, s[0:1], v[2:3]
	s_or_b64 s[4:5], vcc, s[4:5]
	s_andn2_b64 exec, exec, s[4:5]
	s_cbranch_execz .LBB145_47
.LBB145_35:                             ; =>This Loop Header: Depth=1
                                        ;     Child Loop BB145_37 Depth 2
	v_lshlrev_b64 v[4:5], 3, v[2:3]
	v_add_co_u32_e32 v8, vcc, s48, v4
	v_addc_co_u32_e32 v9, vcc, v7, v5, vcc
	v_add_co_u32_e32 v4, vcc, s50, v4
	global_load_dwordx2 v[8:9], v[8:9], off
	v_addc_co_u32_e32 v5, vcc, v11, v5, vcc
	global_load_dwordx2 v[14:15], v[4:5], off
	s_mov_b64 s[6:7], 0
	s_waitcnt vmcnt(1)
	v_subrev_co_u32_e32 v4, vcc, s18, v8
	v_mul_lo_u32 v6, v4, s19
	s_waitcnt vmcnt(0)
	v_mul_f32_e64 v12, v15, -s40
	v_mul_f32_e32 v13, s33, v15
	v_subb_co_u32_e32 v5, vcc, v9, v10, vcc
	v_fmac_f32_e32 v12, s33, v14
	v_fmac_f32_e32 v13, s40, v14
	v_and_b32_e32 v6, 0x1fff, v6
	s_branch .LBB145_37
.LBB145_36:                             ;   in Loop: Header=BB145_37 Depth=2
	s_or_b64 exec, exec, s[8:9]
	s_xor_b64 s[8:9], s[10:11], -1
	s_and_b64 s[8:9], exec, s[8:9]
	s_or_b64 s[6:7], s[8:9], s[6:7]
	s_andn2_b64 exec, exec, s[6:7]
	s_cbranch_execz .LBB145_34
.LBB145_37:                             ;   Parent Loop BB145_35 Depth=1
                                        ; =>  This Inner Loop Header: Depth=2
	v_lshl_add_u32 v14, v6, 3, 0
	ds_read_b64 v[8:9], v14
                                        ; implicit-def: $sgpr10_sgpr11
	s_waitcnt lgkmcnt(0)
	v_cmp_ne_u64_e32 vcc, v[8:9], v[4:5]
	s_and_saveexec_b64 s[8:9], vcc
	s_xor_b64 s[8:9], exec, s[8:9]
	s_cbranch_execz .LBB145_45
; %bb.38:                               ;   in Loop: Header=BB145_37 Depth=2
	v_cmp_ne_u64_e32 vcc, s[78:79], v[8:9]
                                        ; implicit-def: $sgpr10_sgpr11
	s_and_saveexec_b64 s[12:13], vcc
	s_xor_b64 s[12:13], exec, s[12:13]
; %bb.39:                               ;   in Loop: Header=BB145_37 Depth=2
	v_add_u32_e32 v6, 1, v6
	v_and_b32_e32 v6, 0x1fff, v6
	s_mov_b64 s[10:11], -1
                                        ; implicit-def: $vgpr14
; %bb.40:                               ;   in Loop: Header=BB145_37 Depth=2
	s_andn2_saveexec_b64 s[12:13], s[12:13]
	s_cbranch_execz .LBB145_44
; %bb.41:                               ;   in Loop: Header=BB145_37 Depth=2
	v_pk_mov_b32 v[8:9], s[78:79], s[78:79] op_sel:[0,1]
	ds_cmpst_rtn_b64 v[8:9], v14, v[8:9], v[4:5]
	s_mov_b64 s[14:15], -1
	s_waitcnt lgkmcnt(0)
	v_cmp_eq_u64_e32 vcc, s[78:79], v[8:9]
	s_and_saveexec_b64 s[16:17], vcc
	s_cbranch_execz .LBB145_43
; %bb.42:                               ;   in Loop: Header=BB145_37 Depth=2
	v_add_u32_e32 v8, 0x10000, v14
	ds_add_f32 v8, v12
	ds_add_f32 v8, v13 offset:4
	s_xor_b64 s[14:15], exec, -1
.LBB145_43:                             ;   in Loop: Header=BB145_37 Depth=2
	s_or_b64 exec, exec, s[16:17]
	s_andn2_b64 s[10:11], s[10:11], exec
	s_and_b64 s[14:15], s[14:15], exec
	s_or_b64 s[10:11], s[10:11], s[14:15]
.LBB145_44:                             ;   in Loop: Header=BB145_37 Depth=2
	s_or_b64 exec, exec, s[12:13]
	s_and_b64 s[10:11], s[10:11], exec
                                        ; implicit-def: $vgpr14
.LBB145_45:                             ;   in Loop: Header=BB145_37 Depth=2
	s_andn2_saveexec_b64 s[8:9], s[8:9]
	s_cbranch_execz .LBB145_36
; %bb.46:                               ;   in Loop: Header=BB145_37 Depth=2
	v_add_u32_e32 v8, 0x10000, v14
	ds_add_f32 v8, v12
	ds_add_f32 v8, v13 offset:4
	s_andn2_b64 s[10:11], s[10:11], exec
	s_branch .LBB145_36
.LBB145_47:
	s_or_b64 exec, exec, s[2:3]
.LBB145_48:
	s_waitcnt lgkmcnt(0)
	v_writelane_b32 v26, s56, 2
	v_writelane_b32 v26, s57, 3
	v_writelane_b32 v26, s44, 4
	v_writelane_b32 v26, s45, 5
	v_writelane_b32 v26, s46, 6
	v_writelane_b32 v26, s47, 7
	s_movk_i32 s33, 0x25f
	v_writelane_b32 v26, s48, 8
	v_cmp_lt_u32_e64 s[34:35], s33, v0
	s_movk_i32 s33, 0x27f
	v_writelane_b32 v26, s49, 9
	v_cmp_lt_u32_e64 s[36:37], s33, v0
	;; [unrolled: 3-line block ×8, first 2 shown]
	s_movk_i32 s33, 0x35f
	v_cmp_lt_u32_e64 s[50:51], s33, v0
	s_movk_i32 s33, 0x37f
	v_cmp_lt_u32_e64 s[52:53], s33, v0
	;; [unrolled: 2-line block ×3, first 2 shown]
	s_movk_i32 s33, 0x3bf
	s_add_i32 s0, 0, 0x20000
	v_cmp_lt_u32_e64 s[56:57], s33, v0
	s_movk_i32 s33, 0x3df
	v_writelane_b32 v26, s0, 16
	v_cmp_lt_u32_e64 s[58:59], s33, v0
	s_add_i32 s33, 0, 0x20008
	v_writelane_b32 v26, s33, 17
	s_add_i32 s33, 0, 0x20010
	v_mbcnt_lo_u32_b32 v2, -1, 0
	v_writelane_b32 v26, s33, 18
	s_add_i32 s33, 0, 0x20018
	v_mbcnt_hi_u32_b32 v2, -1, v2
	v_writelane_b32 v26, s33, 19
	s_add_i32 s33, 0, 0x20020
	v_sub_u32_e32 v2, 63, v2
	v_writelane_b32 v26, s33, 20
	s_add_i32 s33, 0, 0x20028
	v_lshrrev_b64 v[4:5], v2, -1
	v_lshrrev_b32_e32 v2, 2, v0
	v_writelane_b32 v26, s33, 21
	s_add_i32 s33, 0, 0x20030
	v_and_b32_e32 v2, 0xf8, v2
	v_writelane_b32 v26, s33, 22
	s_add_i32 s33, 0, 0x20038
	v_add_u32_e32 v14, s0, v2
	s_movk_i32 s0, 0x3ff
	v_writelane_b32 v26, s33, 23
	s_add_i32 s33, 0, 0x20040
	v_cmp_eq_u32_e32 vcc, s0, v0
	s_movk_i32 s0, 0x5f
	s_movk_i32 s2, 0x7f
	;; [unrolled: 1-line block ×16, first 2 shown]
	v_writelane_b32 v26, s33, 24
	s_add_i32 s33, 0, 0x20048
	v_mov_b32_e32 v3, 0
	v_cmp_lt_u32_e64 s[0:1], s0, v0
	v_cmp_lt_u32_e64 s[2:3], s2, v0
	;; [unrolled: 1-line block ×16, first 2 shown]
	v_or_b32_e32 v15, 0xfffffc00, v0
	v_pk_mov_b32 v[6:7], 0, 0
	v_writelane_b32 v26, s33, 25
	s_add_i32 s90, 0, 0x20050
	s_add_i32 s91, 0, 0x20058
	;; [unrolled: 1-line block ×22, first 2 shown]
	s_movk_i32 s87, 0x1bff
	v_cmp_lt_u32_e64 s[60:61], 31, v0
	v_cmp_lt_u32_e64 s[62:63], 63, v0
	s_mov_b64 s[66:67], 0
	s_barrier
	s_branch .LBB145_50
.LBB145_49:                             ;   in Loop: Header=BB145_50 Depth=1
	s_or_b64 exec, exec, s[64:65]
	v_mov_b32_e32 v2, s86
	s_waitcnt lgkmcnt(0)
	s_barrier
	ds_read_b64 v[8:9], v2
	v_add_u32_e32 v15, 0x400, v15
	v_add_u32_e32 v1, 0x2000, v1
	s_waitcnt lgkmcnt(0)
	v_add_co_u32_e64 v6, s[64:65], v8, v6
	v_addc_co_u32_e64 v7, s[64:65], v9, v7, s[64:65]
	v_cmp_lt_u32_e64 s[64:65], s87, v15
	s_or_b64 s[66:67], s[64:65], s[66:67]
	s_andn2_b64 exec, exec, s[66:67]
	s_cbranch_execz .LBB145_116
.LBB145_50:                             ; =>This Inner Loop Header: Depth=1
	ds_read_b64 v[8:9], v1
	v_add_u32_e32 v2, 0x10000, v1
	ds_read2_b32 v[10:11], v2 offset1:1
	s_waitcnt lgkmcnt(0)
	s_barrier
	v_cmp_gt_i64_e64 s[64:65], s[78:79], v[8:9]
	v_and_b32_e32 v13, s64, v4
	s_bcnt1_i32_b64 s72, s[64:65]
	v_and_b32_e32 v12, s65, v5
	v_bcnt_u32_b32 v13, v13, 0
	v_mov_b32_e32 v2, s72
	v_bcnt_u32_b32 v12, v12, v13
	ds_write_b64 v14, v[2:3]
	s_waitcnt lgkmcnt(0)
	s_barrier
	s_and_saveexec_b64 s[72:73], s[60:61]
	s_cbranch_execnz .LBB145_83
; %bb.51:                               ;   in Loop: Header=BB145_50 Depth=1
	s_or_b64 exec, exec, s[72:73]
	s_and_saveexec_b64 s[72:73], s[62:63]
	s_cbranch_execnz .LBB145_84
.LBB145_52:                             ;   in Loop: Header=BB145_50 Depth=1
	s_or_b64 exec, exec, s[72:73]
	s_and_saveexec_b64 s[72:73], s[0:1]
	s_cbranch_execnz .LBB145_85
.LBB145_53:                             ;   in Loop: Header=BB145_50 Depth=1
	s_or_b64 exec, exec, s[72:73]
	s_and_saveexec_b64 s[72:73], s[2:3]
	s_cbranch_execnz .LBB145_86
.LBB145_54:                             ;   in Loop: Header=BB145_50 Depth=1
	s_or_b64 exec, exec, s[72:73]
	s_and_saveexec_b64 s[72:73], s[4:5]
	s_cbranch_execnz .LBB145_87
.LBB145_55:                             ;   in Loop: Header=BB145_50 Depth=1
	s_or_b64 exec, exec, s[72:73]
	s_and_saveexec_b64 s[72:73], s[6:7]
	s_cbranch_execnz .LBB145_88
.LBB145_56:                             ;   in Loop: Header=BB145_50 Depth=1
	s_or_b64 exec, exec, s[72:73]
	s_and_saveexec_b64 s[72:73], s[8:9]
	s_cbranch_execnz .LBB145_89
.LBB145_57:                             ;   in Loop: Header=BB145_50 Depth=1
	s_or_b64 exec, exec, s[72:73]
	s_and_saveexec_b64 s[72:73], s[10:11]
	s_cbranch_execnz .LBB145_90
.LBB145_58:                             ;   in Loop: Header=BB145_50 Depth=1
	s_or_b64 exec, exec, s[72:73]
	s_and_saveexec_b64 s[72:73], s[12:13]
	s_cbranch_execnz .LBB145_91
.LBB145_59:                             ;   in Loop: Header=BB145_50 Depth=1
	s_or_b64 exec, exec, s[72:73]
	s_and_saveexec_b64 s[72:73], s[14:15]
	s_cbranch_execnz .LBB145_92
.LBB145_60:                             ;   in Loop: Header=BB145_50 Depth=1
	s_or_b64 exec, exec, s[72:73]
	s_and_saveexec_b64 s[72:73], s[16:17]
	s_cbranch_execnz .LBB145_93
.LBB145_61:                             ;   in Loop: Header=BB145_50 Depth=1
	s_or_b64 exec, exec, s[72:73]
	s_and_saveexec_b64 s[72:73], s[18:19]
	s_cbranch_execnz .LBB145_94
.LBB145_62:                             ;   in Loop: Header=BB145_50 Depth=1
	s_or_b64 exec, exec, s[72:73]
	s_and_saveexec_b64 s[72:73], s[20:21]
	s_cbranch_execnz .LBB145_95
.LBB145_63:                             ;   in Loop: Header=BB145_50 Depth=1
	s_or_b64 exec, exec, s[72:73]
	s_and_saveexec_b64 s[72:73], s[22:23]
	s_cbranch_execnz .LBB145_96
.LBB145_64:                             ;   in Loop: Header=BB145_50 Depth=1
	s_or_b64 exec, exec, s[72:73]
	s_and_saveexec_b64 s[72:73], s[24:25]
	s_cbranch_execnz .LBB145_97
.LBB145_65:                             ;   in Loop: Header=BB145_50 Depth=1
	s_or_b64 exec, exec, s[72:73]
	s_and_saveexec_b64 s[72:73], s[26:27]
	s_cbranch_execnz .LBB145_98
.LBB145_66:                             ;   in Loop: Header=BB145_50 Depth=1
	s_or_b64 exec, exec, s[72:73]
	s_and_saveexec_b64 s[72:73], s[28:29]
	s_cbranch_execnz .LBB145_99
.LBB145_67:                             ;   in Loop: Header=BB145_50 Depth=1
	s_or_b64 exec, exec, s[72:73]
	s_and_saveexec_b64 s[72:73], s[30:31]
	s_cbranch_execnz .LBB145_100
.LBB145_68:                             ;   in Loop: Header=BB145_50 Depth=1
	s_or_b64 exec, exec, s[72:73]
	s_and_saveexec_b64 s[72:73], s[34:35]
	s_cbranch_execnz .LBB145_101
.LBB145_69:                             ;   in Loop: Header=BB145_50 Depth=1
	s_or_b64 exec, exec, s[72:73]
	s_and_saveexec_b64 s[72:73], s[36:37]
	s_cbranch_execnz .LBB145_102
.LBB145_70:                             ;   in Loop: Header=BB145_50 Depth=1
	s_or_b64 exec, exec, s[72:73]
	s_and_saveexec_b64 s[72:73], s[38:39]
	s_cbranch_execnz .LBB145_103
.LBB145_71:                             ;   in Loop: Header=BB145_50 Depth=1
	s_or_b64 exec, exec, s[72:73]
	s_and_saveexec_b64 s[72:73], s[40:41]
	s_cbranch_execnz .LBB145_104
.LBB145_72:                             ;   in Loop: Header=BB145_50 Depth=1
	s_or_b64 exec, exec, s[72:73]
	s_and_saveexec_b64 s[72:73], s[42:43]
	s_cbranch_execnz .LBB145_105
.LBB145_73:                             ;   in Loop: Header=BB145_50 Depth=1
	s_or_b64 exec, exec, s[72:73]
	s_and_saveexec_b64 s[72:73], s[44:45]
	s_cbranch_execnz .LBB145_106
.LBB145_74:                             ;   in Loop: Header=BB145_50 Depth=1
	s_or_b64 exec, exec, s[72:73]
	s_and_saveexec_b64 s[72:73], s[46:47]
	s_cbranch_execnz .LBB145_107
.LBB145_75:                             ;   in Loop: Header=BB145_50 Depth=1
	s_or_b64 exec, exec, s[72:73]
	s_and_saveexec_b64 s[72:73], s[48:49]
	s_cbranch_execnz .LBB145_108
.LBB145_76:                             ;   in Loop: Header=BB145_50 Depth=1
	s_or_b64 exec, exec, s[72:73]
	s_and_saveexec_b64 s[72:73], s[50:51]
	s_cbranch_execnz .LBB145_109
.LBB145_77:                             ;   in Loop: Header=BB145_50 Depth=1
	s_or_b64 exec, exec, s[72:73]
	s_and_saveexec_b64 s[72:73], s[52:53]
	s_cbranch_execnz .LBB145_110
.LBB145_78:                             ;   in Loop: Header=BB145_50 Depth=1
	s_or_b64 exec, exec, s[72:73]
	s_and_saveexec_b64 s[72:73], s[54:55]
	s_cbranch_execnz .LBB145_111
.LBB145_79:                             ;   in Loop: Header=BB145_50 Depth=1
	s_or_b64 exec, exec, s[72:73]
	s_and_saveexec_b64 s[72:73], s[56:57]
	s_cbranch_execnz .LBB145_112
.LBB145_80:                             ;   in Loop: Header=BB145_50 Depth=1
	s_or_b64 exec, exec, s[72:73]
	s_and_saveexec_b64 s[72:73], s[58:59]
	s_cbranch_execnz .LBB145_113
.LBB145_81:                             ;   in Loop: Header=BB145_50 Depth=1
	s_or_b64 exec, exec, s[72:73]
	v_ashrrev_i32_e32 v13, 31, v12
	s_and_saveexec_b64 s[72:73], s[64:65]
	s_cbranch_execnz .LBB145_114
.LBB145_82:                             ;   in Loop: Header=BB145_50 Depth=1
	s_or_b64 exec, exec, s[72:73]
	s_and_saveexec_b64 s[64:65], vcc
	s_cbranch_execz .LBB145_49
	s_branch .LBB145_115
.LBB145_83:                             ;   in Loop: Header=BB145_50 Depth=1
	v_readlane_b32 s88, v26, 16
	v_mov_b32_e32 v2, s88
	ds_read_b32 v2, v2
	s_waitcnt lgkmcnt(0)
	v_add_u32_e32 v12, v2, v12
	s_or_b64 exec, exec, s[72:73]
	s_and_saveexec_b64 s[72:73], s[62:63]
	s_cbranch_execz .LBB145_52
.LBB145_84:                             ;   in Loop: Header=BB145_50 Depth=1
	v_readlane_b32 s88, v26, 17
	v_mov_b32_e32 v2, s88
	ds_read_b32 v2, v2
	s_waitcnt lgkmcnt(0)
	v_add_u32_e32 v12, v12, v2
	s_or_b64 exec, exec, s[72:73]
	s_and_saveexec_b64 s[72:73], s[0:1]
	s_cbranch_execz .LBB145_53
.LBB145_85:                             ;   in Loop: Header=BB145_50 Depth=1
	v_readlane_b32 s88, v26, 18
	v_mov_b32_e32 v2, s88
	ds_read_b32 v2, v2
	s_waitcnt lgkmcnt(0)
	v_add_u32_e32 v12, v12, v2
	s_or_b64 exec, exec, s[72:73]
	s_and_saveexec_b64 s[72:73], s[2:3]
	s_cbranch_execz .LBB145_54
.LBB145_86:                             ;   in Loop: Header=BB145_50 Depth=1
	v_readlane_b32 s88, v26, 19
	v_mov_b32_e32 v2, s88
	ds_read_b32 v2, v2
	s_waitcnt lgkmcnt(0)
	v_add_u32_e32 v12, v12, v2
	s_or_b64 exec, exec, s[72:73]
	s_and_saveexec_b64 s[72:73], s[4:5]
	s_cbranch_execz .LBB145_55
.LBB145_87:                             ;   in Loop: Header=BB145_50 Depth=1
	v_readlane_b32 s88, v26, 20
	v_mov_b32_e32 v2, s88
	ds_read_b32 v2, v2
	s_waitcnt lgkmcnt(0)
	v_add_u32_e32 v12, v12, v2
	s_or_b64 exec, exec, s[72:73]
	s_and_saveexec_b64 s[72:73], s[6:7]
	s_cbranch_execz .LBB145_56
.LBB145_88:                             ;   in Loop: Header=BB145_50 Depth=1
	v_readlane_b32 s88, v26, 21
	v_mov_b32_e32 v2, s88
	ds_read_b32 v2, v2
	s_waitcnt lgkmcnt(0)
	v_add_u32_e32 v12, v12, v2
	s_or_b64 exec, exec, s[72:73]
	s_and_saveexec_b64 s[72:73], s[8:9]
	s_cbranch_execz .LBB145_57
.LBB145_89:                             ;   in Loop: Header=BB145_50 Depth=1
	v_readlane_b32 s88, v26, 22
	v_mov_b32_e32 v2, s88
	ds_read_b32 v2, v2
	s_waitcnt lgkmcnt(0)
	v_add_u32_e32 v12, v12, v2
	s_or_b64 exec, exec, s[72:73]
	s_and_saveexec_b64 s[72:73], s[10:11]
	s_cbranch_execz .LBB145_58
.LBB145_90:                             ;   in Loop: Header=BB145_50 Depth=1
	v_readlane_b32 s88, v26, 23
	v_mov_b32_e32 v2, s88
	ds_read_b32 v2, v2
	s_waitcnt lgkmcnt(0)
	v_add_u32_e32 v12, v12, v2
	s_or_b64 exec, exec, s[72:73]
	s_and_saveexec_b64 s[72:73], s[12:13]
	s_cbranch_execz .LBB145_59
.LBB145_91:                             ;   in Loop: Header=BB145_50 Depth=1
	v_readlane_b32 s88, v26, 24
	v_mov_b32_e32 v2, s88
	ds_read_b32 v2, v2
	s_waitcnt lgkmcnt(0)
	v_add_u32_e32 v12, v12, v2
	s_or_b64 exec, exec, s[72:73]
	s_and_saveexec_b64 s[72:73], s[14:15]
	s_cbranch_execz .LBB145_60
.LBB145_92:                             ;   in Loop: Header=BB145_50 Depth=1
	v_readlane_b32 s88, v26, 25
	v_mov_b32_e32 v2, s88
	ds_read_b32 v2, v2
	s_waitcnt lgkmcnt(0)
	v_add_u32_e32 v12, v12, v2
	s_or_b64 exec, exec, s[72:73]
	s_and_saveexec_b64 s[72:73], s[16:17]
	s_cbranch_execz .LBB145_61
.LBB145_93:                             ;   in Loop: Header=BB145_50 Depth=1
	v_mov_b32_e32 v2, s90
	ds_read_b32 v2, v2
	s_waitcnt lgkmcnt(0)
	v_add_u32_e32 v12, v12, v2
	s_or_b64 exec, exec, s[72:73]
	s_and_saveexec_b64 s[72:73], s[18:19]
	s_cbranch_execz .LBB145_62
.LBB145_94:                             ;   in Loop: Header=BB145_50 Depth=1
	v_mov_b32_e32 v2, s91
	ds_read_b32 v2, v2
	s_waitcnt lgkmcnt(0)
	v_add_u32_e32 v12, v12, v2
	s_or_b64 exec, exec, s[72:73]
	s_and_saveexec_b64 s[72:73], s[20:21]
	s_cbranch_execz .LBB145_63
.LBB145_95:                             ;   in Loop: Header=BB145_50 Depth=1
	v_mov_b32_e32 v2, s92
	ds_read_b32 v2, v2
	s_waitcnt lgkmcnt(0)
	v_add_u32_e32 v12, v12, v2
	s_or_b64 exec, exec, s[72:73]
	s_and_saveexec_b64 s[72:73], s[22:23]
	s_cbranch_execz .LBB145_64
.LBB145_96:                             ;   in Loop: Header=BB145_50 Depth=1
	v_mov_b32_e32 v2, s93
	ds_read_b32 v2, v2
	s_waitcnt lgkmcnt(0)
	v_add_u32_e32 v12, v12, v2
	s_or_b64 exec, exec, s[72:73]
	s_and_saveexec_b64 s[72:73], s[24:25]
	s_cbranch_execz .LBB145_65
.LBB145_97:                             ;   in Loop: Header=BB145_50 Depth=1
	v_mov_b32_e32 v2, s94
	ds_read_b32 v2, v2
	s_waitcnt lgkmcnt(0)
	v_add_u32_e32 v12, v12, v2
	s_or_b64 exec, exec, s[72:73]
	s_and_saveexec_b64 s[72:73], s[26:27]
	s_cbranch_execz .LBB145_66
.LBB145_98:                             ;   in Loop: Header=BB145_50 Depth=1
	v_mov_b32_e32 v2, s95
	ds_read_b32 v2, v2
	s_waitcnt lgkmcnt(0)
	v_add_u32_e32 v12, v12, v2
	s_or_b64 exec, exec, s[72:73]
	s_and_saveexec_b64 s[72:73], s[28:29]
	s_cbranch_execz .LBB145_67
.LBB145_99:                             ;   in Loop: Header=BB145_50 Depth=1
	v_mov_b32_e32 v2, s80
	ds_read_b32 v2, v2
	s_waitcnt lgkmcnt(0)
	v_add_u32_e32 v12, v12, v2
	s_or_b64 exec, exec, s[72:73]
	s_and_saveexec_b64 s[72:73], s[30:31]
	s_cbranch_execz .LBB145_68
.LBB145_100:                            ;   in Loop: Header=BB145_50 Depth=1
	v_mov_b32_e32 v2, s81
	ds_read_b32 v2, v2
	s_waitcnt lgkmcnt(0)
	v_add_u32_e32 v12, v12, v2
	s_or_b64 exec, exec, s[72:73]
	s_and_saveexec_b64 s[72:73], s[34:35]
	s_cbranch_execz .LBB145_69
.LBB145_101:                            ;   in Loop: Header=BB145_50 Depth=1
	v_mov_b32_e32 v2, s74
	ds_read_b32 v2, v2
	s_waitcnt lgkmcnt(0)
	v_add_u32_e32 v12, v12, v2
	s_or_b64 exec, exec, s[72:73]
	s_and_saveexec_b64 s[72:73], s[36:37]
	s_cbranch_execz .LBB145_70
.LBB145_102:                            ;   in Loop: Header=BB145_50 Depth=1
	v_mov_b32_e32 v2, s76
	ds_read_b32 v2, v2
	s_waitcnt lgkmcnt(0)
	v_add_u32_e32 v12, v12, v2
	s_or_b64 exec, exec, s[72:73]
	s_and_saveexec_b64 s[72:73], s[38:39]
	s_cbranch_execz .LBB145_71
.LBB145_103:                            ;   in Loop: Header=BB145_50 Depth=1
	v_mov_b32_e32 v2, s77
	ds_read_b32 v2, v2
	s_waitcnt lgkmcnt(0)
	v_add_u32_e32 v12, v12, v2
	s_or_b64 exec, exec, s[72:73]
	s_and_saveexec_b64 s[72:73], s[40:41]
	s_cbranch_execz .LBB145_72
.LBB145_104:                            ;   in Loop: Header=BB145_50 Depth=1
	v_mov_b32_e32 v2, s68
	ds_read_b32 v2, v2
	s_waitcnt lgkmcnt(0)
	v_add_u32_e32 v12, v12, v2
	s_or_b64 exec, exec, s[72:73]
	s_and_saveexec_b64 s[72:73], s[42:43]
	s_cbranch_execz .LBB145_73
.LBB145_105:                            ;   in Loop: Header=BB145_50 Depth=1
	v_mov_b32_e32 v2, s69
	ds_read_b32 v2, v2
	s_waitcnt lgkmcnt(0)
	v_add_u32_e32 v12, v12, v2
	s_or_b64 exec, exec, s[72:73]
	s_and_saveexec_b64 s[72:73], s[44:45]
	s_cbranch_execz .LBB145_74
.LBB145_106:                            ;   in Loop: Header=BB145_50 Depth=1
	v_mov_b32_e32 v2, s70
	ds_read_b32 v2, v2
	s_waitcnt lgkmcnt(0)
	v_add_u32_e32 v12, v12, v2
	s_or_b64 exec, exec, s[72:73]
	s_and_saveexec_b64 s[72:73], s[46:47]
	s_cbranch_execz .LBB145_75
.LBB145_107:                            ;   in Loop: Header=BB145_50 Depth=1
	v_mov_b32_e32 v2, s71
	ds_read_b32 v2, v2
	s_waitcnt lgkmcnt(0)
	v_add_u32_e32 v12, v12, v2
	s_or_b64 exec, exec, s[72:73]
	s_and_saveexec_b64 s[72:73], s[48:49]
	s_cbranch_execz .LBB145_76
.LBB145_108:                            ;   in Loop: Header=BB145_50 Depth=1
	v_mov_b32_e32 v2, s33
	ds_read_b32 v2, v2
	s_waitcnt lgkmcnt(0)
	v_add_u32_e32 v12, v12, v2
	s_or_b64 exec, exec, s[72:73]
	s_and_saveexec_b64 s[72:73], s[50:51]
	s_cbranch_execz .LBB145_77
.LBB145_109:                            ;   in Loop: Header=BB145_50 Depth=1
	v_mov_b32_e32 v2, s75
	ds_read_b32 v2, v2
	s_waitcnt lgkmcnt(0)
	v_add_u32_e32 v12, v12, v2
	s_or_b64 exec, exec, s[72:73]
	s_and_saveexec_b64 s[72:73], s[52:53]
	s_cbranch_execz .LBB145_78
.LBB145_110:                            ;   in Loop: Header=BB145_50 Depth=1
	v_mov_b32_e32 v2, s82
	ds_read_b32 v2, v2
	s_waitcnt lgkmcnt(0)
	v_add_u32_e32 v12, v12, v2
	s_or_b64 exec, exec, s[72:73]
	s_and_saveexec_b64 s[72:73], s[54:55]
	s_cbranch_execz .LBB145_79
.LBB145_111:                            ;   in Loop: Header=BB145_50 Depth=1
	v_mov_b32_e32 v2, s83
	ds_read_b32 v2, v2
	s_waitcnt lgkmcnt(0)
	v_add_u32_e32 v12, v12, v2
	s_or_b64 exec, exec, s[72:73]
	s_and_saveexec_b64 s[72:73], s[56:57]
	s_cbranch_execz .LBB145_80
.LBB145_112:                            ;   in Loop: Header=BB145_50 Depth=1
	v_mov_b32_e32 v2, s84
	ds_read_b32 v2, v2
	s_waitcnt lgkmcnt(0)
	v_add_u32_e32 v12, v12, v2
	s_or_b64 exec, exec, s[72:73]
	s_and_saveexec_b64 s[72:73], s[58:59]
	s_cbranch_execz .LBB145_81
.LBB145_113:                            ;   in Loop: Header=BB145_50 Depth=1
	v_mov_b32_e32 v2, s85
	ds_read_b32 v2, v2
	s_waitcnt lgkmcnt(0)
	v_add_u32_e32 v12, v12, v2
	s_or_b64 exec, exec, s[72:73]
	v_ashrrev_i32_e32 v13, 31, v12
	s_and_saveexec_b64 s[72:73], s[64:65]
	s_cbranch_execz .LBB145_82
.LBB145_114:                            ;   in Loop: Header=BB145_50 Depth=1
	v_add3_u32 v2, v6, -1, v12
	v_lshl_add_u32 v2, v2, 3, 0
	v_add_u32_e32 v16, 0x10000, v2
	ds_write_b64 v2, v[8:9]
	ds_write2_b32 v16, v10, v11 offset1:1
	s_or_b64 exec, exec, s[72:73]
	s_and_saveexec_b64 s[64:65], vcc
	s_cbranch_execz .LBB145_49
.LBB145_115:                            ;   in Loop: Header=BB145_50 Depth=1
	v_mov_b32_e32 v2, s86
	ds_write_b64 v2, v[12:13]
	s_branch .LBB145_49
.LBB145_116:
	s_or_b64 exec, exec, s[66:67]
	v_readlane_b32 s0, v26, 2
	v_readlane_b32 s1, v26, 3
	;; [unrolled: 1-line block ×3, first 2 shown]
	s_lshl_b64 s[0:1], s[0:1], 3
	v_readlane_b32 s16, v26, 12
	v_readlane_b32 s17, v26, 13
	s_add_u32 s0, s16, s0
	s_addc_u32 s1, s17, s1
	s_load_dwordx4 s[0:3], s[0:1], 0x0
	v_mov_b32_e32 v1, 0
	v_readlane_b32 s18, v26, 14
	v_readlane_b32 s19, v26, 15
	;; [unrolled: 1-line block ×3, first 2 shown]
	s_waitcnt lgkmcnt(0)
	s_sub_u32 s4, s2, s0
	s_subb_u32 s5, s3, s1
	v_cmp_gt_i64_e32 vcc, s[4:5], v[0:1]
	v_readlane_b32 s14, v26, 10
	v_readlane_b32 s15, v26, 11
	s_and_saveexec_b64 s[6:7], vcc
	v_readlane_b32 s20, v26, 4
	v_readlane_b32 s22, v26, 6
	;; [unrolled: 1-line block ×4, first 2 shown]
	s_cbranch_execz .LBB145_126
; %bb.117:
	s_sub_u32 s6, s0, s22
	s_subb_u32 s7, s1, 0
	s_and_b32 s8, s4, 7
	s_sub_u32 s0, s0, s2
	s_mov_b32 s16, 0
	s_subb_u32 s1, s1, s3
	s_mov_b32 s9, s16
	s_and_b32 s2, s4, -8
	v_cmp_lt_u64_e64 s[0:1], s[0:1], -7
	s_cmp_lg_u64 s[8:9], 0
	v_cndmask_b32_e64 v2, 0, 1, s[0:1]
	s_mov_b32 s3, s5
	s_mov_b64 s[10:11], 0
	s_cselect_b64 s[12:13], -1, 0
	v_cmp_ne_u32_e64 s[0:1], 1, v2
	s_branch .LBB145_119
.LBB145_118:                            ;   in Loop: Header=BB145_119 Depth=1
	v_mov_b32_e32 v8, s16
	s_waitcnt lgkmcnt(1)
	v_add_co_u32_e32 v4, vcc, s22, v4
	v_addc_co_u32_e32 v5, vcc, v5, v8, vcc
	v_lshlrev_b64 v[6:7], 3, v[6:7]
	v_mov_b32_e32 v9, s19
	v_add_co_u32_e32 v8, vcc, s18, v6
	v_readlane_b32 s14, v26, 0
	v_addc_co_u32_e32 v9, vcc, v9, v7, vcc
	v_readlane_b32 s15, v26, 1
	global_store_dwordx2 v[8:9], v[4:5], off
	v_mov_b32_e32 v5, s15
	v_add_co_u32_e32 v4, vcc, s14, v6
	v_addc_co_u32_e32 v5, vcc, v5, v7, vcc
	v_add_co_u32_e32 v0, vcc, 0x400, v0
	v_addc_co_u32_e32 v1, vcc, 0, v1, vcc
	v_cmp_le_i64_e32 vcc, s[4:5], v[0:1]
	s_or_b64 s[10:11], vcc, s[10:11]
	s_waitcnt lgkmcnt(0)
	global_store_dwordx2 v[4:5], v[2:3], off
	s_andn2_b64 exec, exec, s[10:11]
	s_cbranch_execz .LBB145_126
.LBB145_119:                            ; =>This Loop Header: Depth=1
                                        ;     Child Loop BB145_121 Depth 2
                                        ;     Child Loop BB145_125 Depth 2
	v_lshl_add_u32 v2, v0, 3, 0
	v_add_u32_e32 v3, 0x10000, v2
	ds_read_b64 v[4:5], v2
	ds_read2_b32 v[2:3], v3 offset1:1
	s_and_b64 vcc, exec, s[0:1]
	v_pk_mov_b32 v[6:7], s[6:7], s[6:7] op_sel:[0,1]
	s_mov_b64 s[14:15], 0
	s_cbranch_vccnz .LBB145_123
; %bb.120:                              ;   in Loop: Header=BB145_119 Depth=1
	s_mov_b32 s17, 0
	v_pk_mov_b32 v[6:7], s[6:7], s[6:7] op_sel:[0,1]
.LBB145_121:                            ;   Parent Loop BB145_119 Depth=1
                                        ; =>  This Inner Loop Header: Depth=2
	v_mov_b32_e32 v20, s17
	ds_read2_b64 v[8:11], v20 offset1:1
	ds_read2_b64 v[12:15], v20 offset0:2 offset1:3
	ds_read2_b64 v[16:19], v20 offset0:4 offset1:5
	;; [unrolled: 1-line block ×3, first 2 shown]
	s_add_u32 s14, s14, 8
	s_waitcnt lgkmcnt(3)
	v_cmp_gt_i64_e32 vcc, v[4:5], v[8:9]
	v_cndmask_b32_e64 v8, 0, 1, vcc
	v_cmp_gt_i64_e32 vcc, v[4:5], v[10:11]
	v_cndmask_b32_e64 v9, 0, 1, vcc
	s_waitcnt lgkmcnt(2)
	v_cmp_gt_i64_e32 vcc, v[4:5], v[12:13]
	v_cndmask_b32_e64 v10, 0, 1, vcc
	v_cmp_gt_i64_e32 vcc, v[4:5], v[14:15]
	v_cndmask_b32_e64 v11, 0, 1, vcc
	;; [unrolled: 5-line block ×4, first 2 shown]
	v_add_co_u32_e32 v6, vcc, v6, v8
	v_addc_co_u32_e32 v7, vcc, 0, v7, vcc
	v_add_co_u32_e32 v6, vcc, v6, v9
	v_addc_co_u32_e32 v7, vcc, 0, v7, vcc
	;; [unrolled: 2-line block ×7, first 2 shown]
	s_addc_u32 s15, s15, 0
	s_add_i32 s17, s17, 64
	v_add_co_u32_e32 v6, vcc, v6, v15
	s_cmp_eq_u64 s[2:3], s[14:15]
	v_addc_co_u32_e32 v7, vcc, 0, v7, vcc
	s_cbranch_scc0 .LBB145_121
; %bb.122:                              ;   in Loop: Header=BB145_119 Depth=1
	s_mov_b64 s[14:15], s[2:3]
.LBB145_123:                            ;   in Loop: Header=BB145_119 Depth=1
	s_andn2_b64 vcc, exec, s[12:13]
	s_cbranch_vccnz .LBB145_118
; %bb.124:                              ;   in Loop: Header=BB145_119 Depth=1
	s_lshl_b32 s14, s14, 3
	s_add_i32 s17, s14, 0
	s_mov_b64 s[14:15], s[8:9]
.LBB145_125:                            ;   Parent Loop BB145_119 Depth=1
                                        ; =>  This Inner Loop Header: Depth=2
	v_mov_b32_e32 v8, s17
	ds_read_b64 v[8:9], v8
	s_add_i32 s17, s17, 8
	s_add_u32 s14, s14, -1
	s_addc_u32 s15, s15, -1
	s_cmp_lg_u64 s[14:15], 0
	s_waitcnt lgkmcnt(0)
	v_cmp_gt_i64_e32 vcc, v[4:5], v[8:9]
	v_cndmask_b32_e64 v8, 0, 1, vcc
	v_add_co_u32_e32 v6, vcc, v6, v8
	v_addc_co_u32_e32 v7, vcc, 0, v7, vcc
	s_cbranch_scc1 .LBB145_125
	s_branch .LBB145_118
.LBB145_126:
	s_endpgm
	.section	.rodata,"a",@progbits
	.p2align	6, 0x0
	.amdhsa_kernel _ZN9rocsparseL26csrgemm_fill_block_per_rowILj1024ELj64ELj8192ELj137ELj32Ell21rocsparse_complex_numIfEEEvT5_PKS3_S5_NS_24const_host_device_scalarIT6_EEPKT4_S5_PKS7_SB_S5_SD_S8_SB_S5_SD_SB_PS3_PS7_21rocsparse_index_base_SG_SG_SG_bbb
		.amdhsa_group_segment_fixed_size 0
		.amdhsa_private_segment_fixed_size 0
		.amdhsa_kernarg_size 156
		.amdhsa_user_sgpr_count 6
		.amdhsa_user_sgpr_private_segment_buffer 1
		.amdhsa_user_sgpr_dispatch_ptr 0
		.amdhsa_user_sgpr_queue_ptr 0
		.amdhsa_user_sgpr_kernarg_segment_ptr 1
		.amdhsa_user_sgpr_dispatch_id 0
		.amdhsa_user_sgpr_flat_scratch_init 0
		.amdhsa_user_sgpr_kernarg_preload_length 0
		.amdhsa_user_sgpr_kernarg_preload_offset 0
		.amdhsa_user_sgpr_private_segment_size 0
		.amdhsa_uses_dynamic_stack 0
		.amdhsa_system_sgpr_private_segment_wavefront_offset 0
		.amdhsa_system_sgpr_workgroup_id_x 1
		.amdhsa_system_sgpr_workgroup_id_y 0
		.amdhsa_system_sgpr_workgroup_id_z 0
		.amdhsa_system_sgpr_workgroup_info 0
		.amdhsa_system_vgpr_workitem_id 0
		.amdhsa_next_free_vgpr 27
		.amdhsa_next_free_sgpr 96
		.amdhsa_accum_offset 28
		.amdhsa_reserve_vcc 1
		.amdhsa_reserve_flat_scratch 0
		.amdhsa_float_round_mode_32 0
		.amdhsa_float_round_mode_16_64 0
		.amdhsa_float_denorm_mode_32 3
		.amdhsa_float_denorm_mode_16_64 3
		.amdhsa_dx10_clamp 1
		.amdhsa_ieee_mode 1
		.amdhsa_fp16_overflow 0
		.amdhsa_tg_split 0
		.amdhsa_exception_fp_ieee_invalid_op 0
		.amdhsa_exception_fp_denorm_src 0
		.amdhsa_exception_fp_ieee_div_zero 0
		.amdhsa_exception_fp_ieee_overflow 0
		.amdhsa_exception_fp_ieee_underflow 0
		.amdhsa_exception_fp_ieee_inexact 0
		.amdhsa_exception_int_div_zero 0
	.end_amdhsa_kernel
	.section	.text._ZN9rocsparseL26csrgemm_fill_block_per_rowILj1024ELj64ELj8192ELj137ELj32Ell21rocsparse_complex_numIfEEEvT5_PKS3_S5_NS_24const_host_device_scalarIT6_EEPKT4_S5_PKS7_SB_S5_SD_S8_SB_S5_SD_SB_PS3_PS7_21rocsparse_index_base_SG_SG_SG_bbb,"axG",@progbits,_ZN9rocsparseL26csrgemm_fill_block_per_rowILj1024ELj64ELj8192ELj137ELj32Ell21rocsparse_complex_numIfEEEvT5_PKS3_S5_NS_24const_host_device_scalarIT6_EEPKT4_S5_PKS7_SB_S5_SD_S8_SB_S5_SD_SB_PS3_PS7_21rocsparse_index_base_SG_SG_SG_bbb,comdat
.Lfunc_end145:
	.size	_ZN9rocsparseL26csrgemm_fill_block_per_rowILj1024ELj64ELj8192ELj137ELj32Ell21rocsparse_complex_numIfEEEvT5_PKS3_S5_NS_24const_host_device_scalarIT6_EEPKT4_S5_PKS7_SB_S5_SD_S8_SB_S5_SD_SB_PS3_PS7_21rocsparse_index_base_SG_SG_SG_bbb, .Lfunc_end145-_ZN9rocsparseL26csrgemm_fill_block_per_rowILj1024ELj64ELj8192ELj137ELj32Ell21rocsparse_complex_numIfEEEvT5_PKS3_S5_NS_24const_host_device_scalarIT6_EEPKT4_S5_PKS7_SB_S5_SD_S8_SB_S5_SD_SB_PS3_PS7_21rocsparse_index_base_SG_SG_SG_bbb
                                        ; -- End function
	.section	.AMDGPU.csdata,"",@progbits
; Kernel info:
; codeLenInByte = 5056
; NumSgprs: 100
; NumVgprs: 27
; NumAgprs: 0
; TotalNumVgprs: 27
; ScratchSize: 0
; MemoryBound: 0
; FloatMode: 240
; IeeeMode: 1
; LDSByteSize: 0 bytes/workgroup (compile time only)
; SGPRBlocks: 12
; VGPRBlocks: 3
; NumSGPRsForWavesPerEU: 100
; NumVGPRsForWavesPerEU: 27
; AccumOffset: 28
; Occupancy: 8
; WaveLimiterHint : 1
; COMPUTE_PGM_RSRC2:SCRATCH_EN: 0
; COMPUTE_PGM_RSRC2:USER_SGPR: 6
; COMPUTE_PGM_RSRC2:TRAP_HANDLER: 0
; COMPUTE_PGM_RSRC2:TGID_X_EN: 1
; COMPUTE_PGM_RSRC2:TGID_Y_EN: 0
; COMPUTE_PGM_RSRC2:TGID_Z_EN: 0
; COMPUTE_PGM_RSRC2:TIDIG_COMP_CNT: 0
; COMPUTE_PGM_RSRC3_GFX90A:ACCUM_OFFSET: 6
; COMPUTE_PGM_RSRC3_GFX90A:TG_SPLIT: 0
	.section	.text._ZN9rocsparseL26csrgemm_fill_block_per_rowILj1024ELj64ELj8192ELj137ELj64Ell21rocsparse_complex_numIfEEEvT5_PKS3_S5_NS_24const_host_device_scalarIT6_EEPKT4_S5_PKS7_SB_S5_SD_S8_SB_S5_SD_SB_PS3_PS7_21rocsparse_index_base_SG_SG_SG_bbb,"axG",@progbits,_ZN9rocsparseL26csrgemm_fill_block_per_rowILj1024ELj64ELj8192ELj137ELj64Ell21rocsparse_complex_numIfEEEvT5_PKS3_S5_NS_24const_host_device_scalarIT6_EEPKT4_S5_PKS7_SB_S5_SD_S8_SB_S5_SD_SB_PS3_PS7_21rocsparse_index_base_SG_SG_SG_bbb,comdat
	.globl	_ZN9rocsparseL26csrgemm_fill_block_per_rowILj1024ELj64ELj8192ELj137ELj64Ell21rocsparse_complex_numIfEEEvT5_PKS3_S5_NS_24const_host_device_scalarIT6_EEPKT4_S5_PKS7_SB_S5_SD_S8_SB_S5_SD_SB_PS3_PS7_21rocsparse_index_base_SG_SG_SG_bbb ; -- Begin function _ZN9rocsparseL26csrgemm_fill_block_per_rowILj1024ELj64ELj8192ELj137ELj64Ell21rocsparse_complex_numIfEEEvT5_PKS3_S5_NS_24const_host_device_scalarIT6_EEPKT4_S5_PKS7_SB_S5_SD_S8_SB_S5_SD_SB_PS3_PS7_21rocsparse_index_base_SG_SG_SG_bbb
	.p2align	8
	.type	_ZN9rocsparseL26csrgemm_fill_block_per_rowILj1024ELj64ELj8192ELj137ELj64Ell21rocsparse_complex_numIfEEEvT5_PKS3_S5_NS_24const_host_device_scalarIT6_EEPKT4_S5_PKS7_SB_S5_SD_S8_SB_S5_SD_SB_PS3_PS7_21rocsparse_index_base_SG_SG_SG_bbb,@function
_ZN9rocsparseL26csrgemm_fill_block_per_rowILj1024ELj64ELj8192ELj137ELj64Ell21rocsparse_complex_numIfEEEvT5_PKS3_S5_NS_24const_host_device_scalarIT6_EEPKT4_S5_PKS7_SB_S5_SD_S8_SB_S5_SD_SB_PS3_PS7_21rocsparse_index_base_SG_SG_SG_bbb: ; @_ZN9rocsparseL26csrgemm_fill_block_per_rowILj1024ELj64ELj8192ELj137ELj64Ell21rocsparse_complex_numIfEEEvT5_PKS3_S5_NS_24const_host_device_scalarIT6_EEPKT4_S5_PKS7_SB_S5_SD_S8_SB_S5_SD_SB_PS3_PS7_21rocsparse_index_base_SG_SG_SG_bbb
; %bb.0:
	s_load_dwordx8 s[36:43], s[4:5], 0x60
	s_load_dwordx8 s[8:15], s[4:5], 0x40
	s_load_dword s7, s[4:5], 0x98
	s_load_dwordx4 s[24:27], s[4:5], 0x8
	s_load_dwordx8 s[16:23], s[4:5], 0x20
	s_load_dwordx2 s[34:35], s[4:5], 0x80
	s_load_dwordx4 s[44:47], s[4:5], 0x88
	s_waitcnt lgkmcnt(0)
	s_bitcmp1_b32 s7, 0
	s_cselect_b64 s[30:31], -1, 0
	s_bitcmp1_b32 s7, 16
	s_cselect_b64 s[0:1], -1, 0
	s_xor_b64 s[0:1], s[0:1], -1
	v_cndmask_b32_e64 v1, 0, 1, s[0:1]
	s_mov_b32 s3, 0
	s_bitcmp0_b32 s7, 0
	v_cmp_ne_u32_e64 s[0:1], 1, v1
	s_mov_b32 s57, 0
	s_cbranch_scc1 .LBB146_5
; %bb.1:
	s_load_dwordx2 s[2:3], s[4:5], 0x18
	s_and_b64 vcc, exec, s[0:1]
	s_waitcnt lgkmcnt(0)
	s_mov_b32 s57, s2
	s_cbranch_vccnz .LBB146_3
; %bb.2:
	s_load_dword s57, s[2:3], 0x0
.LBB146_3:
	s_and_b64 vcc, exec, s[0:1]
	s_cbranch_vccnz .LBB146_5
; %bb.4:
	s_load_dword s3, s[2:3], 0x4
.LBB146_5:
	s_bitcmp1_b32 s7, 8
	s_cselect_b64 s[28:29], -1, 0
	s_bfe_u32 s2, s7, 0x10008
	s_mov_b32 s56, 0
	s_cmp_eq_u32 s2, 0
	s_mov_b32 s33, 0
	s_cbranch_scc1 .LBB146_11
; %bb.6:
	s_and_b64 vcc, exec, s[0:1]
	s_mov_b32 s33, s12
	s_cbranch_vccnz .LBB146_8
; %bb.7:
	s_load_dword s33, s[12:13], 0x0
.LBB146_8:
	s_and_b64 vcc, exec, s[0:1]
	s_cbranch_vccnz .LBB146_10
; %bb.9:
	s_load_dword s13, s[12:13], 0x4
.LBB146_10:
	s_waitcnt lgkmcnt(0)
	s_mov_b32 s56, s13
.LBB146_11:
	s_load_dwordx2 s[48:49], s[4:5], 0x0
	v_lshl_add_u32 v1, v0, 3, 0
	v_add_u32_e32 v7, 0x10000, v1
	v_mov_b32_e32 v6, 0
	ds_write2_b32 v7, v6, v6 offset1:1
	s_waitcnt lgkmcnt(0)
	v_pk_mov_b32 v[2:3], s[48:49], s[48:49] op_sel:[0,1]
	v_pk_mov_b32 v[4:5], s[48:49], s[48:49] op_sel:[0,1]
	ds_write2st64_b64 v1, v[2:3], v[4:5] offset1:16
	v_add_u32_e32 v2, 0x2000, v7
	v_add_u32_e32 v4, 0x4000, v7
	ds_write2_b32 v2, v6, v6 offset1:1
	v_pk_mov_b32 v[2:3], s[48:49], s[48:49] op_sel:[0,1]
	ds_write2_b32 v4, v6, v6 offset1:1
	v_pk_mov_b32 v[4:5], s[48:49], s[48:49] op_sel:[0,1]
	ds_write2st64_b64 v1, v[2:3], v[4:5] offset0:32 offset1:48
	v_add_u32_e32 v2, 0x6000, v7
	v_add_u32_e32 v4, 0x8000, v7
	ds_write2_b32 v2, v6, v6 offset1:1
	v_pk_mov_b32 v[2:3], s[48:49], s[48:49] op_sel:[0,1]
	ds_write2_b32 v4, v6, v6 offset1:1
	v_pk_mov_b32 v[4:5], s[48:49], s[48:49] op_sel:[0,1]
	ds_write2st64_b64 v1, v[2:3], v[4:5] offset0:64 offset1:80
	;; [unrolled: 7-line block ×3, first 2 shown]
	v_add_u32_e32 v2, 0xe000, v7
	ds_write2_b32 v2, v6, v6 offset1:1
	s_waitcnt lgkmcnt(0)
	s_barrier
	s_load_dwordx2 s[0:1], s[24:25], 0x0
	s_mov_b32 s7, 0
	v_lshrrev_b32_e32 v11, 6, v0
	s_waitcnt lgkmcnt(0)
	s_lshl_b64 s[0:1], s[0:1], 3
	s_add_u32 s2, s26, s0
	s_addc_u32 s4, s27, s1
	s_lshl_b64 s[0:1], s[6:7], 3
	s_add_u32 s0, s2, s0
	s_addc_u32 s1, s4, s1
	s_load_dwordx2 s[50:51], s[0:1], 0x0
	s_andn2_b64 vcc, exec, s[30:31]
	s_cbranch_vccnz .LBB146_31
; %bb.12:
	s_waitcnt lgkmcnt(0)
	s_lshl_b64 s[0:1], s[50:51], 3
	s_add_u32 s0, s16, s0
	s_addc_u32 s1, s17, s1
	s_load_dwordx4 s[24:27], s[0:1], 0x0
	v_subrev_co_u32_e32 v2, vcc, s44, v11
	v_subb_co_u32_e64 v3, s[4:5], 0, 0, vcc
	s_waitcnt lgkmcnt(0)
	s_sub_u32 s0, s26, s44
	v_mov_b32_e32 v4, s25
	v_add_co_u32_e32 v2, vcc, s24, v2
	s_subb_u32 s1, s27, 0
	v_addc_co_u32_e32 v3, vcc, v4, v3, vcc
	v_cmp_gt_i64_e32 vcc, s[0:1], v[2:3]
	s_and_saveexec_b64 s[4:5], vcc
	s_cbranch_execz .LBB146_30
; %bb.13:
	v_and_b32_e32 v4, 63, v0
	v_subrev_co_u32_e32 v14, vcc, s45, v4
	s_mov_b32 s6, 0
	v_subb_co_u32_e64 v15, s[12:13], 0, 0, vcc
	s_mov_b32 s2, s44
	s_mov_b32 s58, s45
	s_mov_b64 s[12:13], 0
	v_mov_b32_e32 v16, s19
	v_mov_b32_e32 v17, s7
	;; [unrolled: 1-line block ×4, first 2 shown]
	s_movk_i32 s19, 0x89
	s_branch .LBB146_15
.LBB146_14:                             ;   in Loop: Header=BB146_15 Depth=1
	s_or_b64 exec, exec, s[6:7]
	v_add_co_u32_e32 v2, vcc, 16, v2
	v_addc_co_u32_e32 v3, vcc, 0, v3, vcc
	v_cmp_le_i64_e32 vcc, s[0:1], v[2:3]
	s_or_b64 s[12:13], vcc, s[12:13]
	s_andn2_b64 exec, exec, s[12:13]
	s_cbranch_execz .LBB146_30
.LBB146_15:                             ; =>This Loop Header: Depth=1
                                        ;     Child Loop BB146_18 Depth 2
                                        ;       Child Loop BB146_20 Depth 3
	v_lshlrev_b64 v[8:9], 3, v[2:3]
	v_add_co_u32_e32 v4, vcc, s18, v8
	v_addc_co_u32_e32 v5, vcc, v16, v9, vcc
	global_load_dwordx2 v[4:5], v[4:5], off
	s_waitcnt vmcnt(0)
	v_subrev_co_u32_e32 v4, vcc, s2, v4
	v_subb_co_u32_e32 v5, vcc, v5, v17, vcc
	v_lshlrev_b64 v[4:5], 3, v[4:5]
	v_add_co_u32_e32 v4, vcc, s22, v4
	v_addc_co_u32_e32 v5, vcc, v18, v5, vcc
	global_load_dwordx4 v[20:23], v[4:5], off
	s_waitcnt vmcnt(0)
	v_subrev_co_u32_e32 v4, vcc, s58, v22
	v_subb_co_u32_e32 v5, vcc, v23, v19, vcc
	v_add_co_u32_e32 v6, vcc, v20, v14
	v_addc_co_u32_e32 v7, vcc, v21, v15, vcc
	v_cmp_lt_i64_e32 vcc, v[6:7], v[4:5]
	s_and_saveexec_b64 s[6:7], vcc
	s_cbranch_execz .LBB146_14
; %bb.16:                               ;   in Loop: Header=BB146_15 Depth=1
	v_mov_b32_e32 v10, s21
	v_add_co_u32_e32 v8, vcc, s20, v8
	v_addc_co_u32_e32 v9, vcc, v10, v9, vcc
	global_load_dwordx2 v[8:9], v[8:9], off
	s_mov_b64 s[16:17], 0
	s_waitcnt vmcnt(0)
	v_mul_f32_e64 v20, v9, -s3
	v_mul_f32_e32 v21, s57, v9
	v_fmac_f32_e32 v20, s57, v8
	v_fmac_f32_e32 v21, s3, v8
	s_branch .LBB146_18
.LBB146_17:                             ;   in Loop: Header=BB146_18 Depth=2
	s_or_b64 exec, exec, s[24:25]
	v_add_co_u32_e32 v6, vcc, 64, v6
	v_addc_co_u32_e32 v7, vcc, 0, v7, vcc
	v_cmp_ge_i64_e32 vcc, v[6:7], v[4:5]
	s_or_b64 s[16:17], vcc, s[16:17]
	s_andn2_b64 exec, exec, s[16:17]
	s_cbranch_execz .LBB146_14
.LBB146_18:                             ;   Parent Loop BB146_15 Depth=1
                                        ; =>  This Loop Header: Depth=2
                                        ;       Child Loop BB146_20 Depth 3
	v_lshlrev_b64 v[8:9], 3, v[6:7]
	v_mov_b32_e32 v10, s9
	v_add_co_u32_e32 v12, vcc, s8, v8
	v_addc_co_u32_e32 v13, vcc, v10, v9, vcc
	v_mov_b32_e32 v10, s11
	v_add_co_u32_e32 v8, vcc, s10, v8
	global_load_dwordx2 v[12:13], v[12:13], off
	v_addc_co_u32_e32 v9, vcc, v10, v9, vcc
	global_load_dwordx2 v[24:25], v[8:9], off
	s_mov_b64 s[24:25], 0
	s_waitcnt vmcnt(1)
	v_subrev_co_u32_e32 v8, vcc, s58, v12
	v_mul_lo_u32 v10, v8, s19
	s_waitcnt vmcnt(0)
	v_mul_f32_e64 v22, v25, -v21
	v_mul_f32_e32 v23, v20, v25
	v_subb_co_u32_e32 v9, vcc, v13, v19, vcc
	v_fmac_f32_e32 v22, v20, v24
	v_fmac_f32_e32 v23, v21, v24
	v_and_b32_e32 v10, 0x1fff, v10
	s_branch .LBB146_20
.LBB146_19:                             ;   in Loop: Header=BB146_20 Depth=3
	s_or_b64 exec, exec, s[26:27]
	s_xor_b64 s[26:27], s[30:31], -1
	s_and_b64 s[26:27], exec, s[26:27]
	s_or_b64 s[24:25], s[26:27], s[24:25]
	s_andn2_b64 exec, exec, s[24:25]
	s_cbranch_execz .LBB146_17
.LBB146_20:                             ;   Parent Loop BB146_15 Depth=1
                                        ;     Parent Loop BB146_18 Depth=2
                                        ; =>    This Inner Loop Header: Depth=3
	v_lshl_add_u32 v24, v10, 3, 0
	ds_read_b64 v[12:13], v24
                                        ; implicit-def: $sgpr30_sgpr31
	s_waitcnt lgkmcnt(0)
	v_cmp_ne_u64_e32 vcc, v[12:13], v[8:9]
	s_and_saveexec_b64 s[26:27], vcc
	s_xor_b64 s[26:27], exec, s[26:27]
	s_cbranch_execz .LBB146_28
; %bb.21:                               ;   in Loop: Header=BB146_20 Depth=3
	v_cmp_ne_u64_e32 vcc, s[48:49], v[12:13]
                                        ; implicit-def: $sgpr30_sgpr31
	s_and_saveexec_b64 s[44:45], vcc
	s_xor_b64 s[44:45], exec, s[44:45]
; %bb.22:                               ;   in Loop: Header=BB146_20 Depth=3
	v_add_u32_e32 v10, 1, v10
	v_and_b32_e32 v10, 0x1fff, v10
	s_mov_b64 s[30:31], -1
                                        ; implicit-def: $vgpr24
; %bb.23:                               ;   in Loop: Header=BB146_20 Depth=3
	s_andn2_saveexec_b64 s[44:45], s[44:45]
	s_cbranch_execz .LBB146_27
; %bb.24:                               ;   in Loop: Header=BB146_20 Depth=3
	v_pk_mov_b32 v[12:13], s[48:49], s[48:49] op_sel:[0,1]
	ds_cmpst_rtn_b64 v[12:13], v24, v[12:13], v[8:9]
	s_mov_b64 s[52:53], -1
	s_waitcnt lgkmcnt(0)
	v_cmp_eq_u64_e32 vcc, s[48:49], v[12:13]
	s_and_saveexec_b64 s[54:55], vcc
	s_cbranch_execz .LBB146_26
; %bb.25:                               ;   in Loop: Header=BB146_20 Depth=3
	v_add_u32_e32 v12, 0x10000, v24
	ds_add_f32 v12, v22
	ds_add_f32 v12, v23 offset:4
	s_xor_b64 s[52:53], exec, -1
.LBB146_26:                             ;   in Loop: Header=BB146_20 Depth=3
	s_or_b64 exec, exec, s[54:55]
	s_andn2_b64 s[30:31], s[30:31], exec
	s_and_b64 s[52:53], s[52:53], exec
	s_or_b64 s[30:31], s[30:31], s[52:53]
.LBB146_27:                             ;   in Loop: Header=BB146_20 Depth=3
	s_or_b64 exec, exec, s[44:45]
	s_and_b64 s[30:31], s[30:31], exec
                                        ; implicit-def: $vgpr24
.LBB146_28:                             ;   in Loop: Header=BB146_20 Depth=3
	s_andn2_saveexec_b64 s[26:27], s[26:27]
	s_cbranch_execz .LBB146_19
; %bb.29:                               ;   in Loop: Header=BB146_20 Depth=3
	v_add_u32_e32 v12, 0x10000, v24
	ds_add_f32 v12, v22
	ds_add_f32 v12, v23 offset:4
	s_andn2_b64 s[30:31], s[30:31], exec
	s_branch .LBB146_19
.LBB146_30:
	s_or_b64 exec, exec, s[4:5]
.LBB146_31:
	s_andn2_b64 vcc, exec, s[28:29]
	s_cbranch_vccnz .LBB146_48
; %bb.32:
	s_waitcnt lgkmcnt(0)
	s_lshl_b64 s[0:1], s[50:51], 3
	s_add_u32 s0, s14, s0
	s_addc_u32 s1, s15, s1
	s_load_dwordx4 s[8:11], s[0:1], 0x0
	v_subrev_co_u32_e32 v2, vcc, s47, v0
	v_subb_co_u32_e64 v3, s[2:3], 0, 0, vcc
	s_waitcnt lgkmcnt(0)
	s_sub_u32 s0, s10, s47
	v_mov_b32_e32 v4, s9
	v_add_co_u32_e32 v2, vcc, s8, v2
	s_subb_u32 s1, s11, 0
	v_addc_co_u32_e32 v3, vcc, v4, v3, vcc
	s_mov_b32 s6, 0
	v_cmp_gt_i64_e32 vcc, s[0:1], v[2:3]
	s_and_saveexec_b64 s[2:3], vcc
	s_cbranch_execz .LBB146_47
; %bb.33:
	s_mov_b32 s18, s47
	s_mov_b64 s[4:5], 0
	v_mov_b32_e32 v7, s37
	v_mov_b32_e32 v10, s6
	;; [unrolled: 1-line block ×3, first 2 shown]
	s_movk_i32 s19, 0x89
	s_branch .LBB146_35
.LBB146_34:                             ;   in Loop: Header=BB146_35 Depth=1
	s_or_b64 exec, exec, s[6:7]
	v_add_co_u32_e32 v2, vcc, 0x400, v2
	v_addc_co_u32_e32 v3, vcc, 0, v3, vcc
	v_cmp_le_i64_e32 vcc, s[0:1], v[2:3]
	s_or_b64 s[4:5], vcc, s[4:5]
	s_andn2_b64 exec, exec, s[4:5]
	s_cbranch_execz .LBB146_47
.LBB146_35:                             ; =>This Loop Header: Depth=1
                                        ;     Child Loop BB146_37 Depth 2
	v_lshlrev_b64 v[4:5], 3, v[2:3]
	v_add_co_u32_e32 v8, vcc, s36, v4
	v_addc_co_u32_e32 v9, vcc, v7, v5, vcc
	v_add_co_u32_e32 v4, vcc, s38, v4
	global_load_dwordx2 v[8:9], v[8:9], off
	v_addc_co_u32_e32 v5, vcc, v12, v5, vcc
	global_load_dwordx2 v[16:17], v[4:5], off
	s_mov_b64 s[6:7], 0
	s_waitcnt vmcnt(1)
	v_subrev_co_u32_e32 v4, vcc, s18, v8
	v_mul_lo_u32 v6, v4, s19
	s_waitcnt vmcnt(0)
	v_mul_f32_e64 v13, v17, -s56
	v_mul_f32_e32 v14, s33, v17
	v_subb_co_u32_e32 v5, vcc, v9, v10, vcc
	v_fmac_f32_e32 v13, s33, v16
	v_fmac_f32_e32 v14, s56, v16
	v_and_b32_e32 v6, 0x1fff, v6
	s_branch .LBB146_37
.LBB146_36:                             ;   in Loop: Header=BB146_37 Depth=2
	s_or_b64 exec, exec, s[8:9]
	s_xor_b64 s[8:9], s[10:11], -1
	s_and_b64 s[8:9], exec, s[8:9]
	s_or_b64 s[6:7], s[8:9], s[6:7]
	s_andn2_b64 exec, exec, s[6:7]
	s_cbranch_execz .LBB146_34
.LBB146_37:                             ;   Parent Loop BB146_35 Depth=1
                                        ; =>  This Inner Loop Header: Depth=2
	v_lshl_add_u32 v15, v6, 3, 0
	ds_read_b64 v[8:9], v15
                                        ; implicit-def: $sgpr10_sgpr11
	s_waitcnt lgkmcnt(0)
	v_cmp_ne_u64_e32 vcc, v[8:9], v[4:5]
	s_and_saveexec_b64 s[8:9], vcc
	s_xor_b64 s[8:9], exec, s[8:9]
	s_cbranch_execz .LBB146_45
; %bb.38:                               ;   in Loop: Header=BB146_37 Depth=2
	v_cmp_ne_u64_e32 vcc, s[48:49], v[8:9]
                                        ; implicit-def: $sgpr10_sgpr11
	s_and_saveexec_b64 s[12:13], vcc
	s_xor_b64 s[12:13], exec, s[12:13]
; %bb.39:                               ;   in Loop: Header=BB146_37 Depth=2
	v_add_u32_e32 v6, 1, v6
	v_and_b32_e32 v6, 0x1fff, v6
	s_mov_b64 s[10:11], -1
                                        ; implicit-def: $vgpr15
; %bb.40:                               ;   in Loop: Header=BB146_37 Depth=2
	s_andn2_saveexec_b64 s[12:13], s[12:13]
	s_cbranch_execz .LBB146_44
; %bb.41:                               ;   in Loop: Header=BB146_37 Depth=2
	v_pk_mov_b32 v[8:9], s[48:49], s[48:49] op_sel:[0,1]
	ds_cmpst_rtn_b64 v[8:9], v15, v[8:9], v[4:5]
	s_mov_b64 s[14:15], -1
	s_waitcnt lgkmcnt(0)
	v_cmp_eq_u64_e32 vcc, s[48:49], v[8:9]
	s_and_saveexec_b64 s[16:17], vcc
	s_cbranch_execz .LBB146_43
; %bb.42:                               ;   in Loop: Header=BB146_37 Depth=2
	v_add_u32_e32 v8, 0x10000, v15
	ds_add_f32 v8, v13
	ds_add_f32 v8, v14 offset:4
	s_xor_b64 s[14:15], exec, -1
.LBB146_43:                             ;   in Loop: Header=BB146_37 Depth=2
	s_or_b64 exec, exec, s[16:17]
	s_andn2_b64 s[10:11], s[10:11], exec
	s_and_b64 s[14:15], s[14:15], exec
	s_or_b64 s[10:11], s[10:11], s[14:15]
.LBB146_44:                             ;   in Loop: Header=BB146_37 Depth=2
	s_or_b64 exec, exec, s[12:13]
	s_and_b64 s[10:11], s[10:11], exec
                                        ; implicit-def: $vgpr15
.LBB146_45:                             ;   in Loop: Header=BB146_37 Depth=2
	s_andn2_saveexec_b64 s[8:9], s[8:9]
	s_cbranch_execz .LBB146_36
; %bb.46:                               ;   in Loop: Header=BB146_37 Depth=2
	v_add_u32_e32 v8, 0x10000, v15
	ds_add_f32 v8, v13
	ds_add_f32 v8, v14 offset:4
	s_andn2_b64 s[10:11], s[10:11], exec
	s_branch .LBB146_36
.LBB146_47:
	s_or_b64 exec, exec, s[2:3]
.LBB146_48:
	v_mbcnt_lo_u32_b32 v2, -1, 0
	v_mbcnt_hi_u32_b32 v2, -1, v2
	v_sub_u32_e32 v2, 63, v2
	s_add_i32 s33, 0, 0x20000
	s_movk_i32 s0, 0x3ff
	s_movk_i32 s2, 0x7f
	;; [unrolled: 1-line block ×15, first 2 shown]
	s_add_i32 s63, 0, 0x20078
	v_mov_b32_e32 v3, 0
	v_lshrrev_b64 v[4:5], v2, -1
	v_lshl_add_u32 v14, v11, 3, s33
	v_cmp_eq_u32_e32 vcc, s0, v0
	v_cmp_lt_u32_e64 s[0:1], 63, v0
	v_cmp_lt_u32_e64 s[2:3], s2, v0
	;; [unrolled: 1-line block ×15, first 2 shown]
	v_or_b32_e32 v15, 0xfffffc00, v0
	s_mov_b64 s[36:37], 0
	v_pk_mov_b32 v[6:7], 0, 0
	s_add_i32 s44, 0, 0x20008
	s_add_i32 s45, 0, 0x20010
	;; [unrolled: 1-line block ×14, first 2 shown]
	v_mov_b32_e32 v16, s63
	s_movk_i32 s64, 0x1bff
	s_waitcnt lgkmcnt(0)
	s_barrier
	s_branch .LBB146_50
.LBB146_49:                             ;   in Loop: Header=BB146_50 Depth=1
	s_or_b64 exec, exec, s[30:31]
	s_waitcnt lgkmcnt(0)
	s_barrier
	ds_read_b64 v[8:9], v16
	v_add_u32_e32 v15, 0x400, v15
	v_add_u32_e32 v1, 0x2000, v1
	s_waitcnt lgkmcnt(0)
	v_add_co_u32_e64 v6, s[30:31], v8, v6
	v_addc_co_u32_e64 v7, s[30:31], v9, v7, s[30:31]
	v_cmp_lt_u32_e64 s[30:31], s64, v15
	s_or_b64 s[36:37], s[30:31], s[36:37]
	s_andn2_b64 exec, exec, s[36:37]
	s_cbranch_execz .LBB146_84
.LBB146_50:                             ; =>This Inner Loop Header: Depth=1
	ds_read_b64 v[8:9], v1
	v_add_u32_e32 v2, 0x10000, v1
	ds_read2_b32 v[10:11], v2 offset1:1
	s_waitcnt lgkmcnt(0)
	s_barrier
	v_cmp_gt_i64_e64 s[30:31], s[48:49], v[8:9]
	v_and_b32_e32 v13, s30, v4
	s_bcnt1_i32_b64 s38, s[30:31]
	v_and_b32_e32 v12, s31, v5
	v_bcnt_u32_b32 v13, v13, 0
	v_mov_b32_e32 v2, s38
	v_bcnt_u32_b32 v12, v12, v13
	ds_write_b64 v14, v[2:3]
	s_waitcnt lgkmcnt(0)
	s_barrier
	s_and_saveexec_b64 s[38:39], s[0:1]
	s_cbranch_execnz .LBB146_67
; %bb.51:                               ;   in Loop: Header=BB146_50 Depth=1
	s_or_b64 exec, exec, s[38:39]
	s_and_saveexec_b64 s[38:39], s[2:3]
	s_cbranch_execnz .LBB146_68
.LBB146_52:                             ;   in Loop: Header=BB146_50 Depth=1
	s_or_b64 exec, exec, s[38:39]
	s_and_saveexec_b64 s[38:39], s[4:5]
	s_cbranch_execnz .LBB146_69
.LBB146_53:                             ;   in Loop: Header=BB146_50 Depth=1
	s_or_b64 exec, exec, s[38:39]
	s_and_saveexec_b64 s[38:39], s[6:7]
	s_cbranch_execnz .LBB146_70
.LBB146_54:                             ;   in Loop: Header=BB146_50 Depth=1
	s_or_b64 exec, exec, s[38:39]
	s_and_saveexec_b64 s[38:39], s[8:9]
	s_cbranch_execnz .LBB146_71
.LBB146_55:                             ;   in Loop: Header=BB146_50 Depth=1
	s_or_b64 exec, exec, s[38:39]
	s_and_saveexec_b64 s[38:39], s[10:11]
	s_cbranch_execnz .LBB146_72
.LBB146_56:                             ;   in Loop: Header=BB146_50 Depth=1
	s_or_b64 exec, exec, s[38:39]
	s_and_saveexec_b64 s[38:39], s[12:13]
	s_cbranch_execnz .LBB146_73
.LBB146_57:                             ;   in Loop: Header=BB146_50 Depth=1
	s_or_b64 exec, exec, s[38:39]
	s_and_saveexec_b64 s[38:39], s[14:15]
	s_cbranch_execnz .LBB146_74
.LBB146_58:                             ;   in Loop: Header=BB146_50 Depth=1
	s_or_b64 exec, exec, s[38:39]
	s_and_saveexec_b64 s[38:39], s[16:17]
	s_cbranch_execnz .LBB146_75
.LBB146_59:                             ;   in Loop: Header=BB146_50 Depth=1
	s_or_b64 exec, exec, s[38:39]
	s_and_saveexec_b64 s[38:39], s[18:19]
	s_cbranch_execnz .LBB146_76
.LBB146_60:                             ;   in Loop: Header=BB146_50 Depth=1
	s_or_b64 exec, exec, s[38:39]
	s_and_saveexec_b64 s[38:39], s[20:21]
	s_cbranch_execnz .LBB146_77
.LBB146_61:                             ;   in Loop: Header=BB146_50 Depth=1
	s_or_b64 exec, exec, s[38:39]
	s_and_saveexec_b64 s[38:39], s[22:23]
	s_cbranch_execnz .LBB146_78
.LBB146_62:                             ;   in Loop: Header=BB146_50 Depth=1
	s_or_b64 exec, exec, s[38:39]
	s_and_saveexec_b64 s[38:39], s[24:25]
	s_cbranch_execnz .LBB146_79
.LBB146_63:                             ;   in Loop: Header=BB146_50 Depth=1
	s_or_b64 exec, exec, s[38:39]
	s_and_saveexec_b64 s[38:39], s[26:27]
	s_cbranch_execnz .LBB146_80
.LBB146_64:                             ;   in Loop: Header=BB146_50 Depth=1
	s_or_b64 exec, exec, s[38:39]
	s_and_saveexec_b64 s[38:39], s[28:29]
	s_cbranch_execnz .LBB146_81
.LBB146_65:                             ;   in Loop: Header=BB146_50 Depth=1
	s_or_b64 exec, exec, s[38:39]
	v_ashrrev_i32_e32 v13, 31, v12
	s_and_saveexec_b64 s[38:39], s[30:31]
	s_cbranch_execnz .LBB146_82
.LBB146_66:                             ;   in Loop: Header=BB146_50 Depth=1
	s_or_b64 exec, exec, s[38:39]
	s_and_saveexec_b64 s[30:31], vcc
	s_cbranch_execz .LBB146_49
	s_branch .LBB146_83
.LBB146_67:                             ;   in Loop: Header=BB146_50 Depth=1
	v_mov_b32_e32 v2, s33
	ds_read_b32 v2, v2
	s_waitcnt lgkmcnt(0)
	v_add_u32_e32 v12, v2, v12
	s_or_b64 exec, exec, s[38:39]
	s_and_saveexec_b64 s[38:39], s[2:3]
	s_cbranch_execz .LBB146_52
.LBB146_68:                             ;   in Loop: Header=BB146_50 Depth=1
	v_mov_b32_e32 v2, s44
	ds_read_b32 v2, v2
	s_waitcnt lgkmcnt(0)
	v_add_u32_e32 v12, v12, v2
	s_or_b64 exec, exec, s[38:39]
	s_and_saveexec_b64 s[38:39], s[4:5]
	s_cbranch_execz .LBB146_53
.LBB146_69:                             ;   in Loop: Header=BB146_50 Depth=1
	v_mov_b32_e32 v2, s45
	ds_read_b32 v2, v2
	s_waitcnt lgkmcnt(0)
	v_add_u32_e32 v12, v12, v2
	s_or_b64 exec, exec, s[38:39]
	s_and_saveexec_b64 s[38:39], s[6:7]
	s_cbranch_execz .LBB146_54
.LBB146_70:                             ;   in Loop: Header=BB146_50 Depth=1
	v_mov_b32_e32 v2, s47
	ds_read_b32 v2, v2
	s_waitcnt lgkmcnt(0)
	v_add_u32_e32 v12, v12, v2
	s_or_b64 exec, exec, s[38:39]
	s_and_saveexec_b64 s[38:39], s[8:9]
	s_cbranch_execz .LBB146_55
.LBB146_71:                             ;   in Loop: Header=BB146_50 Depth=1
	v_mov_b32_e32 v2, s52
	ds_read_b32 v2, v2
	s_waitcnt lgkmcnt(0)
	v_add_u32_e32 v12, v12, v2
	s_or_b64 exec, exec, s[38:39]
	s_and_saveexec_b64 s[38:39], s[10:11]
	s_cbranch_execz .LBB146_56
.LBB146_72:                             ;   in Loop: Header=BB146_50 Depth=1
	v_mov_b32_e32 v2, s53
	ds_read_b32 v2, v2
	s_waitcnt lgkmcnt(0)
	v_add_u32_e32 v12, v12, v2
	s_or_b64 exec, exec, s[38:39]
	s_and_saveexec_b64 s[38:39], s[12:13]
	s_cbranch_execz .LBB146_57
.LBB146_73:                             ;   in Loop: Header=BB146_50 Depth=1
	v_mov_b32_e32 v2, s54
	ds_read_b32 v2, v2
	s_waitcnt lgkmcnt(0)
	v_add_u32_e32 v12, v12, v2
	s_or_b64 exec, exec, s[38:39]
	s_and_saveexec_b64 s[38:39], s[14:15]
	s_cbranch_execz .LBB146_58
.LBB146_74:                             ;   in Loop: Header=BB146_50 Depth=1
	v_mov_b32_e32 v2, s55
	ds_read_b32 v2, v2
	s_waitcnt lgkmcnt(0)
	v_add_u32_e32 v12, v12, v2
	s_or_b64 exec, exec, s[38:39]
	s_and_saveexec_b64 s[38:39], s[16:17]
	s_cbranch_execz .LBB146_59
.LBB146_75:                             ;   in Loop: Header=BB146_50 Depth=1
	v_mov_b32_e32 v2, s56
	ds_read_b32 v2, v2
	s_waitcnt lgkmcnt(0)
	v_add_u32_e32 v12, v12, v2
	s_or_b64 exec, exec, s[38:39]
	s_and_saveexec_b64 s[38:39], s[18:19]
	s_cbranch_execz .LBB146_60
.LBB146_76:                             ;   in Loop: Header=BB146_50 Depth=1
	v_mov_b32_e32 v2, s57
	ds_read_b32 v2, v2
	s_waitcnt lgkmcnt(0)
	v_add_u32_e32 v12, v12, v2
	s_or_b64 exec, exec, s[38:39]
	s_and_saveexec_b64 s[38:39], s[20:21]
	s_cbranch_execz .LBB146_61
.LBB146_77:                             ;   in Loop: Header=BB146_50 Depth=1
	v_mov_b32_e32 v2, s58
	ds_read_b32 v2, v2
	s_waitcnt lgkmcnt(0)
	v_add_u32_e32 v12, v12, v2
	s_or_b64 exec, exec, s[38:39]
	s_and_saveexec_b64 s[38:39], s[22:23]
	s_cbranch_execz .LBB146_62
.LBB146_78:                             ;   in Loop: Header=BB146_50 Depth=1
	v_mov_b32_e32 v2, s59
	ds_read_b32 v2, v2
	s_waitcnt lgkmcnt(0)
	v_add_u32_e32 v12, v12, v2
	s_or_b64 exec, exec, s[38:39]
	s_and_saveexec_b64 s[38:39], s[24:25]
	s_cbranch_execz .LBB146_63
.LBB146_79:                             ;   in Loop: Header=BB146_50 Depth=1
	v_mov_b32_e32 v2, s60
	ds_read_b32 v2, v2
	s_waitcnt lgkmcnt(0)
	v_add_u32_e32 v12, v12, v2
	s_or_b64 exec, exec, s[38:39]
	s_and_saveexec_b64 s[38:39], s[26:27]
	s_cbranch_execz .LBB146_64
.LBB146_80:                             ;   in Loop: Header=BB146_50 Depth=1
	v_mov_b32_e32 v2, s61
	ds_read_b32 v2, v2
	s_waitcnt lgkmcnt(0)
	v_add_u32_e32 v12, v12, v2
	s_or_b64 exec, exec, s[38:39]
	s_and_saveexec_b64 s[38:39], s[28:29]
	s_cbranch_execz .LBB146_65
.LBB146_81:                             ;   in Loop: Header=BB146_50 Depth=1
	v_mov_b32_e32 v2, s62
	ds_read_b32 v2, v2
	s_waitcnt lgkmcnt(0)
	v_add_u32_e32 v12, v12, v2
	s_or_b64 exec, exec, s[38:39]
	v_ashrrev_i32_e32 v13, 31, v12
	s_and_saveexec_b64 s[38:39], s[30:31]
	s_cbranch_execz .LBB146_66
.LBB146_82:                             ;   in Loop: Header=BB146_50 Depth=1
	v_add3_u32 v2, v6, -1, v12
	v_lshl_add_u32 v2, v2, 3, 0
	v_add_u32_e32 v17, 0x10000, v2
	ds_write_b64 v2, v[8:9]
	ds_write2_b32 v17, v10, v11 offset1:1
	s_or_b64 exec, exec, s[38:39]
	s_and_saveexec_b64 s[30:31], vcc
	s_cbranch_execz .LBB146_49
.LBB146_83:                             ;   in Loop: Header=BB146_50 Depth=1
	v_mov_b32_e32 v2, s63
	ds_write_b64 v2, v[12:13]
	s_branch .LBB146_49
.LBB146_84:
	s_or_b64 exec, exec, s[36:37]
	s_lshl_b64 s[0:1], s[50:51], 3
	s_add_u32 s0, s40, s0
	s_addc_u32 s1, s41, s1
	s_load_dwordx4 s[0:3], s[0:1], 0x0
	v_mov_b32_e32 v1, 0
	s_waitcnt lgkmcnt(0)
	s_sub_u32 s4, s2, s0
	s_subb_u32 s5, s3, s1
	v_cmp_gt_i64_e32 vcc, s[4:5], v[0:1]
	s_and_saveexec_b64 s[6:7], vcc
	s_cbranch_execz .LBB146_94
; %bb.85:
	s_sub_u32 s6, s0, s46
	s_subb_u32 s7, s1, 0
	s_and_b32 s8, s4, 7
	s_sub_u32 s0, s0, s2
	s_mov_b32 s16, 0
	s_subb_u32 s1, s1, s3
	s_mov_b32 s9, s16
	s_and_b32 s2, s4, -8
	v_cmp_lt_u64_e64 s[0:1], s[0:1], -7
	s_cmp_lg_u64 s[8:9], 0
	v_cndmask_b32_e64 v2, 0, 1, s[0:1]
	s_mov_b32 s3, s5
	s_mov_b64 s[10:11], 0
	s_cselect_b64 s[12:13], -1, 0
	v_cmp_ne_u32_e64 s[0:1], 1, v2
	s_branch .LBB146_87
.LBB146_86:                             ;   in Loop: Header=BB146_87 Depth=1
	v_mov_b32_e32 v8, s16
	s_waitcnt lgkmcnt(1)
	v_add_co_u32_e32 v4, vcc, s46, v4
	v_addc_co_u32_e32 v5, vcc, v5, v8, vcc
	v_lshlrev_b64 v[6:7], 3, v[6:7]
	v_mov_b32_e32 v9, s43
	v_add_co_u32_e32 v8, vcc, s42, v6
	v_addc_co_u32_e32 v9, vcc, v9, v7, vcc
	global_store_dwordx2 v[8:9], v[4:5], off
	v_mov_b32_e32 v5, s35
	v_add_co_u32_e32 v4, vcc, s34, v6
	v_addc_co_u32_e32 v5, vcc, v5, v7, vcc
	v_add_co_u32_e32 v0, vcc, 0x400, v0
	v_addc_co_u32_e32 v1, vcc, 0, v1, vcc
	v_cmp_le_i64_e32 vcc, s[4:5], v[0:1]
	s_or_b64 s[10:11], vcc, s[10:11]
	s_waitcnt lgkmcnt(0)
	global_store_dwordx2 v[4:5], v[2:3], off
	s_andn2_b64 exec, exec, s[10:11]
	s_cbranch_execz .LBB146_94
.LBB146_87:                             ; =>This Loop Header: Depth=1
                                        ;     Child Loop BB146_89 Depth 2
                                        ;     Child Loop BB146_93 Depth 2
	v_lshl_add_u32 v2, v0, 3, 0
	v_add_u32_e32 v3, 0x10000, v2
	ds_read_b64 v[4:5], v2
	ds_read2_b32 v[2:3], v3 offset1:1
	s_and_b64 vcc, exec, s[0:1]
	v_pk_mov_b32 v[6:7], s[6:7], s[6:7] op_sel:[0,1]
	s_mov_b64 s[14:15], 0
	s_cbranch_vccnz .LBB146_91
; %bb.88:                               ;   in Loop: Header=BB146_87 Depth=1
	s_mov_b32 s17, 0
	v_pk_mov_b32 v[6:7], s[6:7], s[6:7] op_sel:[0,1]
.LBB146_89:                             ;   Parent Loop BB146_87 Depth=1
                                        ; =>  This Inner Loop Header: Depth=2
	v_mov_b32_e32 v20, s17
	ds_read2_b64 v[8:11], v20 offset1:1
	ds_read2_b64 v[12:15], v20 offset0:2 offset1:3
	ds_read2_b64 v[16:19], v20 offset0:4 offset1:5
	;; [unrolled: 1-line block ×3, first 2 shown]
	s_add_u32 s14, s14, 8
	s_waitcnt lgkmcnt(3)
	v_cmp_gt_i64_e32 vcc, v[4:5], v[8:9]
	v_cndmask_b32_e64 v8, 0, 1, vcc
	v_cmp_gt_i64_e32 vcc, v[4:5], v[10:11]
	v_cndmask_b32_e64 v9, 0, 1, vcc
	s_waitcnt lgkmcnt(2)
	v_cmp_gt_i64_e32 vcc, v[4:5], v[12:13]
	v_cndmask_b32_e64 v10, 0, 1, vcc
	v_cmp_gt_i64_e32 vcc, v[4:5], v[14:15]
	v_cndmask_b32_e64 v11, 0, 1, vcc
	;; [unrolled: 5-line block ×4, first 2 shown]
	v_add_co_u32_e32 v6, vcc, v6, v8
	v_addc_co_u32_e32 v7, vcc, 0, v7, vcc
	v_add_co_u32_e32 v6, vcc, v6, v9
	v_addc_co_u32_e32 v7, vcc, 0, v7, vcc
	;; [unrolled: 2-line block ×7, first 2 shown]
	s_addc_u32 s15, s15, 0
	s_add_i32 s17, s17, 64
	v_add_co_u32_e32 v6, vcc, v6, v15
	s_cmp_eq_u64 s[2:3], s[14:15]
	v_addc_co_u32_e32 v7, vcc, 0, v7, vcc
	s_cbranch_scc0 .LBB146_89
; %bb.90:                               ;   in Loop: Header=BB146_87 Depth=1
	s_mov_b64 s[14:15], s[2:3]
.LBB146_91:                             ;   in Loop: Header=BB146_87 Depth=1
	s_andn2_b64 vcc, exec, s[12:13]
	s_cbranch_vccnz .LBB146_86
; %bb.92:                               ;   in Loop: Header=BB146_87 Depth=1
	s_lshl_b32 s14, s14, 3
	s_add_i32 s17, s14, 0
	s_mov_b64 s[14:15], s[8:9]
.LBB146_93:                             ;   Parent Loop BB146_87 Depth=1
                                        ; =>  This Inner Loop Header: Depth=2
	v_mov_b32_e32 v8, s17
	ds_read_b64 v[8:9], v8
	s_add_i32 s17, s17, 8
	s_add_u32 s14, s14, -1
	s_addc_u32 s15, s15, -1
	s_cmp_lg_u64 s[14:15], 0
	s_waitcnt lgkmcnt(0)
	v_cmp_gt_i64_e32 vcc, v[4:5], v[8:9]
	v_cndmask_b32_e64 v8, 0, 1, vcc
	v_add_co_u32_e32 v6, vcc, v6, v8
	v_addc_co_u32_e32 v7, vcc, 0, v7, vcc
	s_cbranch_scc1 .LBB146_93
	s_branch .LBB146_86
.LBB146_94:
	s_endpgm
	.section	.rodata,"a",@progbits
	.p2align	6, 0x0
	.amdhsa_kernel _ZN9rocsparseL26csrgemm_fill_block_per_rowILj1024ELj64ELj8192ELj137ELj64Ell21rocsparse_complex_numIfEEEvT5_PKS3_S5_NS_24const_host_device_scalarIT6_EEPKT4_S5_PKS7_SB_S5_SD_S8_SB_S5_SD_SB_PS3_PS7_21rocsparse_index_base_SG_SG_SG_bbb
		.amdhsa_group_segment_fixed_size 0
		.amdhsa_private_segment_fixed_size 0
		.amdhsa_kernarg_size 156
		.amdhsa_user_sgpr_count 6
		.amdhsa_user_sgpr_private_segment_buffer 1
		.amdhsa_user_sgpr_dispatch_ptr 0
		.amdhsa_user_sgpr_queue_ptr 0
		.amdhsa_user_sgpr_kernarg_segment_ptr 1
		.amdhsa_user_sgpr_dispatch_id 0
		.amdhsa_user_sgpr_flat_scratch_init 0
		.amdhsa_user_sgpr_kernarg_preload_length 0
		.amdhsa_user_sgpr_kernarg_preload_offset 0
		.amdhsa_user_sgpr_private_segment_size 0
		.amdhsa_uses_dynamic_stack 0
		.amdhsa_system_sgpr_private_segment_wavefront_offset 0
		.amdhsa_system_sgpr_workgroup_id_x 1
		.amdhsa_system_sgpr_workgroup_id_y 0
		.amdhsa_system_sgpr_workgroup_id_z 0
		.amdhsa_system_sgpr_workgroup_info 0
		.amdhsa_system_vgpr_workitem_id 0
		.amdhsa_next_free_vgpr 26
		.amdhsa_next_free_sgpr 65
		.amdhsa_accum_offset 28
		.amdhsa_reserve_vcc 1
		.amdhsa_reserve_flat_scratch 0
		.amdhsa_float_round_mode_32 0
		.amdhsa_float_round_mode_16_64 0
		.amdhsa_float_denorm_mode_32 3
		.amdhsa_float_denorm_mode_16_64 3
		.amdhsa_dx10_clamp 1
		.amdhsa_ieee_mode 1
		.amdhsa_fp16_overflow 0
		.amdhsa_tg_split 0
		.amdhsa_exception_fp_ieee_invalid_op 0
		.amdhsa_exception_fp_denorm_src 0
		.amdhsa_exception_fp_ieee_div_zero 0
		.amdhsa_exception_fp_ieee_overflow 0
		.amdhsa_exception_fp_ieee_underflow 0
		.amdhsa_exception_fp_ieee_inexact 0
		.amdhsa_exception_int_div_zero 0
	.end_amdhsa_kernel
	.section	.text._ZN9rocsparseL26csrgemm_fill_block_per_rowILj1024ELj64ELj8192ELj137ELj64Ell21rocsparse_complex_numIfEEEvT5_PKS3_S5_NS_24const_host_device_scalarIT6_EEPKT4_S5_PKS7_SB_S5_SD_S8_SB_S5_SD_SB_PS3_PS7_21rocsparse_index_base_SG_SG_SG_bbb,"axG",@progbits,_ZN9rocsparseL26csrgemm_fill_block_per_rowILj1024ELj64ELj8192ELj137ELj64Ell21rocsparse_complex_numIfEEEvT5_PKS3_S5_NS_24const_host_device_scalarIT6_EEPKT4_S5_PKS7_SB_S5_SD_S8_SB_S5_SD_SB_PS3_PS7_21rocsparse_index_base_SG_SG_SG_bbb,comdat
.Lfunc_end146:
	.size	_ZN9rocsparseL26csrgemm_fill_block_per_rowILj1024ELj64ELj8192ELj137ELj64Ell21rocsparse_complex_numIfEEEvT5_PKS3_S5_NS_24const_host_device_scalarIT6_EEPKT4_S5_PKS7_SB_S5_SD_S8_SB_S5_SD_SB_PS3_PS7_21rocsparse_index_base_SG_SG_SG_bbb, .Lfunc_end146-_ZN9rocsparseL26csrgemm_fill_block_per_rowILj1024ELj64ELj8192ELj137ELj64Ell21rocsparse_complex_numIfEEEvT5_PKS3_S5_NS_24const_host_device_scalarIT6_EEPKT4_S5_PKS7_SB_S5_SD_S8_SB_S5_SD_SB_PS3_PS7_21rocsparse_index_base_SG_SG_SG_bbb
                                        ; -- End function
	.section	.AMDGPU.csdata,"",@progbits
; Kernel info:
; codeLenInByte = 3612
; NumSgprs: 69
; NumVgprs: 26
; NumAgprs: 0
; TotalNumVgprs: 26
; ScratchSize: 0
; MemoryBound: 0
; FloatMode: 240
; IeeeMode: 1
; LDSByteSize: 0 bytes/workgroup (compile time only)
; SGPRBlocks: 8
; VGPRBlocks: 3
; NumSGPRsForWavesPerEU: 69
; NumVGPRsForWavesPerEU: 26
; AccumOffset: 28
; Occupancy: 8
; WaveLimiterHint : 1
; COMPUTE_PGM_RSRC2:SCRATCH_EN: 0
; COMPUTE_PGM_RSRC2:USER_SGPR: 6
; COMPUTE_PGM_RSRC2:TRAP_HANDLER: 0
; COMPUTE_PGM_RSRC2:TGID_X_EN: 1
; COMPUTE_PGM_RSRC2:TGID_Y_EN: 0
; COMPUTE_PGM_RSRC2:TGID_Z_EN: 0
; COMPUTE_PGM_RSRC2:TIDIG_COMP_CNT: 0
; COMPUTE_PGM_RSRC3_GFX90A:ACCUM_OFFSET: 6
; COMPUTE_PGM_RSRC3_GFX90A:TG_SPLIT: 0
	.section	.text._ZN9rocsparseL26csrgemm_fill_block_per_rowILj1024ELj64ELj16384ELj137ELj32Ell21rocsparse_complex_numIfEEEvT5_PKS3_S5_NS_24const_host_device_scalarIT6_EEPKT4_S5_PKS7_SB_S5_SD_S8_SB_S5_SD_SB_PS3_PS7_21rocsparse_index_base_SG_SG_SG_bbb,"axG",@progbits,_ZN9rocsparseL26csrgemm_fill_block_per_rowILj1024ELj64ELj16384ELj137ELj32Ell21rocsparse_complex_numIfEEEvT5_PKS3_S5_NS_24const_host_device_scalarIT6_EEPKT4_S5_PKS7_SB_S5_SD_S8_SB_S5_SD_SB_PS3_PS7_21rocsparse_index_base_SG_SG_SG_bbb,comdat
	.globl	_ZN9rocsparseL26csrgemm_fill_block_per_rowILj1024ELj64ELj16384ELj137ELj32Ell21rocsparse_complex_numIfEEEvT5_PKS3_S5_NS_24const_host_device_scalarIT6_EEPKT4_S5_PKS7_SB_S5_SD_S8_SB_S5_SD_SB_PS3_PS7_21rocsparse_index_base_SG_SG_SG_bbb ; -- Begin function _ZN9rocsparseL26csrgemm_fill_block_per_rowILj1024ELj64ELj16384ELj137ELj32Ell21rocsparse_complex_numIfEEEvT5_PKS3_S5_NS_24const_host_device_scalarIT6_EEPKT4_S5_PKS7_SB_S5_SD_S8_SB_S5_SD_SB_PS3_PS7_21rocsparse_index_base_SG_SG_SG_bbb
	.p2align	8
	.type	_ZN9rocsparseL26csrgemm_fill_block_per_rowILj1024ELj64ELj16384ELj137ELj32Ell21rocsparse_complex_numIfEEEvT5_PKS3_S5_NS_24const_host_device_scalarIT6_EEPKT4_S5_PKS7_SB_S5_SD_S8_SB_S5_SD_SB_PS3_PS7_21rocsparse_index_base_SG_SG_SG_bbb,@function
_ZN9rocsparseL26csrgemm_fill_block_per_rowILj1024ELj64ELj16384ELj137ELj32Ell21rocsparse_complex_numIfEEEvT5_PKS3_S5_NS_24const_host_device_scalarIT6_EEPKT4_S5_PKS7_SB_S5_SD_S8_SB_S5_SD_SB_PS3_PS7_21rocsparse_index_base_SG_SG_SG_bbb: ; @_ZN9rocsparseL26csrgemm_fill_block_per_rowILj1024ELj64ELj16384ELj137ELj32Ell21rocsparse_complex_numIfEEEvT5_PKS3_S5_NS_24const_host_device_scalarIT6_EEPKT4_S5_PKS7_SB_S5_SD_S8_SB_S5_SD_SB_PS3_PS7_21rocsparse_index_base_SG_SG_SG_bbb
; %bb.0:
	s_load_dwordx8 s[48:55], s[4:5], 0x60
	s_load_dwordx8 s[8:15], s[4:5], 0x40
	s_load_dword s7, s[4:5], 0x98
	s_load_dwordx4 s[24:27], s[4:5], 0x8
	s_load_dwordx8 s[16:23], s[4:5], 0x20
	s_load_dwordx2 s[0:1], s[4:5], 0x80
                                        ; implicit-def: $vgpr26 : SGPR spill to VGPR lane
	s_load_dwordx4 s[44:47], s[4:5], 0x88
	s_waitcnt lgkmcnt(0)
	s_bitcmp1_b32 s7, 0
	s_cselect_b64 s[30:31], -1, 0
	s_bitcmp1_b32 s7, 16
	v_writelane_b32 v26, s0, 0
	v_writelane_b32 v26, s1, 1
	s_cselect_b64 s[0:1], -1, 0
	s_xor_b64 s[0:1], s[0:1], -1
	v_cndmask_b32_e64 v1, 0, 1, s[0:1]
	s_mov_b32 s3, 0
	s_bitcmp0_b32 s7, 0
	v_cmp_ne_u32_e64 s[0:1], 1, v1
	s_mov_b32 s41, 0
	s_cbranch_scc1 .LBB147_5
; %bb.1:
	s_load_dwordx2 s[2:3], s[4:5], 0x18
	s_and_b64 vcc, exec, s[0:1]
	s_waitcnt lgkmcnt(0)
	s_mov_b32 s41, s2
	s_cbranch_vccnz .LBB147_3
; %bb.2:
	s_load_dword s41, s[2:3], 0x0
.LBB147_3:
	s_and_b64 vcc, exec, s[0:1]
	s_cbranch_vccnz .LBB147_5
; %bb.4:
	s_load_dword s3, s[2:3], 0x4
.LBB147_5:
	s_bitcmp1_b32 s7, 8
	s_cselect_b64 s[28:29], -1, 0
	s_bfe_u32 s2, s7, 0x10008
	s_mov_b32 s40, 0
	s_cmp_eq_u32 s2, 0
	s_mov_b32 s33, 0
	s_cbranch_scc1 .LBB147_11
; %bb.6:
	s_and_b64 vcc, exec, s[0:1]
	s_mov_b32 s33, s12
	s_cbranch_vccnz .LBB147_8
; %bb.7:
	s_load_dword s33, s[12:13], 0x0
.LBB147_8:
	s_and_b64 vcc, exec, s[0:1]
	s_cbranch_vccnz .LBB147_10
; %bb.9:
	s_load_dword s13, s[12:13], 0x4
.LBB147_10:
	s_waitcnt lgkmcnt(0)
	s_mov_b32 s40, s13
.LBB147_11:
	s_load_dwordx2 s[78:79], s[4:5], 0x0
	v_or_b32_e32 v1, 0xfffffc00, v0
	v_lshl_add_u32 v14, v0, 3, 0
	s_mov_b64 s[0:1], 0
	v_mov_b32_e32 v4, 0
	s_waitcnt lgkmcnt(0)
	v_pk_mov_b32 v[2:3], s[78:79], s[78:79] op_sel:[0,1]
	s_movk_i32 s2, 0x3bff
	v_mov_b32_e32 v5, v14
	v_mov_b32_e32 v6, v1
.LBB147_12:                             ; =>This Inner Loop Header: Depth=1
	v_add_u32_e32 v6, 0x400, v6
	v_cmp_lt_u32_e32 vcc, s2, v6
	ds_write_b64 v5, v[2:3]
	v_add_u32_e32 v7, 0x20000, v5
	v_add_u32_e32 v5, 0x2000, v5
	s_or_b64 s[0:1], vcc, s[0:1]
	ds_write2_b32 v7, v4, v4 offset1:1
	s_andn2_b64 exec, exec, s[0:1]
	s_cbranch_execnz .LBB147_12
; %bb.13:
	s_or_b64 exec, exec, s[0:1]
	s_waitcnt lgkmcnt(0)
	s_barrier
	s_load_dwordx2 s[0:1], s[24:25], 0x0
	s_mov_b32 s7, 0
	s_waitcnt lgkmcnt(0)
	s_lshl_b64 s[0:1], s[0:1], 3
	s_add_u32 s2, s26, s0
	s_addc_u32 s4, s27, s1
	s_lshl_b64 s[0:1], s[6:7], 3
	s_add_u32 s0, s2, s0
	s_addc_u32 s1, s4, s1
	s_load_dwordx2 s[56:57], s[0:1], 0x0
	s_and_b64 vcc, exec, s[30:31]
	s_cbranch_vccz .LBB147_33
; %bb.14:
	s_waitcnt lgkmcnt(0)
	s_lshl_b64 s[0:1], s[56:57], 3
	s_add_u32 s0, s16, s0
	s_addc_u32 s1, s17, s1
	s_load_dwordx4 s[24:27], s[0:1], 0x0
	v_lshrrev_b32_e32 v2, 6, v0
	v_subrev_co_u32_e32 v2, vcc, s44, v2
	v_subb_co_u32_e64 v3, s[4:5], 0, 0, vcc
	s_waitcnt lgkmcnt(0)
	s_sub_u32 s0, s26, s44
	v_mov_b32_e32 v4, s25
	v_add_co_u32_e32 v2, vcc, s24, v2
	s_subb_u32 s1, s27, 0
	v_addc_co_u32_e32 v3, vcc, v4, v3, vcc
	v_cmp_gt_i64_e32 vcc, s[0:1], v[2:3]
	s_and_saveexec_b64 s[4:5], vcc
	s_cbranch_execz .LBB147_32
; %bb.15:
	v_and_b32_e32 v4, 63, v0
	v_subrev_co_u32_e32 v11, vcc, s45, v4
	s_mov_b32 s6, 0
	v_subb_co_u32_e64 v15, s[12:13], 0, 0, vcc
	s_mov_b32 s2, s44
	s_mov_b32 s42, s45
	s_mov_b64 s[12:13], 0
	v_mov_b32_e32 v16, s19
	v_mov_b32_e32 v17, s7
	;; [unrolled: 1-line block ×4, first 2 shown]
	s_movk_i32 s19, 0x89
	s_branch .LBB147_17
.LBB147_16:                             ;   in Loop: Header=BB147_17 Depth=1
	s_or_b64 exec, exec, s[6:7]
	v_add_co_u32_e32 v2, vcc, 16, v2
	v_addc_co_u32_e32 v3, vcc, 0, v3, vcc
	v_cmp_le_i64_e32 vcc, s[0:1], v[2:3]
	s_or_b64 s[12:13], vcc, s[12:13]
	s_andn2_b64 exec, exec, s[12:13]
	s_cbranch_execz .LBB147_32
.LBB147_17:                             ; =>This Loop Header: Depth=1
                                        ;     Child Loop BB147_20 Depth 2
                                        ;       Child Loop BB147_22 Depth 3
	v_lshlrev_b64 v[8:9], 3, v[2:3]
	v_add_co_u32_e32 v4, vcc, s18, v8
	v_addc_co_u32_e32 v5, vcc, v16, v9, vcc
	global_load_dwordx2 v[4:5], v[4:5], off
	s_waitcnt vmcnt(0)
	v_subrev_co_u32_e32 v4, vcc, s2, v4
	v_subb_co_u32_e32 v5, vcc, v5, v17, vcc
	v_lshlrev_b64 v[4:5], 3, v[4:5]
	v_add_co_u32_e32 v4, vcc, s22, v4
	v_addc_co_u32_e32 v5, vcc, v18, v5, vcc
	global_load_dwordx4 v[20:23], v[4:5], off
	s_waitcnt vmcnt(0)
	v_subrev_co_u32_e32 v4, vcc, s42, v22
	v_subb_co_u32_e32 v5, vcc, v23, v19, vcc
	v_add_co_u32_e32 v6, vcc, v20, v11
	v_addc_co_u32_e32 v7, vcc, v21, v15, vcc
	v_cmp_lt_i64_e32 vcc, v[6:7], v[4:5]
	s_and_saveexec_b64 s[6:7], vcc
	s_cbranch_execz .LBB147_16
; %bb.18:                               ;   in Loop: Header=BB147_17 Depth=1
	v_mov_b32_e32 v10, s21
	v_add_co_u32_e32 v8, vcc, s20, v8
	v_addc_co_u32_e32 v9, vcc, v10, v9, vcc
	global_load_dwordx2 v[8:9], v[8:9], off
	s_mov_b64 s[16:17], 0
	s_waitcnt vmcnt(0)
	v_mul_f32_e64 v20, v9, -s3
	v_mul_f32_e32 v21, s41, v9
	v_fmac_f32_e32 v20, s41, v8
	v_fmac_f32_e32 v21, s3, v8
	s_branch .LBB147_20
.LBB147_19:                             ;   in Loop: Header=BB147_20 Depth=2
	s_or_b64 exec, exec, s[24:25]
	v_add_co_u32_e32 v6, vcc, 64, v6
	v_addc_co_u32_e32 v7, vcc, 0, v7, vcc
	v_cmp_ge_i64_e32 vcc, v[6:7], v[4:5]
	s_or_b64 s[16:17], vcc, s[16:17]
	s_andn2_b64 exec, exec, s[16:17]
	s_cbranch_execz .LBB147_16
.LBB147_20:                             ;   Parent Loop BB147_17 Depth=1
                                        ; =>  This Loop Header: Depth=2
                                        ;       Child Loop BB147_22 Depth 3
	v_lshlrev_b64 v[8:9], 3, v[6:7]
	v_mov_b32_e32 v10, s9
	v_add_co_u32_e32 v12, vcc, s8, v8
	v_addc_co_u32_e32 v13, vcc, v10, v9, vcc
	v_mov_b32_e32 v10, s11
	v_add_co_u32_e32 v8, vcc, s10, v8
	global_load_dwordx2 v[12:13], v[12:13], off
	v_addc_co_u32_e32 v9, vcc, v10, v9, vcc
	global_load_dwordx2 v[24:25], v[8:9], off
	s_mov_b64 s[24:25], 0
	s_waitcnt vmcnt(1)
	v_subrev_co_u32_e32 v8, vcc, s42, v12
	v_mul_lo_u32 v10, v8, s19
	s_waitcnt vmcnt(0)
	v_mul_f32_e64 v22, v25, -v21
	v_mul_f32_e32 v23, v20, v25
	v_subb_co_u32_e32 v9, vcc, v13, v19, vcc
	v_fmac_f32_e32 v22, v20, v24
	v_fmac_f32_e32 v23, v21, v24
	v_and_b32_e32 v10, 0x3fff, v10
	s_branch .LBB147_22
.LBB147_21:                             ;   in Loop: Header=BB147_22 Depth=3
	s_or_b64 exec, exec, s[26:27]
	s_xor_b64 s[26:27], s[30:31], -1
	s_and_b64 s[26:27], exec, s[26:27]
	s_or_b64 s[24:25], s[26:27], s[24:25]
	s_andn2_b64 exec, exec, s[24:25]
	s_cbranch_execz .LBB147_19
.LBB147_22:                             ;   Parent Loop BB147_17 Depth=1
                                        ;     Parent Loop BB147_20 Depth=2
                                        ; =>    This Inner Loop Header: Depth=3
	v_lshl_add_u32 v24, v10, 3, 0
	ds_read_b64 v[12:13], v24
                                        ; implicit-def: $sgpr30_sgpr31
	s_waitcnt lgkmcnt(0)
	v_cmp_ne_u64_e32 vcc, v[12:13], v[8:9]
	s_and_saveexec_b64 s[26:27], vcc
	s_xor_b64 s[26:27], exec, s[26:27]
	s_cbranch_execz .LBB147_30
; %bb.23:                               ;   in Loop: Header=BB147_22 Depth=3
	v_cmp_ne_u64_e32 vcc, s[78:79], v[12:13]
                                        ; implicit-def: $sgpr30_sgpr31
	s_and_saveexec_b64 s[34:35], vcc
	s_xor_b64 s[34:35], exec, s[34:35]
; %bb.24:                               ;   in Loop: Header=BB147_22 Depth=3
	v_add_u32_e32 v10, 1, v10
	v_and_b32_e32 v10, 0x3fff, v10
	s_mov_b64 s[30:31], -1
                                        ; implicit-def: $vgpr24
; %bb.25:                               ;   in Loop: Header=BB147_22 Depth=3
	s_andn2_saveexec_b64 s[34:35], s[34:35]
	s_cbranch_execz .LBB147_29
; %bb.26:                               ;   in Loop: Header=BB147_22 Depth=3
	v_pk_mov_b32 v[12:13], s[78:79], s[78:79] op_sel:[0,1]
	ds_cmpst_rtn_b64 v[12:13], v24, v[12:13], v[8:9]
	s_mov_b64 s[36:37], -1
	s_waitcnt lgkmcnt(0)
	v_cmp_eq_u64_e32 vcc, s[78:79], v[12:13]
	s_and_saveexec_b64 s[38:39], vcc
	s_cbranch_execz .LBB147_28
; %bb.27:                               ;   in Loop: Header=BB147_22 Depth=3
	v_add_u32_e32 v12, 0x20000, v24
	ds_add_f32 v12, v22
	ds_add_f32 v12, v23 offset:4
	s_xor_b64 s[36:37], exec, -1
.LBB147_28:                             ;   in Loop: Header=BB147_22 Depth=3
	s_or_b64 exec, exec, s[38:39]
	s_andn2_b64 s[30:31], s[30:31], exec
	s_and_b64 s[36:37], s[36:37], exec
	s_or_b64 s[30:31], s[30:31], s[36:37]
.LBB147_29:                             ;   in Loop: Header=BB147_22 Depth=3
	s_or_b64 exec, exec, s[34:35]
	s_and_b64 s[30:31], s[30:31], exec
                                        ; implicit-def: $vgpr24
.LBB147_30:                             ;   in Loop: Header=BB147_22 Depth=3
	s_andn2_saveexec_b64 s[26:27], s[26:27]
	s_cbranch_execz .LBB147_21
; %bb.31:                               ;   in Loop: Header=BB147_22 Depth=3
	v_add_u32_e32 v12, 0x20000, v24
	ds_add_f32 v12, v22
	ds_add_f32 v12, v23 offset:4
	s_andn2_b64 s[30:31], s[30:31], exec
	s_branch .LBB147_21
.LBB147_32:
	s_or_b64 exec, exec, s[4:5]
.LBB147_33:
	s_andn2_b64 vcc, exec, s[28:29]
	s_cbranch_vccnz .LBB147_50
; %bb.34:
	s_waitcnt lgkmcnt(0)
	s_lshl_b64 s[0:1], s[56:57], 3
	s_add_u32 s0, s14, s0
	s_addc_u32 s1, s15, s1
	s_load_dwordx4 s[8:11], s[0:1], 0x0
	v_subrev_co_u32_e32 v2, vcc, s47, v0
	v_subb_co_u32_e64 v3, s[2:3], 0, 0, vcc
	s_waitcnt lgkmcnt(0)
	s_sub_u32 s0, s10, s47
	v_mov_b32_e32 v4, s9
	v_add_co_u32_e32 v2, vcc, s8, v2
	s_subb_u32 s1, s11, 0
	v_addc_co_u32_e32 v3, vcc, v4, v3, vcc
	s_mov_b32 s6, 0
	v_cmp_gt_i64_e32 vcc, s[0:1], v[2:3]
	s_and_saveexec_b64 s[2:3], vcc
	s_cbranch_execz .LBB147_49
; %bb.35:
	s_mov_b32 s18, s47
	s_mov_b64 s[4:5], 0
	v_mov_b32_e32 v7, s49
	v_mov_b32_e32 v10, s6
	;; [unrolled: 1-line block ×3, first 2 shown]
	s_movk_i32 s19, 0x89
	s_branch .LBB147_37
.LBB147_36:                             ;   in Loop: Header=BB147_37 Depth=1
	s_or_b64 exec, exec, s[6:7]
	v_add_co_u32_e32 v2, vcc, 0x400, v2
	v_addc_co_u32_e32 v3, vcc, 0, v3, vcc
	v_cmp_le_i64_e32 vcc, s[0:1], v[2:3]
	s_or_b64 s[4:5], vcc, s[4:5]
	s_andn2_b64 exec, exec, s[4:5]
	s_cbranch_execz .LBB147_49
.LBB147_37:                             ; =>This Loop Header: Depth=1
                                        ;     Child Loop BB147_39 Depth 2
	v_lshlrev_b64 v[4:5], 3, v[2:3]
	v_add_co_u32_e32 v8, vcc, s48, v4
	v_addc_co_u32_e32 v9, vcc, v7, v5, vcc
	v_add_co_u32_e32 v4, vcc, s50, v4
	global_load_dwordx2 v[8:9], v[8:9], off
	v_addc_co_u32_e32 v5, vcc, v11, v5, vcc
	global_load_dwordx2 v[16:17], v[4:5], off
	s_mov_b64 s[6:7], 0
	s_waitcnt vmcnt(1)
	v_subrev_co_u32_e32 v4, vcc, s18, v8
	v_mul_lo_u32 v6, v4, s19
	s_waitcnt vmcnt(0)
	v_mul_f32_e64 v12, v17, -s40
	v_mul_f32_e32 v13, s33, v17
	v_subb_co_u32_e32 v5, vcc, v9, v10, vcc
	v_fmac_f32_e32 v12, s33, v16
	v_fmac_f32_e32 v13, s40, v16
	v_and_b32_e32 v6, 0x3fff, v6
	s_branch .LBB147_39
.LBB147_38:                             ;   in Loop: Header=BB147_39 Depth=2
	s_or_b64 exec, exec, s[8:9]
	s_xor_b64 s[8:9], s[10:11], -1
	s_and_b64 s[8:9], exec, s[8:9]
	s_or_b64 s[6:7], s[8:9], s[6:7]
	s_andn2_b64 exec, exec, s[6:7]
	s_cbranch_execz .LBB147_36
.LBB147_39:                             ;   Parent Loop BB147_37 Depth=1
                                        ; =>  This Inner Loop Header: Depth=2
	v_lshl_add_u32 v15, v6, 3, 0
	ds_read_b64 v[8:9], v15
                                        ; implicit-def: $sgpr10_sgpr11
	s_waitcnt lgkmcnt(0)
	v_cmp_ne_u64_e32 vcc, v[8:9], v[4:5]
	s_and_saveexec_b64 s[8:9], vcc
	s_xor_b64 s[8:9], exec, s[8:9]
	s_cbranch_execz .LBB147_47
; %bb.40:                               ;   in Loop: Header=BB147_39 Depth=2
	v_cmp_ne_u64_e32 vcc, s[78:79], v[8:9]
                                        ; implicit-def: $sgpr10_sgpr11
	s_and_saveexec_b64 s[12:13], vcc
	s_xor_b64 s[12:13], exec, s[12:13]
; %bb.41:                               ;   in Loop: Header=BB147_39 Depth=2
	v_add_u32_e32 v6, 1, v6
	v_and_b32_e32 v6, 0x3fff, v6
	s_mov_b64 s[10:11], -1
                                        ; implicit-def: $vgpr15
; %bb.42:                               ;   in Loop: Header=BB147_39 Depth=2
	s_andn2_saveexec_b64 s[12:13], s[12:13]
	s_cbranch_execz .LBB147_46
; %bb.43:                               ;   in Loop: Header=BB147_39 Depth=2
	v_pk_mov_b32 v[8:9], s[78:79], s[78:79] op_sel:[0,1]
	ds_cmpst_rtn_b64 v[8:9], v15, v[8:9], v[4:5]
	s_mov_b64 s[14:15], -1
	s_waitcnt lgkmcnt(0)
	v_cmp_eq_u64_e32 vcc, s[78:79], v[8:9]
	s_and_saveexec_b64 s[16:17], vcc
	s_cbranch_execz .LBB147_45
; %bb.44:                               ;   in Loop: Header=BB147_39 Depth=2
	v_add_u32_e32 v8, 0x20000, v15
	ds_add_f32 v8, v12
	ds_add_f32 v8, v13 offset:4
	s_xor_b64 s[14:15], exec, -1
.LBB147_45:                             ;   in Loop: Header=BB147_39 Depth=2
	s_or_b64 exec, exec, s[16:17]
	s_andn2_b64 s[10:11], s[10:11], exec
	s_and_b64 s[14:15], s[14:15], exec
	s_or_b64 s[10:11], s[10:11], s[14:15]
.LBB147_46:                             ;   in Loop: Header=BB147_39 Depth=2
	s_or_b64 exec, exec, s[12:13]
	s_and_b64 s[10:11], s[10:11], exec
                                        ; implicit-def: $vgpr15
.LBB147_47:                             ;   in Loop: Header=BB147_39 Depth=2
	s_andn2_saveexec_b64 s[8:9], s[8:9]
	s_cbranch_execz .LBB147_38
; %bb.48:                               ;   in Loop: Header=BB147_39 Depth=2
	v_add_u32_e32 v8, 0x20000, v15
	ds_add_f32 v8, v12
	ds_add_f32 v8, v13 offset:4
	s_andn2_b64 s[10:11], s[10:11], exec
	s_branch .LBB147_38
.LBB147_49:
	s_or_b64 exec, exec, s[2:3]
.LBB147_50:
	s_waitcnt lgkmcnt(0)
	v_writelane_b32 v26, s56, 2
	v_writelane_b32 v26, s57, 3
	;; [unrolled: 1-line block ×6, first 2 shown]
	s_movk_i32 s33, 0x25f
	v_writelane_b32 v26, s48, 8
	v_cmp_lt_u32_e64 s[34:35], s33, v0
	s_movk_i32 s33, 0x27f
	v_writelane_b32 v26, s49, 9
	v_cmp_lt_u32_e64 s[36:37], s33, v0
	;; [unrolled: 3-line block ×8, first 2 shown]
	s_movk_i32 s33, 0x35f
	v_cmp_lt_u32_e64 s[50:51], s33, v0
	s_movk_i32 s33, 0x37f
	v_cmp_lt_u32_e64 s[52:53], s33, v0
	;; [unrolled: 2-line block ×3, first 2 shown]
	s_movk_i32 s33, 0x3bf
	s_add_i32 s0, 0, 0x40000
	v_cmp_lt_u32_e64 s[56:57], s33, v0
	s_movk_i32 s33, 0x3df
	v_writelane_b32 v26, s0, 16
	v_cmp_lt_u32_e64 s[58:59], s33, v0
	s_add_i32 s33, 0, 0x40008
	v_writelane_b32 v26, s33, 17
	s_add_i32 s33, 0, 0x40010
	v_mbcnt_lo_u32_b32 v2, -1, 0
	v_writelane_b32 v26, s33, 18
	s_add_i32 s33, 0, 0x40018
	v_mbcnt_hi_u32_b32 v2, -1, v2
	v_writelane_b32 v26, s33, 19
	s_add_i32 s33, 0, 0x40020
	v_sub_u32_e32 v2, 63, v2
	v_writelane_b32 v26, s33, 20
	s_add_i32 s33, 0, 0x40028
	v_lshrrev_b64 v[4:5], v2, -1
	v_lshrrev_b32_e32 v2, 2, v0
	v_writelane_b32 v26, s33, 21
	s_add_i32 s33, 0, 0x40030
	v_and_b32_e32 v2, 0xf8, v2
	v_writelane_b32 v26, s33, 22
	s_add_i32 s33, 0, 0x40038
	v_add_u32_e32 v15, s0, v2
	s_movk_i32 s0, 0x3ff
	v_writelane_b32 v26, s33, 23
	s_add_i32 s33, 0, 0x40040
	v_cmp_eq_u32_e32 vcc, s0, v0
	s_movk_i32 s0, 0x5f
	s_movk_i32 s2, 0x7f
	;; [unrolled: 1-line block ×16, first 2 shown]
	v_writelane_b32 v26, s33, 24
	s_add_i32 s33, 0, 0x40048
	v_mov_b32_e32 v3, 0
	v_cmp_lt_u32_e64 s[0:1], s0, v0
	v_cmp_lt_u32_e64 s[2:3], s2, v0
	;; [unrolled: 1-line block ×16, first 2 shown]
	v_pk_mov_b32 v[6:7], 0, 0
	v_writelane_b32 v26, s33, 25
	s_add_i32 s90, 0, 0x40050
	s_add_i32 s91, 0, 0x40058
	;; [unrolled: 1-line block ×22, first 2 shown]
	s_movk_i32 s87, 0x3bff
	v_cmp_lt_u32_e64 s[60:61], 31, v0
	v_cmp_lt_u32_e64 s[62:63], 63, v0
	s_mov_b64 s[66:67], 0
	s_barrier
	s_branch .LBB147_52
.LBB147_51:                             ;   in Loop: Header=BB147_52 Depth=1
	s_or_b64 exec, exec, s[64:65]
	v_mov_b32_e32 v2, s86
	s_waitcnt lgkmcnt(0)
	s_barrier
	ds_read_b64 v[8:9], v2
	v_add_u32_e32 v1, 0x400, v1
	v_add_u32_e32 v14, 0x2000, v14
	s_waitcnt lgkmcnt(0)
	v_add_co_u32_e64 v6, s[64:65], v8, v6
	v_addc_co_u32_e64 v7, s[64:65], v9, v7, s[64:65]
	v_cmp_lt_u32_e64 s[64:65], s87, v1
	s_or_b64 s[66:67], s[64:65], s[66:67]
	s_andn2_b64 exec, exec, s[66:67]
	s_cbranch_execz .LBB147_118
.LBB147_52:                             ; =>This Inner Loop Header: Depth=1
	ds_read_b64 v[8:9], v14
	v_add_u32_e32 v2, 0x20000, v14
	ds_read2_b32 v[10:11], v2 offset1:1
	s_waitcnt lgkmcnt(0)
	s_barrier
	v_cmp_gt_i64_e64 s[64:65], s[78:79], v[8:9]
	v_and_b32_e32 v13, s64, v4
	s_bcnt1_i32_b64 s72, s[64:65]
	v_and_b32_e32 v12, s65, v5
	v_bcnt_u32_b32 v13, v13, 0
	v_mov_b32_e32 v2, s72
	v_bcnt_u32_b32 v12, v12, v13
	ds_write_b64 v15, v[2:3]
	s_waitcnt lgkmcnt(0)
	s_barrier
	s_and_saveexec_b64 s[72:73], s[60:61]
	s_cbranch_execnz .LBB147_85
; %bb.53:                               ;   in Loop: Header=BB147_52 Depth=1
	s_or_b64 exec, exec, s[72:73]
	s_and_saveexec_b64 s[72:73], s[62:63]
	s_cbranch_execnz .LBB147_86
.LBB147_54:                             ;   in Loop: Header=BB147_52 Depth=1
	s_or_b64 exec, exec, s[72:73]
	s_and_saveexec_b64 s[72:73], s[0:1]
	s_cbranch_execnz .LBB147_87
.LBB147_55:                             ;   in Loop: Header=BB147_52 Depth=1
	s_or_b64 exec, exec, s[72:73]
	s_and_saveexec_b64 s[72:73], s[2:3]
	s_cbranch_execnz .LBB147_88
.LBB147_56:                             ;   in Loop: Header=BB147_52 Depth=1
	s_or_b64 exec, exec, s[72:73]
	s_and_saveexec_b64 s[72:73], s[4:5]
	s_cbranch_execnz .LBB147_89
.LBB147_57:                             ;   in Loop: Header=BB147_52 Depth=1
	s_or_b64 exec, exec, s[72:73]
	s_and_saveexec_b64 s[72:73], s[6:7]
	s_cbranch_execnz .LBB147_90
.LBB147_58:                             ;   in Loop: Header=BB147_52 Depth=1
	s_or_b64 exec, exec, s[72:73]
	s_and_saveexec_b64 s[72:73], s[8:9]
	s_cbranch_execnz .LBB147_91
.LBB147_59:                             ;   in Loop: Header=BB147_52 Depth=1
	s_or_b64 exec, exec, s[72:73]
	s_and_saveexec_b64 s[72:73], s[10:11]
	s_cbranch_execnz .LBB147_92
.LBB147_60:                             ;   in Loop: Header=BB147_52 Depth=1
	s_or_b64 exec, exec, s[72:73]
	s_and_saveexec_b64 s[72:73], s[12:13]
	s_cbranch_execnz .LBB147_93
.LBB147_61:                             ;   in Loop: Header=BB147_52 Depth=1
	s_or_b64 exec, exec, s[72:73]
	s_and_saveexec_b64 s[72:73], s[14:15]
	s_cbranch_execnz .LBB147_94
.LBB147_62:                             ;   in Loop: Header=BB147_52 Depth=1
	s_or_b64 exec, exec, s[72:73]
	s_and_saveexec_b64 s[72:73], s[16:17]
	s_cbranch_execnz .LBB147_95
.LBB147_63:                             ;   in Loop: Header=BB147_52 Depth=1
	s_or_b64 exec, exec, s[72:73]
	s_and_saveexec_b64 s[72:73], s[18:19]
	s_cbranch_execnz .LBB147_96
.LBB147_64:                             ;   in Loop: Header=BB147_52 Depth=1
	s_or_b64 exec, exec, s[72:73]
	s_and_saveexec_b64 s[72:73], s[20:21]
	s_cbranch_execnz .LBB147_97
.LBB147_65:                             ;   in Loop: Header=BB147_52 Depth=1
	s_or_b64 exec, exec, s[72:73]
	s_and_saveexec_b64 s[72:73], s[22:23]
	s_cbranch_execnz .LBB147_98
.LBB147_66:                             ;   in Loop: Header=BB147_52 Depth=1
	s_or_b64 exec, exec, s[72:73]
	s_and_saveexec_b64 s[72:73], s[24:25]
	s_cbranch_execnz .LBB147_99
.LBB147_67:                             ;   in Loop: Header=BB147_52 Depth=1
	s_or_b64 exec, exec, s[72:73]
	s_and_saveexec_b64 s[72:73], s[26:27]
	s_cbranch_execnz .LBB147_100
.LBB147_68:                             ;   in Loop: Header=BB147_52 Depth=1
	s_or_b64 exec, exec, s[72:73]
	s_and_saveexec_b64 s[72:73], s[28:29]
	s_cbranch_execnz .LBB147_101
.LBB147_69:                             ;   in Loop: Header=BB147_52 Depth=1
	s_or_b64 exec, exec, s[72:73]
	s_and_saveexec_b64 s[72:73], s[30:31]
	s_cbranch_execnz .LBB147_102
.LBB147_70:                             ;   in Loop: Header=BB147_52 Depth=1
	s_or_b64 exec, exec, s[72:73]
	s_and_saveexec_b64 s[72:73], s[34:35]
	s_cbranch_execnz .LBB147_103
.LBB147_71:                             ;   in Loop: Header=BB147_52 Depth=1
	s_or_b64 exec, exec, s[72:73]
	s_and_saveexec_b64 s[72:73], s[36:37]
	s_cbranch_execnz .LBB147_104
.LBB147_72:                             ;   in Loop: Header=BB147_52 Depth=1
	s_or_b64 exec, exec, s[72:73]
	s_and_saveexec_b64 s[72:73], s[38:39]
	s_cbranch_execnz .LBB147_105
.LBB147_73:                             ;   in Loop: Header=BB147_52 Depth=1
	s_or_b64 exec, exec, s[72:73]
	s_and_saveexec_b64 s[72:73], s[40:41]
	s_cbranch_execnz .LBB147_106
.LBB147_74:                             ;   in Loop: Header=BB147_52 Depth=1
	s_or_b64 exec, exec, s[72:73]
	s_and_saveexec_b64 s[72:73], s[42:43]
	s_cbranch_execnz .LBB147_107
.LBB147_75:                             ;   in Loop: Header=BB147_52 Depth=1
	s_or_b64 exec, exec, s[72:73]
	s_and_saveexec_b64 s[72:73], s[44:45]
	s_cbranch_execnz .LBB147_108
.LBB147_76:                             ;   in Loop: Header=BB147_52 Depth=1
	s_or_b64 exec, exec, s[72:73]
	s_and_saveexec_b64 s[72:73], s[46:47]
	s_cbranch_execnz .LBB147_109
.LBB147_77:                             ;   in Loop: Header=BB147_52 Depth=1
	s_or_b64 exec, exec, s[72:73]
	s_and_saveexec_b64 s[72:73], s[48:49]
	s_cbranch_execnz .LBB147_110
.LBB147_78:                             ;   in Loop: Header=BB147_52 Depth=1
	s_or_b64 exec, exec, s[72:73]
	s_and_saveexec_b64 s[72:73], s[50:51]
	s_cbranch_execnz .LBB147_111
.LBB147_79:                             ;   in Loop: Header=BB147_52 Depth=1
	s_or_b64 exec, exec, s[72:73]
	s_and_saveexec_b64 s[72:73], s[52:53]
	s_cbranch_execnz .LBB147_112
.LBB147_80:                             ;   in Loop: Header=BB147_52 Depth=1
	s_or_b64 exec, exec, s[72:73]
	s_and_saveexec_b64 s[72:73], s[54:55]
	s_cbranch_execnz .LBB147_113
.LBB147_81:                             ;   in Loop: Header=BB147_52 Depth=1
	s_or_b64 exec, exec, s[72:73]
	s_and_saveexec_b64 s[72:73], s[56:57]
	s_cbranch_execnz .LBB147_114
.LBB147_82:                             ;   in Loop: Header=BB147_52 Depth=1
	s_or_b64 exec, exec, s[72:73]
	s_and_saveexec_b64 s[72:73], s[58:59]
	s_cbranch_execnz .LBB147_115
.LBB147_83:                             ;   in Loop: Header=BB147_52 Depth=1
	s_or_b64 exec, exec, s[72:73]
	v_ashrrev_i32_e32 v13, 31, v12
	s_and_saveexec_b64 s[72:73], s[64:65]
	s_cbranch_execnz .LBB147_116
.LBB147_84:                             ;   in Loop: Header=BB147_52 Depth=1
	s_or_b64 exec, exec, s[72:73]
	s_and_saveexec_b64 s[64:65], vcc
	s_cbranch_execz .LBB147_51
	s_branch .LBB147_117
.LBB147_85:                             ;   in Loop: Header=BB147_52 Depth=1
	v_readlane_b32 s88, v26, 16
	v_mov_b32_e32 v2, s88
	ds_read_b32 v2, v2
	s_waitcnt lgkmcnt(0)
	v_add_u32_e32 v12, v2, v12
	s_or_b64 exec, exec, s[72:73]
	s_and_saveexec_b64 s[72:73], s[62:63]
	s_cbranch_execz .LBB147_54
.LBB147_86:                             ;   in Loop: Header=BB147_52 Depth=1
	v_readlane_b32 s88, v26, 17
	v_mov_b32_e32 v2, s88
	ds_read_b32 v2, v2
	s_waitcnt lgkmcnt(0)
	v_add_u32_e32 v12, v12, v2
	s_or_b64 exec, exec, s[72:73]
	s_and_saveexec_b64 s[72:73], s[0:1]
	s_cbranch_execz .LBB147_55
.LBB147_87:                             ;   in Loop: Header=BB147_52 Depth=1
	v_readlane_b32 s88, v26, 18
	v_mov_b32_e32 v2, s88
	ds_read_b32 v2, v2
	s_waitcnt lgkmcnt(0)
	v_add_u32_e32 v12, v12, v2
	s_or_b64 exec, exec, s[72:73]
	s_and_saveexec_b64 s[72:73], s[2:3]
	s_cbranch_execz .LBB147_56
.LBB147_88:                             ;   in Loop: Header=BB147_52 Depth=1
	v_readlane_b32 s88, v26, 19
	v_mov_b32_e32 v2, s88
	ds_read_b32 v2, v2
	s_waitcnt lgkmcnt(0)
	v_add_u32_e32 v12, v12, v2
	s_or_b64 exec, exec, s[72:73]
	s_and_saveexec_b64 s[72:73], s[4:5]
	s_cbranch_execz .LBB147_57
.LBB147_89:                             ;   in Loop: Header=BB147_52 Depth=1
	v_readlane_b32 s88, v26, 20
	v_mov_b32_e32 v2, s88
	ds_read_b32 v2, v2
	s_waitcnt lgkmcnt(0)
	v_add_u32_e32 v12, v12, v2
	s_or_b64 exec, exec, s[72:73]
	s_and_saveexec_b64 s[72:73], s[6:7]
	s_cbranch_execz .LBB147_58
.LBB147_90:                             ;   in Loop: Header=BB147_52 Depth=1
	v_readlane_b32 s88, v26, 21
	v_mov_b32_e32 v2, s88
	ds_read_b32 v2, v2
	s_waitcnt lgkmcnt(0)
	v_add_u32_e32 v12, v12, v2
	s_or_b64 exec, exec, s[72:73]
	s_and_saveexec_b64 s[72:73], s[8:9]
	s_cbranch_execz .LBB147_59
.LBB147_91:                             ;   in Loop: Header=BB147_52 Depth=1
	v_readlane_b32 s88, v26, 22
	v_mov_b32_e32 v2, s88
	ds_read_b32 v2, v2
	s_waitcnt lgkmcnt(0)
	v_add_u32_e32 v12, v12, v2
	s_or_b64 exec, exec, s[72:73]
	s_and_saveexec_b64 s[72:73], s[10:11]
	s_cbranch_execz .LBB147_60
.LBB147_92:                             ;   in Loop: Header=BB147_52 Depth=1
	v_readlane_b32 s88, v26, 23
	v_mov_b32_e32 v2, s88
	ds_read_b32 v2, v2
	s_waitcnt lgkmcnt(0)
	v_add_u32_e32 v12, v12, v2
	s_or_b64 exec, exec, s[72:73]
	s_and_saveexec_b64 s[72:73], s[12:13]
	s_cbranch_execz .LBB147_61
.LBB147_93:                             ;   in Loop: Header=BB147_52 Depth=1
	v_readlane_b32 s88, v26, 24
	v_mov_b32_e32 v2, s88
	ds_read_b32 v2, v2
	s_waitcnt lgkmcnt(0)
	v_add_u32_e32 v12, v12, v2
	s_or_b64 exec, exec, s[72:73]
	s_and_saveexec_b64 s[72:73], s[14:15]
	s_cbranch_execz .LBB147_62
.LBB147_94:                             ;   in Loop: Header=BB147_52 Depth=1
	v_readlane_b32 s88, v26, 25
	v_mov_b32_e32 v2, s88
	ds_read_b32 v2, v2
	s_waitcnt lgkmcnt(0)
	v_add_u32_e32 v12, v12, v2
	s_or_b64 exec, exec, s[72:73]
	s_and_saveexec_b64 s[72:73], s[16:17]
	s_cbranch_execz .LBB147_63
.LBB147_95:                             ;   in Loop: Header=BB147_52 Depth=1
	v_mov_b32_e32 v2, s90
	ds_read_b32 v2, v2
	s_waitcnt lgkmcnt(0)
	v_add_u32_e32 v12, v12, v2
	s_or_b64 exec, exec, s[72:73]
	s_and_saveexec_b64 s[72:73], s[18:19]
	s_cbranch_execz .LBB147_64
.LBB147_96:                             ;   in Loop: Header=BB147_52 Depth=1
	v_mov_b32_e32 v2, s91
	ds_read_b32 v2, v2
	s_waitcnt lgkmcnt(0)
	v_add_u32_e32 v12, v12, v2
	s_or_b64 exec, exec, s[72:73]
	s_and_saveexec_b64 s[72:73], s[20:21]
	s_cbranch_execz .LBB147_65
.LBB147_97:                             ;   in Loop: Header=BB147_52 Depth=1
	v_mov_b32_e32 v2, s92
	ds_read_b32 v2, v2
	s_waitcnt lgkmcnt(0)
	v_add_u32_e32 v12, v12, v2
	s_or_b64 exec, exec, s[72:73]
	s_and_saveexec_b64 s[72:73], s[22:23]
	s_cbranch_execz .LBB147_66
.LBB147_98:                             ;   in Loop: Header=BB147_52 Depth=1
	v_mov_b32_e32 v2, s93
	ds_read_b32 v2, v2
	s_waitcnt lgkmcnt(0)
	v_add_u32_e32 v12, v12, v2
	s_or_b64 exec, exec, s[72:73]
	s_and_saveexec_b64 s[72:73], s[24:25]
	s_cbranch_execz .LBB147_67
.LBB147_99:                             ;   in Loop: Header=BB147_52 Depth=1
	v_mov_b32_e32 v2, s94
	ds_read_b32 v2, v2
	s_waitcnt lgkmcnt(0)
	v_add_u32_e32 v12, v12, v2
	s_or_b64 exec, exec, s[72:73]
	s_and_saveexec_b64 s[72:73], s[26:27]
	s_cbranch_execz .LBB147_68
.LBB147_100:                            ;   in Loop: Header=BB147_52 Depth=1
	v_mov_b32_e32 v2, s95
	ds_read_b32 v2, v2
	s_waitcnt lgkmcnt(0)
	v_add_u32_e32 v12, v12, v2
	s_or_b64 exec, exec, s[72:73]
	s_and_saveexec_b64 s[72:73], s[28:29]
	s_cbranch_execz .LBB147_69
.LBB147_101:                            ;   in Loop: Header=BB147_52 Depth=1
	v_mov_b32_e32 v2, s80
	ds_read_b32 v2, v2
	s_waitcnt lgkmcnt(0)
	v_add_u32_e32 v12, v12, v2
	s_or_b64 exec, exec, s[72:73]
	s_and_saveexec_b64 s[72:73], s[30:31]
	s_cbranch_execz .LBB147_70
.LBB147_102:                            ;   in Loop: Header=BB147_52 Depth=1
	v_mov_b32_e32 v2, s81
	ds_read_b32 v2, v2
	s_waitcnt lgkmcnt(0)
	v_add_u32_e32 v12, v12, v2
	s_or_b64 exec, exec, s[72:73]
	s_and_saveexec_b64 s[72:73], s[34:35]
	s_cbranch_execz .LBB147_71
.LBB147_103:                            ;   in Loop: Header=BB147_52 Depth=1
	v_mov_b32_e32 v2, s74
	ds_read_b32 v2, v2
	s_waitcnt lgkmcnt(0)
	v_add_u32_e32 v12, v12, v2
	s_or_b64 exec, exec, s[72:73]
	s_and_saveexec_b64 s[72:73], s[36:37]
	s_cbranch_execz .LBB147_72
.LBB147_104:                            ;   in Loop: Header=BB147_52 Depth=1
	v_mov_b32_e32 v2, s76
	ds_read_b32 v2, v2
	s_waitcnt lgkmcnt(0)
	v_add_u32_e32 v12, v12, v2
	s_or_b64 exec, exec, s[72:73]
	s_and_saveexec_b64 s[72:73], s[38:39]
	s_cbranch_execz .LBB147_73
.LBB147_105:                            ;   in Loop: Header=BB147_52 Depth=1
	v_mov_b32_e32 v2, s77
	ds_read_b32 v2, v2
	s_waitcnt lgkmcnt(0)
	v_add_u32_e32 v12, v12, v2
	s_or_b64 exec, exec, s[72:73]
	s_and_saveexec_b64 s[72:73], s[40:41]
	s_cbranch_execz .LBB147_74
.LBB147_106:                            ;   in Loop: Header=BB147_52 Depth=1
	v_mov_b32_e32 v2, s68
	ds_read_b32 v2, v2
	s_waitcnt lgkmcnt(0)
	v_add_u32_e32 v12, v12, v2
	s_or_b64 exec, exec, s[72:73]
	s_and_saveexec_b64 s[72:73], s[42:43]
	s_cbranch_execz .LBB147_75
.LBB147_107:                            ;   in Loop: Header=BB147_52 Depth=1
	v_mov_b32_e32 v2, s69
	ds_read_b32 v2, v2
	s_waitcnt lgkmcnt(0)
	v_add_u32_e32 v12, v12, v2
	s_or_b64 exec, exec, s[72:73]
	s_and_saveexec_b64 s[72:73], s[44:45]
	s_cbranch_execz .LBB147_76
.LBB147_108:                            ;   in Loop: Header=BB147_52 Depth=1
	v_mov_b32_e32 v2, s70
	ds_read_b32 v2, v2
	s_waitcnt lgkmcnt(0)
	v_add_u32_e32 v12, v12, v2
	s_or_b64 exec, exec, s[72:73]
	s_and_saveexec_b64 s[72:73], s[46:47]
	s_cbranch_execz .LBB147_77
.LBB147_109:                            ;   in Loop: Header=BB147_52 Depth=1
	v_mov_b32_e32 v2, s71
	ds_read_b32 v2, v2
	s_waitcnt lgkmcnt(0)
	v_add_u32_e32 v12, v12, v2
	s_or_b64 exec, exec, s[72:73]
	s_and_saveexec_b64 s[72:73], s[48:49]
	s_cbranch_execz .LBB147_78
.LBB147_110:                            ;   in Loop: Header=BB147_52 Depth=1
	v_mov_b32_e32 v2, s33
	ds_read_b32 v2, v2
	s_waitcnt lgkmcnt(0)
	v_add_u32_e32 v12, v12, v2
	s_or_b64 exec, exec, s[72:73]
	s_and_saveexec_b64 s[72:73], s[50:51]
	s_cbranch_execz .LBB147_79
.LBB147_111:                            ;   in Loop: Header=BB147_52 Depth=1
	v_mov_b32_e32 v2, s75
	ds_read_b32 v2, v2
	s_waitcnt lgkmcnt(0)
	v_add_u32_e32 v12, v12, v2
	s_or_b64 exec, exec, s[72:73]
	s_and_saveexec_b64 s[72:73], s[52:53]
	s_cbranch_execz .LBB147_80
.LBB147_112:                            ;   in Loop: Header=BB147_52 Depth=1
	v_mov_b32_e32 v2, s82
	ds_read_b32 v2, v2
	s_waitcnt lgkmcnt(0)
	v_add_u32_e32 v12, v12, v2
	s_or_b64 exec, exec, s[72:73]
	s_and_saveexec_b64 s[72:73], s[54:55]
	s_cbranch_execz .LBB147_81
.LBB147_113:                            ;   in Loop: Header=BB147_52 Depth=1
	v_mov_b32_e32 v2, s83
	ds_read_b32 v2, v2
	s_waitcnt lgkmcnt(0)
	v_add_u32_e32 v12, v12, v2
	s_or_b64 exec, exec, s[72:73]
	s_and_saveexec_b64 s[72:73], s[56:57]
	s_cbranch_execz .LBB147_82
.LBB147_114:                            ;   in Loop: Header=BB147_52 Depth=1
	v_mov_b32_e32 v2, s84
	ds_read_b32 v2, v2
	s_waitcnt lgkmcnt(0)
	v_add_u32_e32 v12, v12, v2
	s_or_b64 exec, exec, s[72:73]
	s_and_saveexec_b64 s[72:73], s[58:59]
	s_cbranch_execz .LBB147_83
.LBB147_115:                            ;   in Loop: Header=BB147_52 Depth=1
	v_mov_b32_e32 v2, s85
	ds_read_b32 v2, v2
	s_waitcnt lgkmcnt(0)
	v_add_u32_e32 v12, v12, v2
	s_or_b64 exec, exec, s[72:73]
	v_ashrrev_i32_e32 v13, 31, v12
	s_and_saveexec_b64 s[72:73], s[64:65]
	s_cbranch_execz .LBB147_84
.LBB147_116:                            ;   in Loop: Header=BB147_52 Depth=1
	v_add3_u32 v2, v6, -1, v12
	v_lshl_add_u32 v2, v2, 3, 0
	v_add_u32_e32 v16, 0x20000, v2
	ds_write_b64 v2, v[8:9]
	ds_write2_b32 v16, v10, v11 offset1:1
	s_or_b64 exec, exec, s[72:73]
	s_and_saveexec_b64 s[64:65], vcc
	s_cbranch_execz .LBB147_51
.LBB147_117:                            ;   in Loop: Header=BB147_52 Depth=1
	v_mov_b32_e32 v2, s86
	ds_write_b64 v2, v[12:13]
	s_branch .LBB147_51
.LBB147_118:
	s_or_b64 exec, exec, s[66:67]
	v_readlane_b32 s0, v26, 2
	v_readlane_b32 s1, v26, 3
	;; [unrolled: 1-line block ×3, first 2 shown]
	s_lshl_b64 s[0:1], s[0:1], 3
	v_readlane_b32 s16, v26, 12
	v_readlane_b32 s17, v26, 13
	s_add_u32 s0, s16, s0
	s_addc_u32 s1, s17, s1
	s_load_dwordx4 s[0:3], s[0:1], 0x0
	v_mov_b32_e32 v1, 0
	v_readlane_b32 s18, v26, 14
	v_readlane_b32 s19, v26, 15
	;; [unrolled: 1-line block ×3, first 2 shown]
	s_waitcnt lgkmcnt(0)
	s_sub_u32 s4, s2, s0
	s_subb_u32 s5, s3, s1
	v_cmp_gt_i64_e32 vcc, s[4:5], v[0:1]
	v_readlane_b32 s14, v26, 10
	v_readlane_b32 s15, v26, 11
	s_and_saveexec_b64 s[6:7], vcc
	v_readlane_b32 s20, v26, 4
	v_readlane_b32 s22, v26, 6
	;; [unrolled: 1-line block ×4, first 2 shown]
	s_cbranch_execz .LBB147_128
; %bb.119:
	s_sub_u32 s6, s0, s22
	s_subb_u32 s7, s1, 0
	s_and_b32 s8, s4, 7
	s_sub_u32 s0, s0, s2
	s_mov_b32 s16, 0
	s_subb_u32 s1, s1, s3
	s_mov_b32 s9, s16
	s_and_b32 s2, s4, -8
	v_cmp_lt_u64_e64 s[0:1], s[0:1], -7
	s_cmp_lg_u64 s[8:9], 0
	v_cndmask_b32_e64 v2, 0, 1, s[0:1]
	s_mov_b32 s3, s5
	s_mov_b64 s[10:11], 0
	s_cselect_b64 s[12:13], -1, 0
	v_cmp_ne_u32_e64 s[0:1], 1, v2
	s_branch .LBB147_121
.LBB147_120:                            ;   in Loop: Header=BB147_121 Depth=1
	v_mov_b32_e32 v8, s16
	s_waitcnt lgkmcnt(1)
	v_add_co_u32_e32 v4, vcc, s22, v4
	v_addc_co_u32_e32 v5, vcc, v5, v8, vcc
	v_lshlrev_b64 v[6:7], 3, v[6:7]
	v_mov_b32_e32 v9, s19
	v_add_co_u32_e32 v8, vcc, s18, v6
	v_readlane_b32 s14, v26, 0
	v_addc_co_u32_e32 v9, vcc, v9, v7, vcc
	v_readlane_b32 s15, v26, 1
	global_store_dwordx2 v[8:9], v[4:5], off
	v_mov_b32_e32 v5, s15
	v_add_co_u32_e32 v4, vcc, s14, v6
	v_addc_co_u32_e32 v5, vcc, v5, v7, vcc
	v_add_co_u32_e32 v0, vcc, 0x400, v0
	v_addc_co_u32_e32 v1, vcc, 0, v1, vcc
	v_cmp_le_i64_e32 vcc, s[4:5], v[0:1]
	s_or_b64 s[10:11], vcc, s[10:11]
	s_waitcnt lgkmcnt(0)
	global_store_dwordx2 v[4:5], v[2:3], off
	s_andn2_b64 exec, exec, s[10:11]
	s_cbranch_execz .LBB147_128
.LBB147_121:                            ; =>This Loop Header: Depth=1
                                        ;     Child Loop BB147_123 Depth 2
                                        ;     Child Loop BB147_127 Depth 2
	v_lshl_add_u32 v2, v0, 3, 0
	v_add_u32_e32 v3, 0x20000, v2
	ds_read_b64 v[4:5], v2
	ds_read2_b32 v[2:3], v3 offset1:1
	s_and_b64 vcc, exec, s[0:1]
	v_pk_mov_b32 v[6:7], s[6:7], s[6:7] op_sel:[0,1]
	s_mov_b64 s[14:15], 0
	s_cbranch_vccnz .LBB147_125
; %bb.122:                              ;   in Loop: Header=BB147_121 Depth=1
	s_mov_b32 s17, 0
	v_pk_mov_b32 v[6:7], s[6:7], s[6:7] op_sel:[0,1]
.LBB147_123:                            ;   Parent Loop BB147_121 Depth=1
                                        ; =>  This Inner Loop Header: Depth=2
	v_mov_b32_e32 v20, s17
	ds_read2_b64 v[8:11], v20 offset1:1
	ds_read2_b64 v[12:15], v20 offset0:2 offset1:3
	ds_read2_b64 v[16:19], v20 offset0:4 offset1:5
	;; [unrolled: 1-line block ×3, first 2 shown]
	s_add_u32 s14, s14, 8
	s_waitcnt lgkmcnt(3)
	v_cmp_gt_i64_e32 vcc, v[4:5], v[8:9]
	v_cndmask_b32_e64 v8, 0, 1, vcc
	v_cmp_gt_i64_e32 vcc, v[4:5], v[10:11]
	v_cndmask_b32_e64 v9, 0, 1, vcc
	s_waitcnt lgkmcnt(2)
	v_cmp_gt_i64_e32 vcc, v[4:5], v[12:13]
	v_cndmask_b32_e64 v10, 0, 1, vcc
	v_cmp_gt_i64_e32 vcc, v[4:5], v[14:15]
	v_cndmask_b32_e64 v11, 0, 1, vcc
	;; [unrolled: 5-line block ×4, first 2 shown]
	v_add_co_u32_e32 v6, vcc, v6, v8
	v_addc_co_u32_e32 v7, vcc, 0, v7, vcc
	v_add_co_u32_e32 v6, vcc, v6, v9
	v_addc_co_u32_e32 v7, vcc, 0, v7, vcc
	;; [unrolled: 2-line block ×7, first 2 shown]
	s_addc_u32 s15, s15, 0
	s_add_i32 s17, s17, 64
	v_add_co_u32_e32 v6, vcc, v6, v15
	s_cmp_eq_u64 s[2:3], s[14:15]
	v_addc_co_u32_e32 v7, vcc, 0, v7, vcc
	s_cbranch_scc0 .LBB147_123
; %bb.124:                              ;   in Loop: Header=BB147_121 Depth=1
	s_mov_b64 s[14:15], s[2:3]
.LBB147_125:                            ;   in Loop: Header=BB147_121 Depth=1
	s_andn2_b64 vcc, exec, s[12:13]
	s_cbranch_vccnz .LBB147_120
; %bb.126:                              ;   in Loop: Header=BB147_121 Depth=1
	s_lshl_b32 s14, s14, 3
	s_add_i32 s17, s14, 0
	s_mov_b64 s[14:15], s[8:9]
.LBB147_127:                            ;   Parent Loop BB147_121 Depth=1
                                        ; =>  This Inner Loop Header: Depth=2
	v_mov_b32_e32 v8, s17
	ds_read_b64 v[8:9], v8
	s_add_i32 s17, s17, 8
	s_add_u32 s14, s14, -1
	s_addc_u32 s15, s15, -1
	s_cmp_lg_u64 s[14:15], 0
	s_waitcnt lgkmcnt(0)
	v_cmp_gt_i64_e32 vcc, v[4:5], v[8:9]
	v_cndmask_b32_e64 v8, 0, 1, vcc
	v_add_co_u32_e32 v6, vcc, v6, v8
	v_addc_co_u32_e32 v7, vcc, 0, v7, vcc
	s_cbranch_scc1 .LBB147_127
	s_branch .LBB147_120
.LBB147_128:
	s_endpgm
	.section	.rodata,"a",@progbits
	.p2align	6, 0x0
	.amdhsa_kernel _ZN9rocsparseL26csrgemm_fill_block_per_rowILj1024ELj64ELj16384ELj137ELj32Ell21rocsparse_complex_numIfEEEvT5_PKS3_S5_NS_24const_host_device_scalarIT6_EEPKT4_S5_PKS7_SB_S5_SD_S8_SB_S5_SD_SB_PS3_PS7_21rocsparse_index_base_SG_SG_SG_bbb
		.amdhsa_group_segment_fixed_size 0
		.amdhsa_private_segment_fixed_size 0
		.amdhsa_kernarg_size 156
		.amdhsa_user_sgpr_count 6
		.amdhsa_user_sgpr_private_segment_buffer 1
		.amdhsa_user_sgpr_dispatch_ptr 0
		.amdhsa_user_sgpr_queue_ptr 0
		.amdhsa_user_sgpr_kernarg_segment_ptr 1
		.amdhsa_user_sgpr_dispatch_id 0
		.amdhsa_user_sgpr_flat_scratch_init 0
		.amdhsa_user_sgpr_kernarg_preload_length 0
		.amdhsa_user_sgpr_kernarg_preload_offset 0
		.amdhsa_user_sgpr_private_segment_size 0
		.amdhsa_uses_dynamic_stack 0
		.amdhsa_system_sgpr_private_segment_wavefront_offset 0
		.amdhsa_system_sgpr_workgroup_id_x 1
		.amdhsa_system_sgpr_workgroup_id_y 0
		.amdhsa_system_sgpr_workgroup_id_z 0
		.amdhsa_system_sgpr_workgroup_info 0
		.amdhsa_system_vgpr_workitem_id 0
		.amdhsa_next_free_vgpr 27
		.amdhsa_next_free_sgpr 96
		.amdhsa_accum_offset 28
		.amdhsa_reserve_vcc 1
		.amdhsa_reserve_flat_scratch 0
		.amdhsa_float_round_mode_32 0
		.amdhsa_float_round_mode_16_64 0
		.amdhsa_float_denorm_mode_32 3
		.amdhsa_float_denorm_mode_16_64 3
		.amdhsa_dx10_clamp 1
		.amdhsa_ieee_mode 1
		.amdhsa_fp16_overflow 0
		.amdhsa_tg_split 0
		.amdhsa_exception_fp_ieee_invalid_op 0
		.amdhsa_exception_fp_denorm_src 0
		.amdhsa_exception_fp_ieee_div_zero 0
		.amdhsa_exception_fp_ieee_overflow 0
		.amdhsa_exception_fp_ieee_underflow 0
		.amdhsa_exception_fp_ieee_inexact 0
		.amdhsa_exception_int_div_zero 0
	.end_amdhsa_kernel
	.section	.text._ZN9rocsparseL26csrgemm_fill_block_per_rowILj1024ELj64ELj16384ELj137ELj32Ell21rocsparse_complex_numIfEEEvT5_PKS3_S5_NS_24const_host_device_scalarIT6_EEPKT4_S5_PKS7_SB_S5_SD_S8_SB_S5_SD_SB_PS3_PS7_21rocsparse_index_base_SG_SG_SG_bbb,"axG",@progbits,_ZN9rocsparseL26csrgemm_fill_block_per_rowILj1024ELj64ELj16384ELj137ELj32Ell21rocsparse_complex_numIfEEEvT5_PKS3_S5_NS_24const_host_device_scalarIT6_EEPKT4_S5_PKS7_SB_S5_SD_S8_SB_S5_SD_SB_PS3_PS7_21rocsparse_index_base_SG_SG_SG_bbb,comdat
.Lfunc_end147:
	.size	_ZN9rocsparseL26csrgemm_fill_block_per_rowILj1024ELj64ELj16384ELj137ELj32Ell21rocsparse_complex_numIfEEEvT5_PKS3_S5_NS_24const_host_device_scalarIT6_EEPKT4_S5_PKS7_SB_S5_SD_S8_SB_S5_SD_SB_PS3_PS7_21rocsparse_index_base_SG_SG_SG_bbb, .Lfunc_end147-_ZN9rocsparseL26csrgemm_fill_block_per_rowILj1024ELj64ELj16384ELj137ELj32Ell21rocsparse_complex_numIfEEEvT5_PKS3_S5_NS_24const_host_device_scalarIT6_EEPKT4_S5_PKS7_SB_S5_SD_S8_SB_S5_SD_SB_PS3_PS7_21rocsparse_index_base_SG_SG_SG_bbb
                                        ; -- End function
	.section	.AMDGPU.csdata,"",@progbits
; Kernel info:
; codeLenInByte = 4916
; NumSgprs: 100
; NumVgprs: 27
; NumAgprs: 0
; TotalNumVgprs: 27
; ScratchSize: 0
; MemoryBound: 0
; FloatMode: 240
; IeeeMode: 1
; LDSByteSize: 0 bytes/workgroup (compile time only)
; SGPRBlocks: 12
; VGPRBlocks: 3
; NumSGPRsForWavesPerEU: 100
; NumVGPRsForWavesPerEU: 27
; AccumOffset: 28
; Occupancy: 8
; WaveLimiterHint : 1
; COMPUTE_PGM_RSRC2:SCRATCH_EN: 0
; COMPUTE_PGM_RSRC2:USER_SGPR: 6
; COMPUTE_PGM_RSRC2:TRAP_HANDLER: 0
; COMPUTE_PGM_RSRC2:TGID_X_EN: 1
; COMPUTE_PGM_RSRC2:TGID_Y_EN: 0
; COMPUTE_PGM_RSRC2:TGID_Z_EN: 0
; COMPUTE_PGM_RSRC2:TIDIG_COMP_CNT: 0
; COMPUTE_PGM_RSRC3_GFX90A:ACCUM_OFFSET: 6
; COMPUTE_PGM_RSRC3_GFX90A:TG_SPLIT: 0
	.section	.text._ZN9rocsparseL26csrgemm_fill_block_per_rowILj1024ELj64ELj16384ELj137ELj64Ell21rocsparse_complex_numIfEEEvT5_PKS3_S5_NS_24const_host_device_scalarIT6_EEPKT4_S5_PKS7_SB_S5_SD_S8_SB_S5_SD_SB_PS3_PS7_21rocsparse_index_base_SG_SG_SG_bbb,"axG",@progbits,_ZN9rocsparseL26csrgemm_fill_block_per_rowILj1024ELj64ELj16384ELj137ELj64Ell21rocsparse_complex_numIfEEEvT5_PKS3_S5_NS_24const_host_device_scalarIT6_EEPKT4_S5_PKS7_SB_S5_SD_S8_SB_S5_SD_SB_PS3_PS7_21rocsparse_index_base_SG_SG_SG_bbb,comdat
	.globl	_ZN9rocsparseL26csrgemm_fill_block_per_rowILj1024ELj64ELj16384ELj137ELj64Ell21rocsparse_complex_numIfEEEvT5_PKS3_S5_NS_24const_host_device_scalarIT6_EEPKT4_S5_PKS7_SB_S5_SD_S8_SB_S5_SD_SB_PS3_PS7_21rocsparse_index_base_SG_SG_SG_bbb ; -- Begin function _ZN9rocsparseL26csrgemm_fill_block_per_rowILj1024ELj64ELj16384ELj137ELj64Ell21rocsparse_complex_numIfEEEvT5_PKS3_S5_NS_24const_host_device_scalarIT6_EEPKT4_S5_PKS7_SB_S5_SD_S8_SB_S5_SD_SB_PS3_PS7_21rocsparse_index_base_SG_SG_SG_bbb
	.p2align	8
	.type	_ZN9rocsparseL26csrgemm_fill_block_per_rowILj1024ELj64ELj16384ELj137ELj64Ell21rocsparse_complex_numIfEEEvT5_PKS3_S5_NS_24const_host_device_scalarIT6_EEPKT4_S5_PKS7_SB_S5_SD_S8_SB_S5_SD_SB_PS3_PS7_21rocsparse_index_base_SG_SG_SG_bbb,@function
_ZN9rocsparseL26csrgemm_fill_block_per_rowILj1024ELj64ELj16384ELj137ELj64Ell21rocsparse_complex_numIfEEEvT5_PKS3_S5_NS_24const_host_device_scalarIT6_EEPKT4_S5_PKS7_SB_S5_SD_S8_SB_S5_SD_SB_PS3_PS7_21rocsparse_index_base_SG_SG_SG_bbb: ; @_ZN9rocsparseL26csrgemm_fill_block_per_rowILj1024ELj64ELj16384ELj137ELj64Ell21rocsparse_complex_numIfEEEvT5_PKS3_S5_NS_24const_host_device_scalarIT6_EEPKT4_S5_PKS7_SB_S5_SD_S8_SB_S5_SD_SB_PS3_PS7_21rocsparse_index_base_SG_SG_SG_bbb
; %bb.0:
	s_load_dwordx8 s[36:43], s[4:5], 0x60
	s_load_dwordx8 s[8:15], s[4:5], 0x40
	s_load_dword s7, s[4:5], 0x98
	s_load_dwordx4 s[24:27], s[4:5], 0x8
	s_load_dwordx8 s[16:23], s[4:5], 0x20
	s_load_dwordx2 s[34:35], s[4:5], 0x80
	s_load_dwordx4 s[44:47], s[4:5], 0x88
	s_waitcnt lgkmcnt(0)
	s_bitcmp1_b32 s7, 0
	s_cselect_b64 s[30:31], -1, 0
	s_bitcmp1_b32 s7, 16
	s_cselect_b64 s[0:1], -1, 0
	s_xor_b64 s[0:1], s[0:1], -1
	v_cndmask_b32_e64 v1, 0, 1, s[0:1]
	s_mov_b32 s3, 0
	s_bitcmp0_b32 s7, 0
	v_cmp_ne_u32_e64 s[0:1], 1, v1
	s_mov_b32 s57, 0
	s_cbranch_scc1 .LBB148_5
; %bb.1:
	s_load_dwordx2 s[2:3], s[4:5], 0x18
	s_and_b64 vcc, exec, s[0:1]
	s_waitcnt lgkmcnt(0)
	s_mov_b32 s57, s2
	s_cbranch_vccnz .LBB148_3
; %bb.2:
	s_load_dword s57, s[2:3], 0x0
.LBB148_3:
	s_and_b64 vcc, exec, s[0:1]
	s_cbranch_vccnz .LBB148_5
; %bb.4:
	s_load_dword s3, s[2:3], 0x4
.LBB148_5:
	s_bitcmp1_b32 s7, 8
	s_cselect_b64 s[28:29], -1, 0
	s_bfe_u32 s2, s7, 0x10008
	s_mov_b32 s56, 0
	s_cmp_eq_u32 s2, 0
	s_mov_b32 s33, 0
	s_cbranch_scc1 .LBB148_11
; %bb.6:
	s_and_b64 vcc, exec, s[0:1]
	s_mov_b32 s33, s12
	s_cbranch_vccnz .LBB148_8
; %bb.7:
	s_load_dword s33, s[12:13], 0x0
.LBB148_8:
	s_and_b64 vcc, exec, s[0:1]
	s_cbranch_vccnz .LBB148_10
; %bb.9:
	s_load_dword s13, s[12:13], 0x4
.LBB148_10:
	s_waitcnt lgkmcnt(0)
	s_mov_b32 s56, s13
.LBB148_11:
	s_load_dwordx2 s[48:49], s[4:5], 0x0
	v_or_b32_e32 v1, 0xfffffc00, v0
	v_lshl_add_u32 v14, v0, 3, 0
	s_mov_b64 s[0:1], 0
	v_mov_b32_e32 v4, 0
	s_waitcnt lgkmcnt(0)
	v_pk_mov_b32 v[2:3], s[48:49], s[48:49] op_sel:[0,1]
	s_movk_i32 s2, 0x3bff
	v_mov_b32_e32 v5, v14
	v_mov_b32_e32 v6, v1
.LBB148_12:                             ; =>This Inner Loop Header: Depth=1
	v_add_u32_e32 v6, 0x400, v6
	v_cmp_lt_u32_e32 vcc, s2, v6
	ds_write_b64 v5, v[2:3]
	v_add_u32_e32 v7, 0x20000, v5
	v_add_u32_e32 v5, 0x2000, v5
	s_or_b64 s[0:1], vcc, s[0:1]
	ds_write2_b32 v7, v4, v4 offset1:1
	s_andn2_b64 exec, exec, s[0:1]
	s_cbranch_execnz .LBB148_12
; %bb.13:
	s_or_b64 exec, exec, s[0:1]
	s_waitcnt lgkmcnt(0)
	s_barrier
	s_load_dwordx2 s[0:1], s[24:25], 0x0
	s_mov_b32 s7, 0
	v_lshrrev_b32_e32 v11, 6, v0
	s_waitcnt lgkmcnt(0)
	s_lshl_b64 s[0:1], s[0:1], 3
	s_add_u32 s2, s26, s0
	s_addc_u32 s4, s27, s1
	s_lshl_b64 s[0:1], s[6:7], 3
	s_add_u32 s0, s2, s0
	s_addc_u32 s1, s4, s1
	s_load_dwordx2 s[50:51], s[0:1], 0x0
	s_and_b64 vcc, exec, s[30:31]
	s_cbranch_vccz .LBB148_33
; %bb.14:
	s_waitcnt lgkmcnt(0)
	s_lshl_b64 s[0:1], s[50:51], 3
	s_add_u32 s0, s16, s0
	s_addc_u32 s1, s17, s1
	s_load_dwordx4 s[24:27], s[0:1], 0x0
	v_subrev_co_u32_e32 v2, vcc, s44, v11
	v_subb_co_u32_e64 v3, s[4:5], 0, 0, vcc
	s_waitcnt lgkmcnt(0)
	s_sub_u32 s0, s26, s44
	v_mov_b32_e32 v4, s25
	v_add_co_u32_e32 v2, vcc, s24, v2
	s_subb_u32 s1, s27, 0
	v_addc_co_u32_e32 v3, vcc, v4, v3, vcc
	v_cmp_gt_i64_e32 vcc, s[0:1], v[2:3]
	s_and_saveexec_b64 s[4:5], vcc
	s_cbranch_execz .LBB148_32
; %bb.15:
	v_and_b32_e32 v4, 63, v0
	v_subrev_co_u32_e32 v15, vcc, s45, v4
	s_mov_b32 s6, 0
	v_subb_co_u32_e64 v16, s[12:13], 0, 0, vcc
	s_mov_b32 s2, s44
	s_mov_b32 s58, s45
	s_mov_b64 s[12:13], 0
	v_mov_b32_e32 v17, s19
	v_mov_b32_e32 v18, s7
	;; [unrolled: 1-line block ×4, first 2 shown]
	s_movk_i32 s19, 0x89
	s_branch .LBB148_17
.LBB148_16:                             ;   in Loop: Header=BB148_17 Depth=1
	s_or_b64 exec, exec, s[6:7]
	v_add_co_u32_e32 v2, vcc, 16, v2
	v_addc_co_u32_e32 v3, vcc, 0, v3, vcc
	v_cmp_le_i64_e32 vcc, s[0:1], v[2:3]
	s_or_b64 s[12:13], vcc, s[12:13]
	s_andn2_b64 exec, exec, s[12:13]
	s_cbranch_execz .LBB148_32
.LBB148_17:                             ; =>This Loop Header: Depth=1
                                        ;     Child Loop BB148_20 Depth 2
                                        ;       Child Loop BB148_22 Depth 3
	v_lshlrev_b64 v[8:9], 3, v[2:3]
	v_add_co_u32_e32 v4, vcc, s18, v8
	v_addc_co_u32_e32 v5, vcc, v17, v9, vcc
	global_load_dwordx2 v[4:5], v[4:5], off
	s_waitcnt vmcnt(0)
	v_subrev_co_u32_e32 v4, vcc, s2, v4
	v_subb_co_u32_e32 v5, vcc, v5, v18, vcc
	v_lshlrev_b64 v[4:5], 3, v[4:5]
	v_add_co_u32_e32 v4, vcc, s22, v4
	v_addc_co_u32_e32 v5, vcc, v19, v5, vcc
	global_load_dwordx4 v[22:25], v[4:5], off
	s_waitcnt vmcnt(0)
	v_subrev_co_u32_e32 v4, vcc, s58, v24
	v_subb_co_u32_e32 v5, vcc, v25, v20, vcc
	v_add_co_u32_e32 v6, vcc, v22, v15
	v_addc_co_u32_e32 v7, vcc, v23, v16, vcc
	v_cmp_lt_i64_e32 vcc, v[6:7], v[4:5]
	s_and_saveexec_b64 s[6:7], vcc
	s_cbranch_execz .LBB148_16
; %bb.18:                               ;   in Loop: Header=BB148_17 Depth=1
	v_mov_b32_e32 v10, s21
	v_add_co_u32_e32 v8, vcc, s20, v8
	v_addc_co_u32_e32 v9, vcc, v10, v9, vcc
	global_load_dwordx2 v[8:9], v[8:9], off
	s_mov_b64 s[16:17], 0
	s_waitcnt vmcnt(0)
	v_mul_f32_e64 v21, v9, -s3
	v_mul_f32_e32 v22, s57, v9
	v_fmac_f32_e32 v21, s57, v8
	v_fmac_f32_e32 v22, s3, v8
	s_branch .LBB148_20
.LBB148_19:                             ;   in Loop: Header=BB148_20 Depth=2
	s_or_b64 exec, exec, s[24:25]
	v_add_co_u32_e32 v6, vcc, 64, v6
	v_addc_co_u32_e32 v7, vcc, 0, v7, vcc
	v_cmp_ge_i64_e32 vcc, v[6:7], v[4:5]
	s_or_b64 s[16:17], vcc, s[16:17]
	s_andn2_b64 exec, exec, s[16:17]
	s_cbranch_execz .LBB148_16
.LBB148_20:                             ;   Parent Loop BB148_17 Depth=1
                                        ; =>  This Loop Header: Depth=2
                                        ;       Child Loop BB148_22 Depth 3
	v_lshlrev_b64 v[8:9], 3, v[6:7]
	v_mov_b32_e32 v10, s9
	v_add_co_u32_e32 v12, vcc, s8, v8
	v_addc_co_u32_e32 v13, vcc, v10, v9, vcc
	v_mov_b32_e32 v10, s11
	v_add_co_u32_e32 v8, vcc, s10, v8
	global_load_dwordx2 v[12:13], v[12:13], off
	v_addc_co_u32_e32 v9, vcc, v10, v9, vcc
	global_load_dwordx2 v[26:27], v[8:9], off
	s_mov_b64 s[24:25], 0
	s_waitcnt vmcnt(1)
	v_subrev_co_u32_e32 v8, vcc, s58, v12
	v_mul_lo_u32 v10, v8, s19
	s_waitcnt vmcnt(0)
	v_mul_f32_e64 v23, v27, -v22
	v_mul_f32_e32 v24, v21, v27
	v_subb_co_u32_e32 v9, vcc, v13, v20, vcc
	v_fmac_f32_e32 v23, v21, v26
	v_fmac_f32_e32 v24, v22, v26
	v_and_b32_e32 v10, 0x3fff, v10
	s_branch .LBB148_22
.LBB148_21:                             ;   in Loop: Header=BB148_22 Depth=3
	s_or_b64 exec, exec, s[26:27]
	s_xor_b64 s[26:27], s[30:31], -1
	s_and_b64 s[26:27], exec, s[26:27]
	s_or_b64 s[24:25], s[26:27], s[24:25]
	s_andn2_b64 exec, exec, s[24:25]
	s_cbranch_execz .LBB148_19
.LBB148_22:                             ;   Parent Loop BB148_17 Depth=1
                                        ;     Parent Loop BB148_20 Depth=2
                                        ; =>    This Inner Loop Header: Depth=3
	v_lshl_add_u32 v25, v10, 3, 0
	ds_read_b64 v[12:13], v25
                                        ; implicit-def: $sgpr30_sgpr31
	s_waitcnt lgkmcnt(0)
	v_cmp_ne_u64_e32 vcc, v[12:13], v[8:9]
	s_and_saveexec_b64 s[26:27], vcc
	s_xor_b64 s[26:27], exec, s[26:27]
	s_cbranch_execz .LBB148_30
; %bb.23:                               ;   in Loop: Header=BB148_22 Depth=3
	v_cmp_ne_u64_e32 vcc, s[48:49], v[12:13]
                                        ; implicit-def: $sgpr30_sgpr31
	s_and_saveexec_b64 s[44:45], vcc
	s_xor_b64 s[44:45], exec, s[44:45]
; %bb.24:                               ;   in Loop: Header=BB148_22 Depth=3
	v_add_u32_e32 v10, 1, v10
	v_and_b32_e32 v10, 0x3fff, v10
	s_mov_b64 s[30:31], -1
                                        ; implicit-def: $vgpr25
; %bb.25:                               ;   in Loop: Header=BB148_22 Depth=3
	s_andn2_saveexec_b64 s[44:45], s[44:45]
	s_cbranch_execz .LBB148_29
; %bb.26:                               ;   in Loop: Header=BB148_22 Depth=3
	v_pk_mov_b32 v[12:13], s[48:49], s[48:49] op_sel:[0,1]
	ds_cmpst_rtn_b64 v[12:13], v25, v[12:13], v[8:9]
	s_mov_b64 s[52:53], -1
	s_waitcnt lgkmcnt(0)
	v_cmp_eq_u64_e32 vcc, s[48:49], v[12:13]
	s_and_saveexec_b64 s[54:55], vcc
	s_cbranch_execz .LBB148_28
; %bb.27:                               ;   in Loop: Header=BB148_22 Depth=3
	v_add_u32_e32 v12, 0x20000, v25
	ds_add_f32 v12, v23
	ds_add_f32 v12, v24 offset:4
	s_xor_b64 s[52:53], exec, -1
.LBB148_28:                             ;   in Loop: Header=BB148_22 Depth=3
	s_or_b64 exec, exec, s[54:55]
	s_andn2_b64 s[30:31], s[30:31], exec
	s_and_b64 s[52:53], s[52:53], exec
	s_or_b64 s[30:31], s[30:31], s[52:53]
.LBB148_29:                             ;   in Loop: Header=BB148_22 Depth=3
	s_or_b64 exec, exec, s[44:45]
	s_and_b64 s[30:31], s[30:31], exec
                                        ; implicit-def: $vgpr25
.LBB148_30:                             ;   in Loop: Header=BB148_22 Depth=3
	s_andn2_saveexec_b64 s[26:27], s[26:27]
	s_cbranch_execz .LBB148_21
; %bb.31:                               ;   in Loop: Header=BB148_22 Depth=3
	v_add_u32_e32 v12, 0x20000, v25
	ds_add_f32 v12, v23
	ds_add_f32 v12, v24 offset:4
	s_andn2_b64 s[30:31], s[30:31], exec
	s_branch .LBB148_21
.LBB148_32:
	s_or_b64 exec, exec, s[4:5]
.LBB148_33:
	s_andn2_b64 vcc, exec, s[28:29]
	s_cbranch_vccnz .LBB148_50
; %bb.34:
	s_waitcnt lgkmcnt(0)
	s_lshl_b64 s[0:1], s[50:51], 3
	s_add_u32 s0, s14, s0
	s_addc_u32 s1, s15, s1
	s_load_dwordx4 s[8:11], s[0:1], 0x0
	v_subrev_co_u32_e32 v2, vcc, s47, v0
	v_subb_co_u32_e64 v3, s[2:3], 0, 0, vcc
	s_waitcnt lgkmcnt(0)
	s_sub_u32 s0, s10, s47
	v_mov_b32_e32 v4, s9
	v_add_co_u32_e32 v2, vcc, s8, v2
	s_subb_u32 s1, s11, 0
	v_addc_co_u32_e32 v3, vcc, v4, v3, vcc
	s_mov_b32 s6, 0
	v_cmp_gt_i64_e32 vcc, s[0:1], v[2:3]
	s_and_saveexec_b64 s[2:3], vcc
	s_cbranch_execz .LBB148_49
; %bb.35:
	s_mov_b32 s18, s47
	s_mov_b64 s[4:5], 0
	v_mov_b32_e32 v7, s37
	v_mov_b32_e32 v10, s6
	;; [unrolled: 1-line block ×3, first 2 shown]
	s_movk_i32 s19, 0x89
	s_branch .LBB148_37
.LBB148_36:                             ;   in Loop: Header=BB148_37 Depth=1
	s_or_b64 exec, exec, s[6:7]
	v_add_co_u32_e32 v2, vcc, 0x400, v2
	v_addc_co_u32_e32 v3, vcc, 0, v3, vcc
	v_cmp_le_i64_e32 vcc, s[0:1], v[2:3]
	s_or_b64 s[4:5], vcc, s[4:5]
	s_andn2_b64 exec, exec, s[4:5]
	s_cbranch_execz .LBB148_49
.LBB148_37:                             ; =>This Loop Header: Depth=1
                                        ;     Child Loop BB148_39 Depth 2
	v_lshlrev_b64 v[4:5], 3, v[2:3]
	v_add_co_u32_e32 v8, vcc, s36, v4
	v_addc_co_u32_e32 v9, vcc, v7, v5, vcc
	v_add_co_u32_e32 v4, vcc, s38, v4
	global_load_dwordx2 v[8:9], v[8:9], off
	v_addc_co_u32_e32 v5, vcc, v12, v5, vcc
	global_load_dwordx2 v[16:17], v[4:5], off
	s_mov_b64 s[6:7], 0
	s_waitcnt vmcnt(1)
	v_subrev_co_u32_e32 v4, vcc, s18, v8
	v_mul_lo_u32 v6, v4, s19
	s_waitcnt vmcnt(0)
	v_mul_f32_e64 v13, v17, -s56
	v_mul_f32_e32 v15, s33, v17
	v_subb_co_u32_e32 v5, vcc, v9, v10, vcc
	v_fmac_f32_e32 v13, s33, v16
	v_fmac_f32_e32 v15, s56, v16
	v_and_b32_e32 v6, 0x3fff, v6
	s_branch .LBB148_39
.LBB148_38:                             ;   in Loop: Header=BB148_39 Depth=2
	s_or_b64 exec, exec, s[8:9]
	s_xor_b64 s[8:9], s[10:11], -1
	s_and_b64 s[8:9], exec, s[8:9]
	s_or_b64 s[6:7], s[8:9], s[6:7]
	s_andn2_b64 exec, exec, s[6:7]
	s_cbranch_execz .LBB148_36
.LBB148_39:                             ;   Parent Loop BB148_37 Depth=1
                                        ; =>  This Inner Loop Header: Depth=2
	v_lshl_add_u32 v16, v6, 3, 0
	ds_read_b64 v[8:9], v16
                                        ; implicit-def: $sgpr10_sgpr11
	s_waitcnt lgkmcnt(0)
	v_cmp_ne_u64_e32 vcc, v[8:9], v[4:5]
	s_and_saveexec_b64 s[8:9], vcc
	s_xor_b64 s[8:9], exec, s[8:9]
	s_cbranch_execz .LBB148_47
; %bb.40:                               ;   in Loop: Header=BB148_39 Depth=2
	v_cmp_ne_u64_e32 vcc, s[48:49], v[8:9]
                                        ; implicit-def: $sgpr10_sgpr11
	s_and_saveexec_b64 s[12:13], vcc
	s_xor_b64 s[12:13], exec, s[12:13]
; %bb.41:                               ;   in Loop: Header=BB148_39 Depth=2
	v_add_u32_e32 v6, 1, v6
	v_and_b32_e32 v6, 0x3fff, v6
	s_mov_b64 s[10:11], -1
                                        ; implicit-def: $vgpr16
; %bb.42:                               ;   in Loop: Header=BB148_39 Depth=2
	s_andn2_saveexec_b64 s[12:13], s[12:13]
	s_cbranch_execz .LBB148_46
; %bb.43:                               ;   in Loop: Header=BB148_39 Depth=2
	v_pk_mov_b32 v[8:9], s[48:49], s[48:49] op_sel:[0,1]
	ds_cmpst_rtn_b64 v[8:9], v16, v[8:9], v[4:5]
	s_mov_b64 s[14:15], -1
	s_waitcnt lgkmcnt(0)
	v_cmp_eq_u64_e32 vcc, s[48:49], v[8:9]
	s_and_saveexec_b64 s[16:17], vcc
	s_cbranch_execz .LBB148_45
; %bb.44:                               ;   in Loop: Header=BB148_39 Depth=2
	v_add_u32_e32 v8, 0x20000, v16
	ds_add_f32 v8, v13
	ds_add_f32 v8, v15 offset:4
	s_xor_b64 s[14:15], exec, -1
.LBB148_45:                             ;   in Loop: Header=BB148_39 Depth=2
	s_or_b64 exec, exec, s[16:17]
	s_andn2_b64 s[10:11], s[10:11], exec
	s_and_b64 s[14:15], s[14:15], exec
	s_or_b64 s[10:11], s[10:11], s[14:15]
.LBB148_46:                             ;   in Loop: Header=BB148_39 Depth=2
	s_or_b64 exec, exec, s[12:13]
	s_and_b64 s[10:11], s[10:11], exec
                                        ; implicit-def: $vgpr16
.LBB148_47:                             ;   in Loop: Header=BB148_39 Depth=2
	s_andn2_saveexec_b64 s[8:9], s[8:9]
	s_cbranch_execz .LBB148_38
; %bb.48:                               ;   in Loop: Header=BB148_39 Depth=2
	v_add_u32_e32 v8, 0x20000, v16
	ds_add_f32 v8, v13
	ds_add_f32 v8, v15 offset:4
	s_andn2_b64 s[10:11], s[10:11], exec
	s_branch .LBB148_38
.LBB148_49:
	s_or_b64 exec, exec, s[2:3]
.LBB148_50:
	v_mbcnt_lo_u32_b32 v2, -1, 0
	v_mbcnt_hi_u32_b32 v2, -1, v2
	v_sub_u32_e32 v2, 63, v2
	s_add_i32 s33, 0, 0x40000
	s_movk_i32 s0, 0x3ff
	s_movk_i32 s2, 0x7f
	;; [unrolled: 1-line block ×15, first 2 shown]
	s_add_i32 s63, 0, 0x40078
	v_mov_b32_e32 v3, 0
	v_lshrrev_b64 v[4:5], v2, -1
	v_lshl_add_u32 v15, v11, 3, s33
	v_cmp_eq_u32_e32 vcc, s0, v0
	v_cmp_lt_u32_e64 s[0:1], 63, v0
	v_cmp_lt_u32_e64 s[2:3], s2, v0
	;; [unrolled: 1-line block ×15, first 2 shown]
	s_mov_b64 s[36:37], 0
	v_pk_mov_b32 v[6:7], 0, 0
	s_add_i32 s44, 0, 0x40008
	s_add_i32 s45, 0, 0x40010
	;; [unrolled: 1-line block ×14, first 2 shown]
	v_mov_b32_e32 v16, s63
	s_movk_i32 s64, 0x3bff
	s_waitcnt lgkmcnt(0)
	s_barrier
	s_branch .LBB148_52
.LBB148_51:                             ;   in Loop: Header=BB148_52 Depth=1
	s_or_b64 exec, exec, s[30:31]
	s_waitcnt lgkmcnt(0)
	s_barrier
	ds_read_b64 v[8:9], v16
	v_add_u32_e32 v1, 0x400, v1
	v_add_u32_e32 v14, 0x2000, v14
	s_waitcnt lgkmcnt(0)
	v_add_co_u32_e64 v6, s[30:31], v8, v6
	v_addc_co_u32_e64 v7, s[30:31], v9, v7, s[30:31]
	v_cmp_lt_u32_e64 s[30:31], s64, v1
	s_or_b64 s[36:37], s[30:31], s[36:37]
	s_andn2_b64 exec, exec, s[36:37]
	s_cbranch_execz .LBB148_86
.LBB148_52:                             ; =>This Inner Loop Header: Depth=1
	ds_read_b64 v[8:9], v14
	v_add_u32_e32 v2, 0x20000, v14
	ds_read2_b32 v[10:11], v2 offset1:1
	s_waitcnt lgkmcnt(0)
	s_barrier
	v_cmp_gt_i64_e64 s[30:31], s[48:49], v[8:9]
	v_and_b32_e32 v13, s30, v4
	s_bcnt1_i32_b64 s38, s[30:31]
	v_and_b32_e32 v12, s31, v5
	v_bcnt_u32_b32 v13, v13, 0
	v_mov_b32_e32 v2, s38
	v_bcnt_u32_b32 v12, v12, v13
	ds_write_b64 v15, v[2:3]
	s_waitcnt lgkmcnt(0)
	s_barrier
	s_and_saveexec_b64 s[38:39], s[0:1]
	s_cbranch_execnz .LBB148_69
; %bb.53:                               ;   in Loop: Header=BB148_52 Depth=1
	s_or_b64 exec, exec, s[38:39]
	s_and_saveexec_b64 s[38:39], s[2:3]
	s_cbranch_execnz .LBB148_70
.LBB148_54:                             ;   in Loop: Header=BB148_52 Depth=1
	s_or_b64 exec, exec, s[38:39]
	s_and_saveexec_b64 s[38:39], s[4:5]
	s_cbranch_execnz .LBB148_71
.LBB148_55:                             ;   in Loop: Header=BB148_52 Depth=1
	s_or_b64 exec, exec, s[38:39]
	s_and_saveexec_b64 s[38:39], s[6:7]
	s_cbranch_execnz .LBB148_72
.LBB148_56:                             ;   in Loop: Header=BB148_52 Depth=1
	s_or_b64 exec, exec, s[38:39]
	s_and_saveexec_b64 s[38:39], s[8:9]
	s_cbranch_execnz .LBB148_73
.LBB148_57:                             ;   in Loop: Header=BB148_52 Depth=1
	s_or_b64 exec, exec, s[38:39]
	s_and_saveexec_b64 s[38:39], s[10:11]
	s_cbranch_execnz .LBB148_74
.LBB148_58:                             ;   in Loop: Header=BB148_52 Depth=1
	s_or_b64 exec, exec, s[38:39]
	s_and_saveexec_b64 s[38:39], s[12:13]
	s_cbranch_execnz .LBB148_75
.LBB148_59:                             ;   in Loop: Header=BB148_52 Depth=1
	s_or_b64 exec, exec, s[38:39]
	s_and_saveexec_b64 s[38:39], s[14:15]
	s_cbranch_execnz .LBB148_76
.LBB148_60:                             ;   in Loop: Header=BB148_52 Depth=1
	s_or_b64 exec, exec, s[38:39]
	s_and_saveexec_b64 s[38:39], s[16:17]
	s_cbranch_execnz .LBB148_77
.LBB148_61:                             ;   in Loop: Header=BB148_52 Depth=1
	s_or_b64 exec, exec, s[38:39]
	s_and_saveexec_b64 s[38:39], s[18:19]
	s_cbranch_execnz .LBB148_78
.LBB148_62:                             ;   in Loop: Header=BB148_52 Depth=1
	s_or_b64 exec, exec, s[38:39]
	s_and_saveexec_b64 s[38:39], s[20:21]
	s_cbranch_execnz .LBB148_79
.LBB148_63:                             ;   in Loop: Header=BB148_52 Depth=1
	s_or_b64 exec, exec, s[38:39]
	s_and_saveexec_b64 s[38:39], s[22:23]
	s_cbranch_execnz .LBB148_80
.LBB148_64:                             ;   in Loop: Header=BB148_52 Depth=1
	s_or_b64 exec, exec, s[38:39]
	s_and_saveexec_b64 s[38:39], s[24:25]
	s_cbranch_execnz .LBB148_81
.LBB148_65:                             ;   in Loop: Header=BB148_52 Depth=1
	s_or_b64 exec, exec, s[38:39]
	s_and_saveexec_b64 s[38:39], s[26:27]
	s_cbranch_execnz .LBB148_82
.LBB148_66:                             ;   in Loop: Header=BB148_52 Depth=1
	s_or_b64 exec, exec, s[38:39]
	s_and_saveexec_b64 s[38:39], s[28:29]
	s_cbranch_execnz .LBB148_83
.LBB148_67:                             ;   in Loop: Header=BB148_52 Depth=1
	s_or_b64 exec, exec, s[38:39]
	v_ashrrev_i32_e32 v13, 31, v12
	s_and_saveexec_b64 s[38:39], s[30:31]
	s_cbranch_execnz .LBB148_84
.LBB148_68:                             ;   in Loop: Header=BB148_52 Depth=1
	s_or_b64 exec, exec, s[38:39]
	s_and_saveexec_b64 s[30:31], vcc
	s_cbranch_execz .LBB148_51
	s_branch .LBB148_85
.LBB148_69:                             ;   in Loop: Header=BB148_52 Depth=1
	v_mov_b32_e32 v2, s33
	ds_read_b32 v2, v2
	s_waitcnt lgkmcnt(0)
	v_add_u32_e32 v12, v2, v12
	s_or_b64 exec, exec, s[38:39]
	s_and_saveexec_b64 s[38:39], s[2:3]
	s_cbranch_execz .LBB148_54
.LBB148_70:                             ;   in Loop: Header=BB148_52 Depth=1
	v_mov_b32_e32 v2, s44
	ds_read_b32 v2, v2
	s_waitcnt lgkmcnt(0)
	v_add_u32_e32 v12, v12, v2
	s_or_b64 exec, exec, s[38:39]
	s_and_saveexec_b64 s[38:39], s[4:5]
	s_cbranch_execz .LBB148_55
.LBB148_71:                             ;   in Loop: Header=BB148_52 Depth=1
	v_mov_b32_e32 v2, s45
	ds_read_b32 v2, v2
	s_waitcnt lgkmcnt(0)
	v_add_u32_e32 v12, v12, v2
	s_or_b64 exec, exec, s[38:39]
	s_and_saveexec_b64 s[38:39], s[6:7]
	s_cbranch_execz .LBB148_56
.LBB148_72:                             ;   in Loop: Header=BB148_52 Depth=1
	v_mov_b32_e32 v2, s47
	ds_read_b32 v2, v2
	s_waitcnt lgkmcnt(0)
	v_add_u32_e32 v12, v12, v2
	s_or_b64 exec, exec, s[38:39]
	s_and_saveexec_b64 s[38:39], s[8:9]
	s_cbranch_execz .LBB148_57
.LBB148_73:                             ;   in Loop: Header=BB148_52 Depth=1
	v_mov_b32_e32 v2, s52
	ds_read_b32 v2, v2
	s_waitcnt lgkmcnt(0)
	v_add_u32_e32 v12, v12, v2
	s_or_b64 exec, exec, s[38:39]
	s_and_saveexec_b64 s[38:39], s[10:11]
	s_cbranch_execz .LBB148_58
.LBB148_74:                             ;   in Loop: Header=BB148_52 Depth=1
	v_mov_b32_e32 v2, s53
	ds_read_b32 v2, v2
	s_waitcnt lgkmcnt(0)
	v_add_u32_e32 v12, v12, v2
	s_or_b64 exec, exec, s[38:39]
	s_and_saveexec_b64 s[38:39], s[12:13]
	s_cbranch_execz .LBB148_59
.LBB148_75:                             ;   in Loop: Header=BB148_52 Depth=1
	v_mov_b32_e32 v2, s54
	ds_read_b32 v2, v2
	s_waitcnt lgkmcnt(0)
	v_add_u32_e32 v12, v12, v2
	s_or_b64 exec, exec, s[38:39]
	s_and_saveexec_b64 s[38:39], s[14:15]
	s_cbranch_execz .LBB148_60
.LBB148_76:                             ;   in Loop: Header=BB148_52 Depth=1
	v_mov_b32_e32 v2, s55
	ds_read_b32 v2, v2
	s_waitcnt lgkmcnt(0)
	v_add_u32_e32 v12, v12, v2
	s_or_b64 exec, exec, s[38:39]
	s_and_saveexec_b64 s[38:39], s[16:17]
	s_cbranch_execz .LBB148_61
.LBB148_77:                             ;   in Loop: Header=BB148_52 Depth=1
	v_mov_b32_e32 v2, s56
	ds_read_b32 v2, v2
	s_waitcnt lgkmcnt(0)
	v_add_u32_e32 v12, v12, v2
	s_or_b64 exec, exec, s[38:39]
	s_and_saveexec_b64 s[38:39], s[18:19]
	s_cbranch_execz .LBB148_62
.LBB148_78:                             ;   in Loop: Header=BB148_52 Depth=1
	v_mov_b32_e32 v2, s57
	ds_read_b32 v2, v2
	s_waitcnt lgkmcnt(0)
	v_add_u32_e32 v12, v12, v2
	s_or_b64 exec, exec, s[38:39]
	s_and_saveexec_b64 s[38:39], s[20:21]
	s_cbranch_execz .LBB148_63
.LBB148_79:                             ;   in Loop: Header=BB148_52 Depth=1
	v_mov_b32_e32 v2, s58
	ds_read_b32 v2, v2
	s_waitcnt lgkmcnt(0)
	v_add_u32_e32 v12, v12, v2
	s_or_b64 exec, exec, s[38:39]
	s_and_saveexec_b64 s[38:39], s[22:23]
	s_cbranch_execz .LBB148_64
.LBB148_80:                             ;   in Loop: Header=BB148_52 Depth=1
	v_mov_b32_e32 v2, s59
	ds_read_b32 v2, v2
	s_waitcnt lgkmcnt(0)
	v_add_u32_e32 v12, v12, v2
	s_or_b64 exec, exec, s[38:39]
	s_and_saveexec_b64 s[38:39], s[24:25]
	s_cbranch_execz .LBB148_65
.LBB148_81:                             ;   in Loop: Header=BB148_52 Depth=1
	v_mov_b32_e32 v2, s60
	ds_read_b32 v2, v2
	s_waitcnt lgkmcnt(0)
	v_add_u32_e32 v12, v12, v2
	s_or_b64 exec, exec, s[38:39]
	s_and_saveexec_b64 s[38:39], s[26:27]
	s_cbranch_execz .LBB148_66
.LBB148_82:                             ;   in Loop: Header=BB148_52 Depth=1
	v_mov_b32_e32 v2, s61
	ds_read_b32 v2, v2
	s_waitcnt lgkmcnt(0)
	v_add_u32_e32 v12, v12, v2
	s_or_b64 exec, exec, s[38:39]
	s_and_saveexec_b64 s[38:39], s[28:29]
	s_cbranch_execz .LBB148_67
.LBB148_83:                             ;   in Loop: Header=BB148_52 Depth=1
	v_mov_b32_e32 v2, s62
	ds_read_b32 v2, v2
	s_waitcnt lgkmcnt(0)
	v_add_u32_e32 v12, v12, v2
	s_or_b64 exec, exec, s[38:39]
	v_ashrrev_i32_e32 v13, 31, v12
	s_and_saveexec_b64 s[38:39], s[30:31]
	s_cbranch_execz .LBB148_68
.LBB148_84:                             ;   in Loop: Header=BB148_52 Depth=1
	v_add3_u32 v2, v6, -1, v12
	v_lshl_add_u32 v2, v2, 3, 0
	v_add_u32_e32 v17, 0x20000, v2
	ds_write_b64 v2, v[8:9]
	ds_write2_b32 v17, v10, v11 offset1:1
	s_or_b64 exec, exec, s[38:39]
	s_and_saveexec_b64 s[30:31], vcc
	s_cbranch_execz .LBB148_51
.LBB148_85:                             ;   in Loop: Header=BB148_52 Depth=1
	v_mov_b32_e32 v2, s63
	ds_write_b64 v2, v[12:13]
	s_branch .LBB148_51
.LBB148_86:
	s_or_b64 exec, exec, s[36:37]
	s_lshl_b64 s[0:1], s[50:51], 3
	s_add_u32 s0, s40, s0
	s_addc_u32 s1, s41, s1
	s_load_dwordx4 s[0:3], s[0:1], 0x0
	v_mov_b32_e32 v1, 0
	s_waitcnt lgkmcnt(0)
	s_sub_u32 s4, s2, s0
	s_subb_u32 s5, s3, s1
	v_cmp_gt_i64_e32 vcc, s[4:5], v[0:1]
	s_and_saveexec_b64 s[6:7], vcc
	s_cbranch_execz .LBB148_96
; %bb.87:
	s_sub_u32 s6, s0, s46
	s_subb_u32 s7, s1, 0
	s_and_b32 s8, s4, 7
	s_sub_u32 s0, s0, s2
	s_mov_b32 s16, 0
	s_subb_u32 s1, s1, s3
	s_mov_b32 s9, s16
	s_and_b32 s2, s4, -8
	v_cmp_lt_u64_e64 s[0:1], s[0:1], -7
	s_cmp_lg_u64 s[8:9], 0
	v_cndmask_b32_e64 v2, 0, 1, s[0:1]
	s_mov_b32 s3, s5
	s_mov_b64 s[10:11], 0
	s_cselect_b64 s[12:13], -1, 0
	v_cmp_ne_u32_e64 s[0:1], 1, v2
	s_branch .LBB148_89
.LBB148_88:                             ;   in Loop: Header=BB148_89 Depth=1
	v_mov_b32_e32 v8, s16
	s_waitcnt lgkmcnt(1)
	v_add_co_u32_e32 v4, vcc, s46, v4
	v_addc_co_u32_e32 v5, vcc, v5, v8, vcc
	v_lshlrev_b64 v[6:7], 3, v[6:7]
	v_mov_b32_e32 v9, s43
	v_add_co_u32_e32 v8, vcc, s42, v6
	v_addc_co_u32_e32 v9, vcc, v9, v7, vcc
	global_store_dwordx2 v[8:9], v[4:5], off
	v_mov_b32_e32 v5, s35
	v_add_co_u32_e32 v4, vcc, s34, v6
	v_addc_co_u32_e32 v5, vcc, v5, v7, vcc
	v_add_co_u32_e32 v0, vcc, 0x400, v0
	v_addc_co_u32_e32 v1, vcc, 0, v1, vcc
	v_cmp_le_i64_e32 vcc, s[4:5], v[0:1]
	s_or_b64 s[10:11], vcc, s[10:11]
	s_waitcnt lgkmcnt(0)
	global_store_dwordx2 v[4:5], v[2:3], off
	s_andn2_b64 exec, exec, s[10:11]
	s_cbranch_execz .LBB148_96
.LBB148_89:                             ; =>This Loop Header: Depth=1
                                        ;     Child Loop BB148_91 Depth 2
                                        ;     Child Loop BB148_95 Depth 2
	v_lshl_add_u32 v2, v0, 3, 0
	v_add_u32_e32 v3, 0x20000, v2
	ds_read_b64 v[4:5], v2
	ds_read2_b32 v[2:3], v3 offset1:1
	s_and_b64 vcc, exec, s[0:1]
	v_pk_mov_b32 v[6:7], s[6:7], s[6:7] op_sel:[0,1]
	s_mov_b64 s[14:15], 0
	s_cbranch_vccnz .LBB148_93
; %bb.90:                               ;   in Loop: Header=BB148_89 Depth=1
	s_mov_b32 s17, 0
	v_pk_mov_b32 v[6:7], s[6:7], s[6:7] op_sel:[0,1]
.LBB148_91:                             ;   Parent Loop BB148_89 Depth=1
                                        ; =>  This Inner Loop Header: Depth=2
	v_mov_b32_e32 v20, s17
	ds_read2_b64 v[8:11], v20 offset1:1
	ds_read2_b64 v[12:15], v20 offset0:2 offset1:3
	ds_read2_b64 v[16:19], v20 offset0:4 offset1:5
	;; [unrolled: 1-line block ×3, first 2 shown]
	s_add_u32 s14, s14, 8
	s_waitcnt lgkmcnt(3)
	v_cmp_gt_i64_e32 vcc, v[4:5], v[8:9]
	v_cndmask_b32_e64 v8, 0, 1, vcc
	v_cmp_gt_i64_e32 vcc, v[4:5], v[10:11]
	v_cndmask_b32_e64 v9, 0, 1, vcc
	s_waitcnt lgkmcnt(2)
	v_cmp_gt_i64_e32 vcc, v[4:5], v[12:13]
	v_cndmask_b32_e64 v10, 0, 1, vcc
	v_cmp_gt_i64_e32 vcc, v[4:5], v[14:15]
	v_cndmask_b32_e64 v11, 0, 1, vcc
	;; [unrolled: 5-line block ×4, first 2 shown]
	v_add_co_u32_e32 v6, vcc, v6, v8
	v_addc_co_u32_e32 v7, vcc, 0, v7, vcc
	v_add_co_u32_e32 v6, vcc, v6, v9
	v_addc_co_u32_e32 v7, vcc, 0, v7, vcc
	v_add_co_u32_e32 v6, vcc, v6, v10
	v_addc_co_u32_e32 v7, vcc, 0, v7, vcc
	v_add_co_u32_e32 v6, vcc, v6, v11
	v_addc_co_u32_e32 v7, vcc, 0, v7, vcc
	v_add_co_u32_e32 v6, vcc, v6, v12
	v_addc_co_u32_e32 v7, vcc, 0, v7, vcc
	v_add_co_u32_e32 v6, vcc, v6, v13
	v_addc_co_u32_e32 v7, vcc, 0, v7, vcc
	v_add_co_u32_e32 v6, vcc, v6, v14
	v_addc_co_u32_e32 v7, vcc, 0, v7, vcc
	s_addc_u32 s15, s15, 0
	s_add_i32 s17, s17, 64
	v_add_co_u32_e32 v6, vcc, v6, v15
	s_cmp_eq_u64 s[2:3], s[14:15]
	v_addc_co_u32_e32 v7, vcc, 0, v7, vcc
	s_cbranch_scc0 .LBB148_91
; %bb.92:                               ;   in Loop: Header=BB148_89 Depth=1
	s_mov_b64 s[14:15], s[2:3]
.LBB148_93:                             ;   in Loop: Header=BB148_89 Depth=1
	s_andn2_b64 vcc, exec, s[12:13]
	s_cbranch_vccnz .LBB148_88
; %bb.94:                               ;   in Loop: Header=BB148_89 Depth=1
	s_lshl_b32 s14, s14, 3
	s_add_i32 s17, s14, 0
	s_mov_b64 s[14:15], s[8:9]
.LBB148_95:                             ;   Parent Loop BB148_89 Depth=1
                                        ; =>  This Inner Loop Header: Depth=2
	v_mov_b32_e32 v8, s17
	ds_read_b64 v[8:9], v8
	s_add_i32 s17, s17, 8
	s_add_u32 s14, s14, -1
	s_addc_u32 s15, s15, -1
	s_cmp_lg_u64 s[14:15], 0
	s_waitcnt lgkmcnt(0)
	v_cmp_gt_i64_e32 vcc, v[4:5], v[8:9]
	v_cndmask_b32_e64 v8, 0, 1, vcc
	v_add_co_u32_e32 v6, vcc, v6, v8
	v_addc_co_u32_e32 v7, vcc, 0, v7, vcc
	s_cbranch_scc1 .LBB148_95
	s_branch .LBB148_88
.LBB148_96:
	s_endpgm
	.section	.rodata,"a",@progbits
	.p2align	6, 0x0
	.amdhsa_kernel _ZN9rocsparseL26csrgemm_fill_block_per_rowILj1024ELj64ELj16384ELj137ELj64Ell21rocsparse_complex_numIfEEEvT5_PKS3_S5_NS_24const_host_device_scalarIT6_EEPKT4_S5_PKS7_SB_S5_SD_S8_SB_S5_SD_SB_PS3_PS7_21rocsparse_index_base_SG_SG_SG_bbb
		.amdhsa_group_segment_fixed_size 0
		.amdhsa_private_segment_fixed_size 0
		.amdhsa_kernarg_size 156
		.amdhsa_user_sgpr_count 6
		.amdhsa_user_sgpr_private_segment_buffer 1
		.amdhsa_user_sgpr_dispatch_ptr 0
		.amdhsa_user_sgpr_queue_ptr 0
		.amdhsa_user_sgpr_kernarg_segment_ptr 1
		.amdhsa_user_sgpr_dispatch_id 0
		.amdhsa_user_sgpr_flat_scratch_init 0
		.amdhsa_user_sgpr_kernarg_preload_length 0
		.amdhsa_user_sgpr_kernarg_preload_offset 0
		.amdhsa_user_sgpr_private_segment_size 0
		.amdhsa_uses_dynamic_stack 0
		.amdhsa_system_sgpr_private_segment_wavefront_offset 0
		.amdhsa_system_sgpr_workgroup_id_x 1
		.amdhsa_system_sgpr_workgroup_id_y 0
		.amdhsa_system_sgpr_workgroup_id_z 0
		.amdhsa_system_sgpr_workgroup_info 0
		.amdhsa_system_vgpr_workitem_id 0
		.amdhsa_next_free_vgpr 28
		.amdhsa_next_free_sgpr 65
		.amdhsa_accum_offset 28
		.amdhsa_reserve_vcc 1
		.amdhsa_reserve_flat_scratch 0
		.amdhsa_float_round_mode_32 0
		.amdhsa_float_round_mode_16_64 0
		.amdhsa_float_denorm_mode_32 3
		.amdhsa_float_denorm_mode_16_64 3
		.amdhsa_dx10_clamp 1
		.amdhsa_ieee_mode 1
		.amdhsa_fp16_overflow 0
		.amdhsa_tg_split 0
		.amdhsa_exception_fp_ieee_invalid_op 0
		.amdhsa_exception_fp_denorm_src 0
		.amdhsa_exception_fp_ieee_div_zero 0
		.amdhsa_exception_fp_ieee_overflow 0
		.amdhsa_exception_fp_ieee_underflow 0
		.amdhsa_exception_fp_ieee_inexact 0
		.amdhsa_exception_int_div_zero 0
	.end_amdhsa_kernel
	.section	.text._ZN9rocsparseL26csrgemm_fill_block_per_rowILj1024ELj64ELj16384ELj137ELj64Ell21rocsparse_complex_numIfEEEvT5_PKS3_S5_NS_24const_host_device_scalarIT6_EEPKT4_S5_PKS7_SB_S5_SD_S8_SB_S5_SD_SB_PS3_PS7_21rocsparse_index_base_SG_SG_SG_bbb,"axG",@progbits,_ZN9rocsparseL26csrgemm_fill_block_per_rowILj1024ELj64ELj16384ELj137ELj64Ell21rocsparse_complex_numIfEEEvT5_PKS3_S5_NS_24const_host_device_scalarIT6_EEPKT4_S5_PKS7_SB_S5_SD_S8_SB_S5_SD_SB_PS3_PS7_21rocsparse_index_base_SG_SG_SG_bbb,comdat
.Lfunc_end148:
	.size	_ZN9rocsparseL26csrgemm_fill_block_per_rowILj1024ELj64ELj16384ELj137ELj64Ell21rocsparse_complex_numIfEEEvT5_PKS3_S5_NS_24const_host_device_scalarIT6_EEPKT4_S5_PKS7_SB_S5_SD_S8_SB_S5_SD_SB_PS3_PS7_21rocsparse_index_base_SG_SG_SG_bbb, .Lfunc_end148-_ZN9rocsparseL26csrgemm_fill_block_per_rowILj1024ELj64ELj16384ELj137ELj64Ell21rocsparse_complex_numIfEEEvT5_PKS3_S5_NS_24const_host_device_scalarIT6_EEPKT4_S5_PKS7_SB_S5_SD_S8_SB_S5_SD_SB_PS3_PS7_21rocsparse_index_base_SG_SG_SG_bbb
                                        ; -- End function
	.section	.AMDGPU.csdata,"",@progbits
; Kernel info:
; codeLenInByte = 3472
; NumSgprs: 69
; NumVgprs: 28
; NumAgprs: 0
; TotalNumVgprs: 28
; ScratchSize: 0
; MemoryBound: 0
; FloatMode: 240
; IeeeMode: 1
; LDSByteSize: 0 bytes/workgroup (compile time only)
; SGPRBlocks: 8
; VGPRBlocks: 3
; NumSGPRsForWavesPerEU: 69
; NumVGPRsForWavesPerEU: 28
; AccumOffset: 28
; Occupancy: 8
; WaveLimiterHint : 1
; COMPUTE_PGM_RSRC2:SCRATCH_EN: 0
; COMPUTE_PGM_RSRC2:USER_SGPR: 6
; COMPUTE_PGM_RSRC2:TRAP_HANDLER: 0
; COMPUTE_PGM_RSRC2:TGID_X_EN: 1
; COMPUTE_PGM_RSRC2:TGID_Y_EN: 0
; COMPUTE_PGM_RSRC2:TGID_Z_EN: 0
; COMPUTE_PGM_RSRC2:TIDIG_COMP_CNT: 0
; COMPUTE_PGM_RSRC3_GFX90A:ACCUM_OFFSET: 6
; COMPUTE_PGM_RSRC3_GFX90A:TG_SPLIT: 0
	.section	.text._ZN9rocsparseL26csrgemm_fill_block_per_rowILj1024ELj64ELj32768ELj137ELj32Ell21rocsparse_complex_numIfEEEvT5_PKS3_S5_NS_24const_host_device_scalarIT6_EEPKT4_S5_PKS7_SB_S5_SD_S8_SB_S5_SD_SB_PS3_PS7_21rocsparse_index_base_SG_SG_SG_bbb,"axG",@progbits,_ZN9rocsparseL26csrgemm_fill_block_per_rowILj1024ELj64ELj32768ELj137ELj32Ell21rocsparse_complex_numIfEEEvT5_PKS3_S5_NS_24const_host_device_scalarIT6_EEPKT4_S5_PKS7_SB_S5_SD_S8_SB_S5_SD_SB_PS3_PS7_21rocsparse_index_base_SG_SG_SG_bbb,comdat
	.globl	_ZN9rocsparseL26csrgemm_fill_block_per_rowILj1024ELj64ELj32768ELj137ELj32Ell21rocsparse_complex_numIfEEEvT5_PKS3_S5_NS_24const_host_device_scalarIT6_EEPKT4_S5_PKS7_SB_S5_SD_S8_SB_S5_SD_SB_PS3_PS7_21rocsparse_index_base_SG_SG_SG_bbb ; -- Begin function _ZN9rocsparseL26csrgemm_fill_block_per_rowILj1024ELj64ELj32768ELj137ELj32Ell21rocsparse_complex_numIfEEEvT5_PKS3_S5_NS_24const_host_device_scalarIT6_EEPKT4_S5_PKS7_SB_S5_SD_S8_SB_S5_SD_SB_PS3_PS7_21rocsparse_index_base_SG_SG_SG_bbb
	.p2align	8
	.type	_ZN9rocsparseL26csrgemm_fill_block_per_rowILj1024ELj64ELj32768ELj137ELj32Ell21rocsparse_complex_numIfEEEvT5_PKS3_S5_NS_24const_host_device_scalarIT6_EEPKT4_S5_PKS7_SB_S5_SD_S8_SB_S5_SD_SB_PS3_PS7_21rocsparse_index_base_SG_SG_SG_bbb,@function
_ZN9rocsparseL26csrgemm_fill_block_per_rowILj1024ELj64ELj32768ELj137ELj32Ell21rocsparse_complex_numIfEEEvT5_PKS3_S5_NS_24const_host_device_scalarIT6_EEPKT4_S5_PKS7_SB_S5_SD_S8_SB_S5_SD_SB_PS3_PS7_21rocsparse_index_base_SG_SG_SG_bbb: ; @_ZN9rocsparseL26csrgemm_fill_block_per_rowILj1024ELj64ELj32768ELj137ELj32Ell21rocsparse_complex_numIfEEEvT5_PKS3_S5_NS_24const_host_device_scalarIT6_EEPKT4_S5_PKS7_SB_S5_SD_S8_SB_S5_SD_SB_PS3_PS7_21rocsparse_index_base_SG_SG_SG_bbb
; %bb.0:
	s_load_dwordx8 s[48:55], s[4:5], 0x60
	s_load_dwordx8 s[8:15], s[4:5], 0x40
	s_load_dword s7, s[4:5], 0x98
	s_load_dwordx4 s[24:27], s[4:5], 0x8
	s_load_dwordx8 s[16:23], s[4:5], 0x20
	s_load_dwordx2 s[0:1], s[4:5], 0x80
                                        ; implicit-def: $vgpr26 : SGPR spill to VGPR lane
	s_load_dwordx4 s[44:47], s[4:5], 0x88
	s_waitcnt lgkmcnt(0)
	s_bitcmp1_b32 s7, 0
	s_cselect_b64 s[30:31], -1, 0
	s_bitcmp1_b32 s7, 16
	v_writelane_b32 v26, s0, 0
	v_writelane_b32 v26, s1, 1
	s_cselect_b64 s[0:1], -1, 0
	s_xor_b64 s[0:1], s[0:1], -1
	v_cndmask_b32_e64 v1, 0, 1, s[0:1]
	s_mov_b32 s3, 0
	s_bitcmp0_b32 s7, 0
	v_cmp_ne_u32_e64 s[0:1], 1, v1
	s_mov_b32 s41, 0
	s_cbranch_scc1 .LBB149_5
; %bb.1:
	s_load_dwordx2 s[2:3], s[4:5], 0x18
	s_and_b64 vcc, exec, s[0:1]
	s_waitcnt lgkmcnt(0)
	s_mov_b32 s41, s2
	s_cbranch_vccnz .LBB149_3
; %bb.2:
	s_load_dword s41, s[2:3], 0x0
.LBB149_3:
	s_and_b64 vcc, exec, s[0:1]
	s_cbranch_vccnz .LBB149_5
; %bb.4:
	s_load_dword s3, s[2:3], 0x4
.LBB149_5:
	s_bitcmp1_b32 s7, 8
	s_cselect_b64 s[28:29], -1, 0
	s_bfe_u32 s2, s7, 0x10008
	s_mov_b32 s40, 0
	s_cmp_eq_u32 s2, 0
	s_mov_b32 s33, 0
	s_cbranch_scc1 .LBB149_11
; %bb.6:
	s_and_b64 vcc, exec, s[0:1]
	s_mov_b32 s33, s12
	s_cbranch_vccnz .LBB149_8
; %bb.7:
	s_load_dword s33, s[12:13], 0x0
.LBB149_8:
	s_and_b64 vcc, exec, s[0:1]
	s_cbranch_vccnz .LBB149_10
; %bb.9:
	s_load_dword s13, s[12:13], 0x4
.LBB149_10:
	s_waitcnt lgkmcnt(0)
	s_mov_b32 s40, s13
.LBB149_11:
	s_load_dwordx2 s[78:79], s[4:5], 0x0
	v_or_b32_e32 v1, 0xfffffc00, v0
	v_lshl_add_u32 v14, v0, 3, 0
	s_mov_b64 s[0:1], 0
	v_mov_b32_e32 v4, 0
	s_waitcnt lgkmcnt(0)
	v_pk_mov_b32 v[2:3], s[78:79], s[78:79] op_sel:[0,1]
	s_movk_i32 s2, 0x7bff
	v_mov_b32_e32 v5, v14
	v_mov_b32_e32 v6, v1
.LBB149_12:                             ; =>This Inner Loop Header: Depth=1
	v_add_u32_e32 v6, 0x400, v6
	v_cmp_lt_u32_e32 vcc, s2, v6
	ds_write_b64 v5, v[2:3]
	v_add_u32_e32 v7, 0x40000, v5
	v_add_u32_e32 v5, 0x2000, v5
	s_or_b64 s[0:1], vcc, s[0:1]
	ds_write2_b32 v7, v4, v4 offset1:1
	s_andn2_b64 exec, exec, s[0:1]
	s_cbranch_execnz .LBB149_12
; %bb.13:
	s_or_b64 exec, exec, s[0:1]
	s_waitcnt lgkmcnt(0)
	s_barrier
	s_load_dwordx2 s[0:1], s[24:25], 0x0
	s_mov_b32 s7, 0
	s_waitcnt lgkmcnt(0)
	s_lshl_b64 s[0:1], s[0:1], 3
	s_add_u32 s2, s26, s0
	s_addc_u32 s4, s27, s1
	s_lshl_b64 s[0:1], s[6:7], 3
	s_add_u32 s0, s2, s0
	s_addc_u32 s1, s4, s1
	s_load_dwordx2 s[56:57], s[0:1], 0x0
	s_and_b64 vcc, exec, s[30:31]
	s_cbranch_vccz .LBB149_33
; %bb.14:
	s_waitcnt lgkmcnt(0)
	s_lshl_b64 s[0:1], s[56:57], 3
	s_add_u32 s0, s16, s0
	s_addc_u32 s1, s17, s1
	s_load_dwordx4 s[24:27], s[0:1], 0x0
	v_lshrrev_b32_e32 v2, 6, v0
	v_subrev_co_u32_e32 v2, vcc, s44, v2
	v_subb_co_u32_e64 v3, s[4:5], 0, 0, vcc
	s_waitcnt lgkmcnt(0)
	s_sub_u32 s0, s26, s44
	v_mov_b32_e32 v4, s25
	v_add_co_u32_e32 v2, vcc, s24, v2
	s_subb_u32 s1, s27, 0
	v_addc_co_u32_e32 v3, vcc, v4, v3, vcc
	v_cmp_gt_i64_e32 vcc, s[0:1], v[2:3]
	s_and_saveexec_b64 s[4:5], vcc
	s_cbranch_execz .LBB149_32
; %bb.15:
	v_and_b32_e32 v4, 63, v0
	v_subrev_co_u32_e32 v11, vcc, s45, v4
	s_mov_b32 s6, 0
	v_subb_co_u32_e64 v15, s[12:13], 0, 0, vcc
	s_mov_b32 s2, s44
	s_mov_b32 s42, s45
	s_mov_b64 s[12:13], 0
	v_mov_b32_e32 v16, s19
	v_mov_b32_e32 v17, s7
	;; [unrolled: 1-line block ×4, first 2 shown]
	s_movk_i32 s19, 0x89
	s_branch .LBB149_17
.LBB149_16:                             ;   in Loop: Header=BB149_17 Depth=1
	s_or_b64 exec, exec, s[6:7]
	v_add_co_u32_e32 v2, vcc, 16, v2
	v_addc_co_u32_e32 v3, vcc, 0, v3, vcc
	v_cmp_le_i64_e32 vcc, s[0:1], v[2:3]
	s_or_b64 s[12:13], vcc, s[12:13]
	s_andn2_b64 exec, exec, s[12:13]
	s_cbranch_execz .LBB149_32
.LBB149_17:                             ; =>This Loop Header: Depth=1
                                        ;     Child Loop BB149_20 Depth 2
                                        ;       Child Loop BB149_22 Depth 3
	v_lshlrev_b64 v[8:9], 3, v[2:3]
	v_add_co_u32_e32 v4, vcc, s18, v8
	v_addc_co_u32_e32 v5, vcc, v16, v9, vcc
	global_load_dwordx2 v[4:5], v[4:5], off
	s_waitcnt vmcnt(0)
	v_subrev_co_u32_e32 v4, vcc, s2, v4
	v_subb_co_u32_e32 v5, vcc, v5, v17, vcc
	v_lshlrev_b64 v[4:5], 3, v[4:5]
	v_add_co_u32_e32 v4, vcc, s22, v4
	v_addc_co_u32_e32 v5, vcc, v18, v5, vcc
	global_load_dwordx4 v[20:23], v[4:5], off
	s_waitcnt vmcnt(0)
	v_subrev_co_u32_e32 v4, vcc, s42, v22
	v_subb_co_u32_e32 v5, vcc, v23, v19, vcc
	v_add_co_u32_e32 v6, vcc, v20, v11
	v_addc_co_u32_e32 v7, vcc, v21, v15, vcc
	v_cmp_lt_i64_e32 vcc, v[6:7], v[4:5]
	s_and_saveexec_b64 s[6:7], vcc
	s_cbranch_execz .LBB149_16
; %bb.18:                               ;   in Loop: Header=BB149_17 Depth=1
	v_mov_b32_e32 v10, s21
	v_add_co_u32_e32 v8, vcc, s20, v8
	v_addc_co_u32_e32 v9, vcc, v10, v9, vcc
	global_load_dwordx2 v[8:9], v[8:9], off
	s_mov_b64 s[16:17], 0
	s_waitcnt vmcnt(0)
	v_mul_f32_e64 v20, v9, -s3
	v_mul_f32_e32 v21, s41, v9
	v_fmac_f32_e32 v20, s41, v8
	v_fmac_f32_e32 v21, s3, v8
	s_branch .LBB149_20
.LBB149_19:                             ;   in Loop: Header=BB149_20 Depth=2
	s_or_b64 exec, exec, s[24:25]
	v_add_co_u32_e32 v6, vcc, 64, v6
	v_addc_co_u32_e32 v7, vcc, 0, v7, vcc
	v_cmp_ge_i64_e32 vcc, v[6:7], v[4:5]
	s_or_b64 s[16:17], vcc, s[16:17]
	s_andn2_b64 exec, exec, s[16:17]
	s_cbranch_execz .LBB149_16
.LBB149_20:                             ;   Parent Loop BB149_17 Depth=1
                                        ; =>  This Loop Header: Depth=2
                                        ;       Child Loop BB149_22 Depth 3
	v_lshlrev_b64 v[8:9], 3, v[6:7]
	v_mov_b32_e32 v10, s9
	v_add_co_u32_e32 v12, vcc, s8, v8
	v_addc_co_u32_e32 v13, vcc, v10, v9, vcc
	v_mov_b32_e32 v10, s11
	v_add_co_u32_e32 v8, vcc, s10, v8
	global_load_dwordx2 v[12:13], v[12:13], off
	v_addc_co_u32_e32 v9, vcc, v10, v9, vcc
	global_load_dwordx2 v[24:25], v[8:9], off
	s_mov_b64 s[24:25], 0
	s_waitcnt vmcnt(1)
	v_subrev_co_u32_e32 v8, vcc, s42, v12
	v_mul_lo_u32 v10, v8, s19
	s_waitcnt vmcnt(0)
	v_mul_f32_e64 v22, v25, -v21
	v_mul_f32_e32 v23, v20, v25
	v_subb_co_u32_e32 v9, vcc, v13, v19, vcc
	v_fmac_f32_e32 v22, v20, v24
	v_fmac_f32_e32 v23, v21, v24
	v_and_b32_e32 v10, 0x7fff, v10
	s_branch .LBB149_22
.LBB149_21:                             ;   in Loop: Header=BB149_22 Depth=3
	s_or_b64 exec, exec, s[26:27]
	s_xor_b64 s[26:27], s[30:31], -1
	s_and_b64 s[26:27], exec, s[26:27]
	s_or_b64 s[24:25], s[26:27], s[24:25]
	s_andn2_b64 exec, exec, s[24:25]
	s_cbranch_execz .LBB149_19
.LBB149_22:                             ;   Parent Loop BB149_17 Depth=1
                                        ;     Parent Loop BB149_20 Depth=2
                                        ; =>    This Inner Loop Header: Depth=3
	v_lshl_add_u32 v24, v10, 3, 0
	ds_read_b64 v[12:13], v24
                                        ; implicit-def: $sgpr30_sgpr31
	s_waitcnt lgkmcnt(0)
	v_cmp_ne_u64_e32 vcc, v[12:13], v[8:9]
	s_and_saveexec_b64 s[26:27], vcc
	s_xor_b64 s[26:27], exec, s[26:27]
	s_cbranch_execz .LBB149_30
; %bb.23:                               ;   in Loop: Header=BB149_22 Depth=3
	v_cmp_ne_u64_e32 vcc, s[78:79], v[12:13]
                                        ; implicit-def: $sgpr30_sgpr31
	s_and_saveexec_b64 s[34:35], vcc
	s_xor_b64 s[34:35], exec, s[34:35]
; %bb.24:                               ;   in Loop: Header=BB149_22 Depth=3
	v_add_u32_e32 v10, 1, v10
	v_and_b32_e32 v10, 0x7fff, v10
	s_mov_b64 s[30:31], -1
                                        ; implicit-def: $vgpr24
; %bb.25:                               ;   in Loop: Header=BB149_22 Depth=3
	s_andn2_saveexec_b64 s[34:35], s[34:35]
	s_cbranch_execz .LBB149_29
; %bb.26:                               ;   in Loop: Header=BB149_22 Depth=3
	v_pk_mov_b32 v[12:13], s[78:79], s[78:79] op_sel:[0,1]
	ds_cmpst_rtn_b64 v[12:13], v24, v[12:13], v[8:9]
	s_mov_b64 s[36:37], -1
	s_waitcnt lgkmcnt(0)
	v_cmp_eq_u64_e32 vcc, s[78:79], v[12:13]
	s_and_saveexec_b64 s[38:39], vcc
	s_cbranch_execz .LBB149_28
; %bb.27:                               ;   in Loop: Header=BB149_22 Depth=3
	v_add_u32_e32 v12, 0x40000, v24
	ds_add_f32 v12, v22
	ds_add_f32 v12, v23 offset:4
	s_xor_b64 s[36:37], exec, -1
.LBB149_28:                             ;   in Loop: Header=BB149_22 Depth=3
	s_or_b64 exec, exec, s[38:39]
	s_andn2_b64 s[30:31], s[30:31], exec
	s_and_b64 s[36:37], s[36:37], exec
	s_or_b64 s[30:31], s[30:31], s[36:37]
.LBB149_29:                             ;   in Loop: Header=BB149_22 Depth=3
	s_or_b64 exec, exec, s[34:35]
	s_and_b64 s[30:31], s[30:31], exec
                                        ; implicit-def: $vgpr24
.LBB149_30:                             ;   in Loop: Header=BB149_22 Depth=3
	s_andn2_saveexec_b64 s[26:27], s[26:27]
	s_cbranch_execz .LBB149_21
; %bb.31:                               ;   in Loop: Header=BB149_22 Depth=3
	v_add_u32_e32 v12, 0x40000, v24
	ds_add_f32 v12, v22
	ds_add_f32 v12, v23 offset:4
	s_andn2_b64 s[30:31], s[30:31], exec
	s_branch .LBB149_21
.LBB149_32:
	s_or_b64 exec, exec, s[4:5]
.LBB149_33:
	s_andn2_b64 vcc, exec, s[28:29]
	s_cbranch_vccnz .LBB149_50
; %bb.34:
	s_waitcnt lgkmcnt(0)
	s_lshl_b64 s[0:1], s[56:57], 3
	s_add_u32 s0, s14, s0
	s_addc_u32 s1, s15, s1
	s_load_dwordx4 s[8:11], s[0:1], 0x0
	v_subrev_co_u32_e32 v2, vcc, s47, v0
	v_subb_co_u32_e64 v3, s[2:3], 0, 0, vcc
	s_waitcnt lgkmcnt(0)
	s_sub_u32 s0, s10, s47
	v_mov_b32_e32 v4, s9
	v_add_co_u32_e32 v2, vcc, s8, v2
	s_subb_u32 s1, s11, 0
	v_addc_co_u32_e32 v3, vcc, v4, v3, vcc
	s_mov_b32 s6, 0
	v_cmp_gt_i64_e32 vcc, s[0:1], v[2:3]
	s_and_saveexec_b64 s[2:3], vcc
	s_cbranch_execz .LBB149_49
; %bb.35:
	s_mov_b32 s18, s47
	s_mov_b64 s[4:5], 0
	v_mov_b32_e32 v7, s49
	v_mov_b32_e32 v10, s6
	;; [unrolled: 1-line block ×3, first 2 shown]
	s_movk_i32 s19, 0x89
	s_branch .LBB149_37
.LBB149_36:                             ;   in Loop: Header=BB149_37 Depth=1
	s_or_b64 exec, exec, s[6:7]
	v_add_co_u32_e32 v2, vcc, 0x400, v2
	v_addc_co_u32_e32 v3, vcc, 0, v3, vcc
	v_cmp_le_i64_e32 vcc, s[0:1], v[2:3]
	s_or_b64 s[4:5], vcc, s[4:5]
	s_andn2_b64 exec, exec, s[4:5]
	s_cbranch_execz .LBB149_49
.LBB149_37:                             ; =>This Loop Header: Depth=1
                                        ;     Child Loop BB149_39 Depth 2
	v_lshlrev_b64 v[4:5], 3, v[2:3]
	v_add_co_u32_e32 v8, vcc, s48, v4
	v_addc_co_u32_e32 v9, vcc, v7, v5, vcc
	v_add_co_u32_e32 v4, vcc, s50, v4
	global_load_dwordx2 v[8:9], v[8:9], off
	v_addc_co_u32_e32 v5, vcc, v11, v5, vcc
	global_load_dwordx2 v[16:17], v[4:5], off
	s_mov_b64 s[6:7], 0
	s_waitcnt vmcnt(1)
	v_subrev_co_u32_e32 v4, vcc, s18, v8
	v_mul_lo_u32 v6, v4, s19
	s_waitcnt vmcnt(0)
	v_mul_f32_e64 v12, v17, -s40
	v_mul_f32_e32 v13, s33, v17
	v_subb_co_u32_e32 v5, vcc, v9, v10, vcc
	v_fmac_f32_e32 v12, s33, v16
	v_fmac_f32_e32 v13, s40, v16
	v_and_b32_e32 v6, 0x7fff, v6
	s_branch .LBB149_39
.LBB149_38:                             ;   in Loop: Header=BB149_39 Depth=2
	s_or_b64 exec, exec, s[8:9]
	s_xor_b64 s[8:9], s[10:11], -1
	s_and_b64 s[8:9], exec, s[8:9]
	s_or_b64 s[6:7], s[8:9], s[6:7]
	s_andn2_b64 exec, exec, s[6:7]
	s_cbranch_execz .LBB149_36
.LBB149_39:                             ;   Parent Loop BB149_37 Depth=1
                                        ; =>  This Inner Loop Header: Depth=2
	v_lshl_add_u32 v15, v6, 3, 0
	ds_read_b64 v[8:9], v15
                                        ; implicit-def: $sgpr10_sgpr11
	s_waitcnt lgkmcnt(0)
	v_cmp_ne_u64_e32 vcc, v[8:9], v[4:5]
	s_and_saveexec_b64 s[8:9], vcc
	s_xor_b64 s[8:9], exec, s[8:9]
	s_cbranch_execz .LBB149_47
; %bb.40:                               ;   in Loop: Header=BB149_39 Depth=2
	v_cmp_ne_u64_e32 vcc, s[78:79], v[8:9]
                                        ; implicit-def: $sgpr10_sgpr11
	s_and_saveexec_b64 s[12:13], vcc
	s_xor_b64 s[12:13], exec, s[12:13]
; %bb.41:                               ;   in Loop: Header=BB149_39 Depth=2
	v_add_u32_e32 v6, 1, v6
	v_and_b32_e32 v6, 0x7fff, v6
	s_mov_b64 s[10:11], -1
                                        ; implicit-def: $vgpr15
; %bb.42:                               ;   in Loop: Header=BB149_39 Depth=2
	s_andn2_saveexec_b64 s[12:13], s[12:13]
	s_cbranch_execz .LBB149_46
; %bb.43:                               ;   in Loop: Header=BB149_39 Depth=2
	v_pk_mov_b32 v[8:9], s[78:79], s[78:79] op_sel:[0,1]
	ds_cmpst_rtn_b64 v[8:9], v15, v[8:9], v[4:5]
	s_mov_b64 s[14:15], -1
	s_waitcnt lgkmcnt(0)
	v_cmp_eq_u64_e32 vcc, s[78:79], v[8:9]
	s_and_saveexec_b64 s[16:17], vcc
	s_cbranch_execz .LBB149_45
; %bb.44:                               ;   in Loop: Header=BB149_39 Depth=2
	v_add_u32_e32 v8, 0x40000, v15
	ds_add_f32 v8, v12
	ds_add_f32 v8, v13 offset:4
	s_xor_b64 s[14:15], exec, -1
.LBB149_45:                             ;   in Loop: Header=BB149_39 Depth=2
	s_or_b64 exec, exec, s[16:17]
	s_andn2_b64 s[10:11], s[10:11], exec
	s_and_b64 s[14:15], s[14:15], exec
	s_or_b64 s[10:11], s[10:11], s[14:15]
.LBB149_46:                             ;   in Loop: Header=BB149_39 Depth=2
	s_or_b64 exec, exec, s[12:13]
	s_and_b64 s[10:11], s[10:11], exec
                                        ; implicit-def: $vgpr15
.LBB149_47:                             ;   in Loop: Header=BB149_39 Depth=2
	s_andn2_saveexec_b64 s[8:9], s[8:9]
	s_cbranch_execz .LBB149_38
; %bb.48:                               ;   in Loop: Header=BB149_39 Depth=2
	v_add_u32_e32 v8, 0x40000, v15
	ds_add_f32 v8, v12
	ds_add_f32 v8, v13 offset:4
	s_andn2_b64 s[10:11], s[10:11], exec
	s_branch .LBB149_38
.LBB149_49:
	s_or_b64 exec, exec, s[2:3]
.LBB149_50:
	s_waitcnt lgkmcnt(0)
	v_writelane_b32 v26, s56, 2
	v_writelane_b32 v26, s57, 3
	;; [unrolled: 1-line block ×6, first 2 shown]
	s_movk_i32 s33, 0x25f
	v_writelane_b32 v26, s48, 8
	v_cmp_lt_u32_e64 s[34:35], s33, v0
	s_movk_i32 s33, 0x27f
	v_writelane_b32 v26, s49, 9
	v_cmp_lt_u32_e64 s[36:37], s33, v0
	s_movk_i32 s33, 0x29f
	v_writelane_b32 v26, s50, 10
	v_cmp_lt_u32_e64 s[38:39], s33, v0
	s_movk_i32 s33, 0x2bf
	v_writelane_b32 v26, s51, 11
	v_cmp_lt_u32_e64 s[40:41], s33, v0
	s_movk_i32 s33, 0x2df
	v_writelane_b32 v26, s52, 12
	v_cmp_lt_u32_e64 s[42:43], s33, v0
	s_movk_i32 s33, 0x2ff
	v_writelane_b32 v26, s53, 13
	v_cmp_lt_u32_e64 s[44:45], s33, v0
	s_movk_i32 s33, 0x31f
	v_writelane_b32 v26, s54, 14
	v_cmp_lt_u32_e64 s[46:47], s33, v0
	s_movk_i32 s33, 0x33f
	v_writelane_b32 v26, s55, 15
	v_cmp_lt_u32_e64 s[48:49], s33, v0
	s_movk_i32 s33, 0x35f
	v_cmp_lt_u32_e64 s[50:51], s33, v0
	s_movk_i32 s33, 0x37f
	v_cmp_lt_u32_e64 s[52:53], s33, v0
	;; [unrolled: 2-line block ×3, first 2 shown]
	s_movk_i32 s33, 0x3bf
	s_add_i32 s0, 0, 0x80000
	v_cmp_lt_u32_e64 s[56:57], s33, v0
	s_movk_i32 s33, 0x3df
	v_writelane_b32 v26, s0, 16
	v_cmp_lt_u32_e64 s[58:59], s33, v0
	s_add_i32 s33, 0, 0x80008
	v_writelane_b32 v26, s33, 17
	s_add_i32 s33, 0, 0x80010
	v_mbcnt_lo_u32_b32 v2, -1, 0
	v_writelane_b32 v26, s33, 18
	s_add_i32 s33, 0, 0x80018
	v_mbcnt_hi_u32_b32 v2, -1, v2
	v_writelane_b32 v26, s33, 19
	s_add_i32 s33, 0, 0x80020
	v_sub_u32_e32 v2, 63, v2
	v_writelane_b32 v26, s33, 20
	s_add_i32 s33, 0, 0x80028
	v_lshrrev_b64 v[4:5], v2, -1
	v_lshrrev_b32_e32 v2, 2, v0
	v_writelane_b32 v26, s33, 21
	s_add_i32 s33, 0, 0x80030
	v_and_b32_e32 v2, 0xf8, v2
	v_writelane_b32 v26, s33, 22
	s_add_i32 s33, 0, 0x80038
	v_add_u32_e32 v15, s0, v2
	s_movk_i32 s0, 0x3ff
	v_writelane_b32 v26, s33, 23
	s_add_i32 s33, 0, 0x80040
	v_cmp_eq_u32_e32 vcc, s0, v0
	s_movk_i32 s0, 0x5f
	s_movk_i32 s2, 0x7f
	;; [unrolled: 1-line block ×16, first 2 shown]
	v_writelane_b32 v26, s33, 24
	s_add_i32 s33, 0, 0x80048
	v_mov_b32_e32 v3, 0
	v_cmp_lt_u32_e64 s[0:1], s0, v0
	v_cmp_lt_u32_e64 s[2:3], s2, v0
	;; [unrolled: 1-line block ×16, first 2 shown]
	v_pk_mov_b32 v[6:7], 0, 0
	v_writelane_b32 v26, s33, 25
	s_add_i32 s90, 0, 0x80050
	s_add_i32 s91, 0, 0x80058
	;; [unrolled: 1-line block ×22, first 2 shown]
	s_movk_i32 s87, 0x7bff
	v_cmp_lt_u32_e64 s[60:61], 31, v0
	v_cmp_lt_u32_e64 s[62:63], 63, v0
	s_mov_b64 s[66:67], 0
	s_barrier
	s_branch .LBB149_52
.LBB149_51:                             ;   in Loop: Header=BB149_52 Depth=1
	s_or_b64 exec, exec, s[64:65]
	v_mov_b32_e32 v2, s86
	s_waitcnt lgkmcnt(0)
	s_barrier
	ds_read_b64 v[8:9], v2
	v_add_u32_e32 v1, 0x400, v1
	v_add_u32_e32 v14, 0x2000, v14
	s_waitcnt lgkmcnt(0)
	v_add_co_u32_e64 v6, s[64:65], v8, v6
	v_addc_co_u32_e64 v7, s[64:65], v9, v7, s[64:65]
	v_cmp_lt_u32_e64 s[64:65], s87, v1
	s_or_b64 s[66:67], s[64:65], s[66:67]
	s_andn2_b64 exec, exec, s[66:67]
	s_cbranch_execz .LBB149_118
.LBB149_52:                             ; =>This Inner Loop Header: Depth=1
	ds_read_b64 v[8:9], v14
	v_add_u32_e32 v2, 0x40000, v14
	ds_read2_b32 v[10:11], v2 offset1:1
	s_waitcnt lgkmcnt(0)
	s_barrier
	v_cmp_gt_i64_e64 s[64:65], s[78:79], v[8:9]
	v_and_b32_e32 v13, s64, v4
	s_bcnt1_i32_b64 s72, s[64:65]
	v_and_b32_e32 v12, s65, v5
	v_bcnt_u32_b32 v13, v13, 0
	v_mov_b32_e32 v2, s72
	v_bcnt_u32_b32 v12, v12, v13
	ds_write_b64 v15, v[2:3]
	s_waitcnt lgkmcnt(0)
	s_barrier
	s_and_saveexec_b64 s[72:73], s[60:61]
	s_cbranch_execnz .LBB149_85
; %bb.53:                               ;   in Loop: Header=BB149_52 Depth=1
	s_or_b64 exec, exec, s[72:73]
	s_and_saveexec_b64 s[72:73], s[62:63]
	s_cbranch_execnz .LBB149_86
.LBB149_54:                             ;   in Loop: Header=BB149_52 Depth=1
	s_or_b64 exec, exec, s[72:73]
	s_and_saveexec_b64 s[72:73], s[0:1]
	s_cbranch_execnz .LBB149_87
.LBB149_55:                             ;   in Loop: Header=BB149_52 Depth=1
	s_or_b64 exec, exec, s[72:73]
	s_and_saveexec_b64 s[72:73], s[2:3]
	s_cbranch_execnz .LBB149_88
.LBB149_56:                             ;   in Loop: Header=BB149_52 Depth=1
	s_or_b64 exec, exec, s[72:73]
	s_and_saveexec_b64 s[72:73], s[4:5]
	s_cbranch_execnz .LBB149_89
.LBB149_57:                             ;   in Loop: Header=BB149_52 Depth=1
	s_or_b64 exec, exec, s[72:73]
	s_and_saveexec_b64 s[72:73], s[6:7]
	s_cbranch_execnz .LBB149_90
.LBB149_58:                             ;   in Loop: Header=BB149_52 Depth=1
	s_or_b64 exec, exec, s[72:73]
	s_and_saveexec_b64 s[72:73], s[8:9]
	s_cbranch_execnz .LBB149_91
.LBB149_59:                             ;   in Loop: Header=BB149_52 Depth=1
	s_or_b64 exec, exec, s[72:73]
	s_and_saveexec_b64 s[72:73], s[10:11]
	s_cbranch_execnz .LBB149_92
.LBB149_60:                             ;   in Loop: Header=BB149_52 Depth=1
	s_or_b64 exec, exec, s[72:73]
	s_and_saveexec_b64 s[72:73], s[12:13]
	s_cbranch_execnz .LBB149_93
.LBB149_61:                             ;   in Loop: Header=BB149_52 Depth=1
	s_or_b64 exec, exec, s[72:73]
	s_and_saveexec_b64 s[72:73], s[14:15]
	s_cbranch_execnz .LBB149_94
.LBB149_62:                             ;   in Loop: Header=BB149_52 Depth=1
	s_or_b64 exec, exec, s[72:73]
	s_and_saveexec_b64 s[72:73], s[16:17]
	s_cbranch_execnz .LBB149_95
.LBB149_63:                             ;   in Loop: Header=BB149_52 Depth=1
	s_or_b64 exec, exec, s[72:73]
	s_and_saveexec_b64 s[72:73], s[18:19]
	s_cbranch_execnz .LBB149_96
.LBB149_64:                             ;   in Loop: Header=BB149_52 Depth=1
	s_or_b64 exec, exec, s[72:73]
	s_and_saveexec_b64 s[72:73], s[20:21]
	s_cbranch_execnz .LBB149_97
.LBB149_65:                             ;   in Loop: Header=BB149_52 Depth=1
	s_or_b64 exec, exec, s[72:73]
	s_and_saveexec_b64 s[72:73], s[22:23]
	s_cbranch_execnz .LBB149_98
.LBB149_66:                             ;   in Loop: Header=BB149_52 Depth=1
	s_or_b64 exec, exec, s[72:73]
	s_and_saveexec_b64 s[72:73], s[24:25]
	s_cbranch_execnz .LBB149_99
.LBB149_67:                             ;   in Loop: Header=BB149_52 Depth=1
	s_or_b64 exec, exec, s[72:73]
	s_and_saveexec_b64 s[72:73], s[26:27]
	s_cbranch_execnz .LBB149_100
.LBB149_68:                             ;   in Loop: Header=BB149_52 Depth=1
	s_or_b64 exec, exec, s[72:73]
	s_and_saveexec_b64 s[72:73], s[28:29]
	s_cbranch_execnz .LBB149_101
.LBB149_69:                             ;   in Loop: Header=BB149_52 Depth=1
	s_or_b64 exec, exec, s[72:73]
	s_and_saveexec_b64 s[72:73], s[30:31]
	s_cbranch_execnz .LBB149_102
.LBB149_70:                             ;   in Loop: Header=BB149_52 Depth=1
	s_or_b64 exec, exec, s[72:73]
	s_and_saveexec_b64 s[72:73], s[34:35]
	s_cbranch_execnz .LBB149_103
.LBB149_71:                             ;   in Loop: Header=BB149_52 Depth=1
	s_or_b64 exec, exec, s[72:73]
	s_and_saveexec_b64 s[72:73], s[36:37]
	s_cbranch_execnz .LBB149_104
.LBB149_72:                             ;   in Loop: Header=BB149_52 Depth=1
	s_or_b64 exec, exec, s[72:73]
	s_and_saveexec_b64 s[72:73], s[38:39]
	s_cbranch_execnz .LBB149_105
.LBB149_73:                             ;   in Loop: Header=BB149_52 Depth=1
	s_or_b64 exec, exec, s[72:73]
	s_and_saveexec_b64 s[72:73], s[40:41]
	s_cbranch_execnz .LBB149_106
.LBB149_74:                             ;   in Loop: Header=BB149_52 Depth=1
	s_or_b64 exec, exec, s[72:73]
	s_and_saveexec_b64 s[72:73], s[42:43]
	s_cbranch_execnz .LBB149_107
.LBB149_75:                             ;   in Loop: Header=BB149_52 Depth=1
	s_or_b64 exec, exec, s[72:73]
	s_and_saveexec_b64 s[72:73], s[44:45]
	s_cbranch_execnz .LBB149_108
.LBB149_76:                             ;   in Loop: Header=BB149_52 Depth=1
	s_or_b64 exec, exec, s[72:73]
	s_and_saveexec_b64 s[72:73], s[46:47]
	s_cbranch_execnz .LBB149_109
.LBB149_77:                             ;   in Loop: Header=BB149_52 Depth=1
	s_or_b64 exec, exec, s[72:73]
	s_and_saveexec_b64 s[72:73], s[48:49]
	s_cbranch_execnz .LBB149_110
.LBB149_78:                             ;   in Loop: Header=BB149_52 Depth=1
	s_or_b64 exec, exec, s[72:73]
	s_and_saveexec_b64 s[72:73], s[50:51]
	s_cbranch_execnz .LBB149_111
.LBB149_79:                             ;   in Loop: Header=BB149_52 Depth=1
	s_or_b64 exec, exec, s[72:73]
	s_and_saveexec_b64 s[72:73], s[52:53]
	s_cbranch_execnz .LBB149_112
.LBB149_80:                             ;   in Loop: Header=BB149_52 Depth=1
	s_or_b64 exec, exec, s[72:73]
	s_and_saveexec_b64 s[72:73], s[54:55]
	s_cbranch_execnz .LBB149_113
.LBB149_81:                             ;   in Loop: Header=BB149_52 Depth=1
	s_or_b64 exec, exec, s[72:73]
	s_and_saveexec_b64 s[72:73], s[56:57]
	s_cbranch_execnz .LBB149_114
.LBB149_82:                             ;   in Loop: Header=BB149_52 Depth=1
	s_or_b64 exec, exec, s[72:73]
	s_and_saveexec_b64 s[72:73], s[58:59]
	s_cbranch_execnz .LBB149_115
.LBB149_83:                             ;   in Loop: Header=BB149_52 Depth=1
	s_or_b64 exec, exec, s[72:73]
	v_ashrrev_i32_e32 v13, 31, v12
	s_and_saveexec_b64 s[72:73], s[64:65]
	s_cbranch_execnz .LBB149_116
.LBB149_84:                             ;   in Loop: Header=BB149_52 Depth=1
	s_or_b64 exec, exec, s[72:73]
	s_and_saveexec_b64 s[64:65], vcc
	s_cbranch_execz .LBB149_51
	s_branch .LBB149_117
.LBB149_85:                             ;   in Loop: Header=BB149_52 Depth=1
	v_readlane_b32 s88, v26, 16
	v_mov_b32_e32 v2, s88
	ds_read_b32 v2, v2
	s_waitcnt lgkmcnt(0)
	v_add_u32_e32 v12, v2, v12
	s_or_b64 exec, exec, s[72:73]
	s_and_saveexec_b64 s[72:73], s[62:63]
	s_cbranch_execz .LBB149_54
.LBB149_86:                             ;   in Loop: Header=BB149_52 Depth=1
	v_readlane_b32 s88, v26, 17
	v_mov_b32_e32 v2, s88
	ds_read_b32 v2, v2
	s_waitcnt lgkmcnt(0)
	v_add_u32_e32 v12, v12, v2
	s_or_b64 exec, exec, s[72:73]
	s_and_saveexec_b64 s[72:73], s[0:1]
	s_cbranch_execz .LBB149_55
.LBB149_87:                             ;   in Loop: Header=BB149_52 Depth=1
	v_readlane_b32 s88, v26, 18
	v_mov_b32_e32 v2, s88
	ds_read_b32 v2, v2
	s_waitcnt lgkmcnt(0)
	v_add_u32_e32 v12, v12, v2
	s_or_b64 exec, exec, s[72:73]
	s_and_saveexec_b64 s[72:73], s[2:3]
	s_cbranch_execz .LBB149_56
.LBB149_88:                             ;   in Loop: Header=BB149_52 Depth=1
	v_readlane_b32 s88, v26, 19
	v_mov_b32_e32 v2, s88
	ds_read_b32 v2, v2
	s_waitcnt lgkmcnt(0)
	v_add_u32_e32 v12, v12, v2
	s_or_b64 exec, exec, s[72:73]
	s_and_saveexec_b64 s[72:73], s[4:5]
	s_cbranch_execz .LBB149_57
.LBB149_89:                             ;   in Loop: Header=BB149_52 Depth=1
	v_readlane_b32 s88, v26, 20
	v_mov_b32_e32 v2, s88
	ds_read_b32 v2, v2
	s_waitcnt lgkmcnt(0)
	v_add_u32_e32 v12, v12, v2
	s_or_b64 exec, exec, s[72:73]
	s_and_saveexec_b64 s[72:73], s[6:7]
	s_cbranch_execz .LBB149_58
.LBB149_90:                             ;   in Loop: Header=BB149_52 Depth=1
	v_readlane_b32 s88, v26, 21
	v_mov_b32_e32 v2, s88
	ds_read_b32 v2, v2
	s_waitcnt lgkmcnt(0)
	v_add_u32_e32 v12, v12, v2
	s_or_b64 exec, exec, s[72:73]
	s_and_saveexec_b64 s[72:73], s[8:9]
	s_cbranch_execz .LBB149_59
.LBB149_91:                             ;   in Loop: Header=BB149_52 Depth=1
	v_readlane_b32 s88, v26, 22
	v_mov_b32_e32 v2, s88
	ds_read_b32 v2, v2
	s_waitcnt lgkmcnt(0)
	v_add_u32_e32 v12, v12, v2
	s_or_b64 exec, exec, s[72:73]
	s_and_saveexec_b64 s[72:73], s[10:11]
	s_cbranch_execz .LBB149_60
.LBB149_92:                             ;   in Loop: Header=BB149_52 Depth=1
	v_readlane_b32 s88, v26, 23
	v_mov_b32_e32 v2, s88
	ds_read_b32 v2, v2
	s_waitcnt lgkmcnt(0)
	v_add_u32_e32 v12, v12, v2
	s_or_b64 exec, exec, s[72:73]
	s_and_saveexec_b64 s[72:73], s[12:13]
	s_cbranch_execz .LBB149_61
.LBB149_93:                             ;   in Loop: Header=BB149_52 Depth=1
	v_readlane_b32 s88, v26, 24
	v_mov_b32_e32 v2, s88
	ds_read_b32 v2, v2
	s_waitcnt lgkmcnt(0)
	v_add_u32_e32 v12, v12, v2
	s_or_b64 exec, exec, s[72:73]
	s_and_saveexec_b64 s[72:73], s[14:15]
	s_cbranch_execz .LBB149_62
.LBB149_94:                             ;   in Loop: Header=BB149_52 Depth=1
	v_readlane_b32 s88, v26, 25
	v_mov_b32_e32 v2, s88
	ds_read_b32 v2, v2
	s_waitcnt lgkmcnt(0)
	v_add_u32_e32 v12, v12, v2
	s_or_b64 exec, exec, s[72:73]
	s_and_saveexec_b64 s[72:73], s[16:17]
	s_cbranch_execz .LBB149_63
.LBB149_95:                             ;   in Loop: Header=BB149_52 Depth=1
	v_mov_b32_e32 v2, s90
	ds_read_b32 v2, v2
	s_waitcnt lgkmcnt(0)
	v_add_u32_e32 v12, v12, v2
	s_or_b64 exec, exec, s[72:73]
	s_and_saveexec_b64 s[72:73], s[18:19]
	s_cbranch_execz .LBB149_64
.LBB149_96:                             ;   in Loop: Header=BB149_52 Depth=1
	v_mov_b32_e32 v2, s91
	ds_read_b32 v2, v2
	s_waitcnt lgkmcnt(0)
	v_add_u32_e32 v12, v12, v2
	s_or_b64 exec, exec, s[72:73]
	s_and_saveexec_b64 s[72:73], s[20:21]
	s_cbranch_execz .LBB149_65
.LBB149_97:                             ;   in Loop: Header=BB149_52 Depth=1
	v_mov_b32_e32 v2, s92
	ds_read_b32 v2, v2
	s_waitcnt lgkmcnt(0)
	v_add_u32_e32 v12, v12, v2
	s_or_b64 exec, exec, s[72:73]
	s_and_saveexec_b64 s[72:73], s[22:23]
	s_cbranch_execz .LBB149_66
.LBB149_98:                             ;   in Loop: Header=BB149_52 Depth=1
	v_mov_b32_e32 v2, s93
	ds_read_b32 v2, v2
	s_waitcnt lgkmcnt(0)
	v_add_u32_e32 v12, v12, v2
	s_or_b64 exec, exec, s[72:73]
	s_and_saveexec_b64 s[72:73], s[24:25]
	s_cbranch_execz .LBB149_67
.LBB149_99:                             ;   in Loop: Header=BB149_52 Depth=1
	v_mov_b32_e32 v2, s94
	ds_read_b32 v2, v2
	s_waitcnt lgkmcnt(0)
	v_add_u32_e32 v12, v12, v2
	s_or_b64 exec, exec, s[72:73]
	s_and_saveexec_b64 s[72:73], s[26:27]
	s_cbranch_execz .LBB149_68
.LBB149_100:                            ;   in Loop: Header=BB149_52 Depth=1
	v_mov_b32_e32 v2, s95
	ds_read_b32 v2, v2
	s_waitcnt lgkmcnt(0)
	v_add_u32_e32 v12, v12, v2
	s_or_b64 exec, exec, s[72:73]
	s_and_saveexec_b64 s[72:73], s[28:29]
	s_cbranch_execz .LBB149_69
.LBB149_101:                            ;   in Loop: Header=BB149_52 Depth=1
	v_mov_b32_e32 v2, s80
	ds_read_b32 v2, v2
	s_waitcnt lgkmcnt(0)
	v_add_u32_e32 v12, v12, v2
	s_or_b64 exec, exec, s[72:73]
	s_and_saveexec_b64 s[72:73], s[30:31]
	s_cbranch_execz .LBB149_70
.LBB149_102:                            ;   in Loop: Header=BB149_52 Depth=1
	v_mov_b32_e32 v2, s81
	ds_read_b32 v2, v2
	s_waitcnt lgkmcnt(0)
	v_add_u32_e32 v12, v12, v2
	s_or_b64 exec, exec, s[72:73]
	s_and_saveexec_b64 s[72:73], s[34:35]
	s_cbranch_execz .LBB149_71
.LBB149_103:                            ;   in Loop: Header=BB149_52 Depth=1
	v_mov_b32_e32 v2, s74
	ds_read_b32 v2, v2
	s_waitcnt lgkmcnt(0)
	v_add_u32_e32 v12, v12, v2
	s_or_b64 exec, exec, s[72:73]
	s_and_saveexec_b64 s[72:73], s[36:37]
	s_cbranch_execz .LBB149_72
.LBB149_104:                            ;   in Loop: Header=BB149_52 Depth=1
	v_mov_b32_e32 v2, s76
	ds_read_b32 v2, v2
	s_waitcnt lgkmcnt(0)
	v_add_u32_e32 v12, v12, v2
	s_or_b64 exec, exec, s[72:73]
	s_and_saveexec_b64 s[72:73], s[38:39]
	s_cbranch_execz .LBB149_73
.LBB149_105:                            ;   in Loop: Header=BB149_52 Depth=1
	v_mov_b32_e32 v2, s77
	ds_read_b32 v2, v2
	s_waitcnt lgkmcnt(0)
	v_add_u32_e32 v12, v12, v2
	s_or_b64 exec, exec, s[72:73]
	s_and_saveexec_b64 s[72:73], s[40:41]
	s_cbranch_execz .LBB149_74
.LBB149_106:                            ;   in Loop: Header=BB149_52 Depth=1
	v_mov_b32_e32 v2, s68
	ds_read_b32 v2, v2
	s_waitcnt lgkmcnt(0)
	v_add_u32_e32 v12, v12, v2
	s_or_b64 exec, exec, s[72:73]
	s_and_saveexec_b64 s[72:73], s[42:43]
	s_cbranch_execz .LBB149_75
.LBB149_107:                            ;   in Loop: Header=BB149_52 Depth=1
	v_mov_b32_e32 v2, s69
	ds_read_b32 v2, v2
	s_waitcnt lgkmcnt(0)
	v_add_u32_e32 v12, v12, v2
	s_or_b64 exec, exec, s[72:73]
	s_and_saveexec_b64 s[72:73], s[44:45]
	s_cbranch_execz .LBB149_76
.LBB149_108:                            ;   in Loop: Header=BB149_52 Depth=1
	v_mov_b32_e32 v2, s70
	ds_read_b32 v2, v2
	s_waitcnt lgkmcnt(0)
	v_add_u32_e32 v12, v12, v2
	s_or_b64 exec, exec, s[72:73]
	s_and_saveexec_b64 s[72:73], s[46:47]
	s_cbranch_execz .LBB149_77
.LBB149_109:                            ;   in Loop: Header=BB149_52 Depth=1
	v_mov_b32_e32 v2, s71
	ds_read_b32 v2, v2
	s_waitcnt lgkmcnt(0)
	v_add_u32_e32 v12, v12, v2
	s_or_b64 exec, exec, s[72:73]
	s_and_saveexec_b64 s[72:73], s[48:49]
	s_cbranch_execz .LBB149_78
.LBB149_110:                            ;   in Loop: Header=BB149_52 Depth=1
	v_mov_b32_e32 v2, s33
	ds_read_b32 v2, v2
	s_waitcnt lgkmcnt(0)
	v_add_u32_e32 v12, v12, v2
	s_or_b64 exec, exec, s[72:73]
	s_and_saveexec_b64 s[72:73], s[50:51]
	s_cbranch_execz .LBB149_79
.LBB149_111:                            ;   in Loop: Header=BB149_52 Depth=1
	v_mov_b32_e32 v2, s75
	ds_read_b32 v2, v2
	s_waitcnt lgkmcnt(0)
	v_add_u32_e32 v12, v12, v2
	s_or_b64 exec, exec, s[72:73]
	s_and_saveexec_b64 s[72:73], s[52:53]
	s_cbranch_execz .LBB149_80
.LBB149_112:                            ;   in Loop: Header=BB149_52 Depth=1
	v_mov_b32_e32 v2, s82
	ds_read_b32 v2, v2
	s_waitcnt lgkmcnt(0)
	v_add_u32_e32 v12, v12, v2
	s_or_b64 exec, exec, s[72:73]
	s_and_saveexec_b64 s[72:73], s[54:55]
	s_cbranch_execz .LBB149_81
.LBB149_113:                            ;   in Loop: Header=BB149_52 Depth=1
	v_mov_b32_e32 v2, s83
	ds_read_b32 v2, v2
	s_waitcnt lgkmcnt(0)
	v_add_u32_e32 v12, v12, v2
	s_or_b64 exec, exec, s[72:73]
	s_and_saveexec_b64 s[72:73], s[56:57]
	s_cbranch_execz .LBB149_82
.LBB149_114:                            ;   in Loop: Header=BB149_52 Depth=1
	v_mov_b32_e32 v2, s84
	ds_read_b32 v2, v2
	s_waitcnt lgkmcnt(0)
	v_add_u32_e32 v12, v12, v2
	s_or_b64 exec, exec, s[72:73]
	s_and_saveexec_b64 s[72:73], s[58:59]
	s_cbranch_execz .LBB149_83
.LBB149_115:                            ;   in Loop: Header=BB149_52 Depth=1
	v_mov_b32_e32 v2, s85
	ds_read_b32 v2, v2
	s_waitcnt lgkmcnt(0)
	v_add_u32_e32 v12, v12, v2
	s_or_b64 exec, exec, s[72:73]
	v_ashrrev_i32_e32 v13, 31, v12
	s_and_saveexec_b64 s[72:73], s[64:65]
	s_cbranch_execz .LBB149_84
.LBB149_116:                            ;   in Loop: Header=BB149_52 Depth=1
	v_add3_u32 v2, v6, -1, v12
	v_lshl_add_u32 v2, v2, 3, 0
	v_add_u32_e32 v16, 0x40000, v2
	ds_write_b64 v2, v[8:9]
	ds_write2_b32 v16, v10, v11 offset1:1
	s_or_b64 exec, exec, s[72:73]
	s_and_saveexec_b64 s[64:65], vcc
	s_cbranch_execz .LBB149_51
.LBB149_117:                            ;   in Loop: Header=BB149_52 Depth=1
	v_mov_b32_e32 v2, s86
	ds_write_b64 v2, v[12:13]
	s_branch .LBB149_51
.LBB149_118:
	s_or_b64 exec, exec, s[66:67]
	v_readlane_b32 s0, v26, 2
	v_readlane_b32 s1, v26, 3
	;; [unrolled: 1-line block ×3, first 2 shown]
	s_lshl_b64 s[0:1], s[0:1], 3
	v_readlane_b32 s16, v26, 12
	v_readlane_b32 s17, v26, 13
	s_add_u32 s0, s16, s0
	s_addc_u32 s1, s17, s1
	s_load_dwordx4 s[0:3], s[0:1], 0x0
	v_mov_b32_e32 v1, 0
	v_readlane_b32 s18, v26, 14
	v_readlane_b32 s19, v26, 15
	;; [unrolled: 1-line block ×3, first 2 shown]
	s_waitcnt lgkmcnt(0)
	s_sub_u32 s4, s2, s0
	s_subb_u32 s5, s3, s1
	v_cmp_gt_i64_e32 vcc, s[4:5], v[0:1]
	v_readlane_b32 s14, v26, 10
	v_readlane_b32 s15, v26, 11
	s_and_saveexec_b64 s[6:7], vcc
	v_readlane_b32 s20, v26, 4
	v_readlane_b32 s22, v26, 6
	;; [unrolled: 1-line block ×4, first 2 shown]
	s_cbranch_execz .LBB149_128
; %bb.119:
	s_sub_u32 s6, s0, s22
	s_subb_u32 s7, s1, 0
	s_and_b32 s8, s4, 7
	s_sub_u32 s0, s0, s2
	s_mov_b32 s16, 0
	s_subb_u32 s1, s1, s3
	s_mov_b32 s9, s16
	s_and_b32 s2, s4, -8
	v_cmp_lt_u64_e64 s[0:1], s[0:1], -7
	s_cmp_lg_u64 s[8:9], 0
	v_cndmask_b32_e64 v2, 0, 1, s[0:1]
	s_mov_b32 s3, s5
	s_mov_b64 s[10:11], 0
	s_cselect_b64 s[12:13], -1, 0
	v_cmp_ne_u32_e64 s[0:1], 1, v2
	s_branch .LBB149_121
.LBB149_120:                            ;   in Loop: Header=BB149_121 Depth=1
	v_mov_b32_e32 v8, s16
	s_waitcnt lgkmcnt(1)
	v_add_co_u32_e32 v4, vcc, s22, v4
	v_addc_co_u32_e32 v5, vcc, v5, v8, vcc
	v_lshlrev_b64 v[6:7], 3, v[6:7]
	v_mov_b32_e32 v9, s19
	v_add_co_u32_e32 v8, vcc, s18, v6
	v_readlane_b32 s14, v26, 0
	v_addc_co_u32_e32 v9, vcc, v9, v7, vcc
	v_readlane_b32 s15, v26, 1
	global_store_dwordx2 v[8:9], v[4:5], off
	v_mov_b32_e32 v5, s15
	v_add_co_u32_e32 v4, vcc, s14, v6
	v_addc_co_u32_e32 v5, vcc, v5, v7, vcc
	v_add_co_u32_e32 v0, vcc, 0x400, v0
	v_addc_co_u32_e32 v1, vcc, 0, v1, vcc
	v_cmp_le_i64_e32 vcc, s[4:5], v[0:1]
	s_or_b64 s[10:11], vcc, s[10:11]
	s_waitcnt lgkmcnt(0)
	global_store_dwordx2 v[4:5], v[2:3], off
	s_andn2_b64 exec, exec, s[10:11]
	s_cbranch_execz .LBB149_128
.LBB149_121:                            ; =>This Loop Header: Depth=1
                                        ;     Child Loop BB149_123 Depth 2
                                        ;     Child Loop BB149_127 Depth 2
	v_lshl_add_u32 v2, v0, 3, 0
	v_add_u32_e32 v3, 0x40000, v2
	ds_read_b64 v[4:5], v2
	ds_read2_b32 v[2:3], v3 offset1:1
	s_and_b64 vcc, exec, s[0:1]
	v_pk_mov_b32 v[6:7], s[6:7], s[6:7] op_sel:[0,1]
	s_mov_b64 s[14:15], 0
	s_cbranch_vccnz .LBB149_125
; %bb.122:                              ;   in Loop: Header=BB149_121 Depth=1
	s_mov_b32 s17, 0
	v_pk_mov_b32 v[6:7], s[6:7], s[6:7] op_sel:[0,1]
.LBB149_123:                            ;   Parent Loop BB149_121 Depth=1
                                        ; =>  This Inner Loop Header: Depth=2
	v_mov_b32_e32 v20, s17
	ds_read2_b64 v[8:11], v20 offset1:1
	ds_read2_b64 v[12:15], v20 offset0:2 offset1:3
	ds_read2_b64 v[16:19], v20 offset0:4 offset1:5
	;; [unrolled: 1-line block ×3, first 2 shown]
	s_add_u32 s14, s14, 8
	s_waitcnt lgkmcnt(3)
	v_cmp_gt_i64_e32 vcc, v[4:5], v[8:9]
	v_cndmask_b32_e64 v8, 0, 1, vcc
	v_cmp_gt_i64_e32 vcc, v[4:5], v[10:11]
	v_cndmask_b32_e64 v9, 0, 1, vcc
	s_waitcnt lgkmcnt(2)
	v_cmp_gt_i64_e32 vcc, v[4:5], v[12:13]
	v_cndmask_b32_e64 v10, 0, 1, vcc
	v_cmp_gt_i64_e32 vcc, v[4:5], v[14:15]
	v_cndmask_b32_e64 v11, 0, 1, vcc
	;; [unrolled: 5-line block ×4, first 2 shown]
	v_add_co_u32_e32 v6, vcc, v6, v8
	v_addc_co_u32_e32 v7, vcc, 0, v7, vcc
	v_add_co_u32_e32 v6, vcc, v6, v9
	v_addc_co_u32_e32 v7, vcc, 0, v7, vcc
	;; [unrolled: 2-line block ×7, first 2 shown]
	s_addc_u32 s15, s15, 0
	s_add_i32 s17, s17, 64
	v_add_co_u32_e32 v6, vcc, v6, v15
	s_cmp_eq_u64 s[2:3], s[14:15]
	v_addc_co_u32_e32 v7, vcc, 0, v7, vcc
	s_cbranch_scc0 .LBB149_123
; %bb.124:                              ;   in Loop: Header=BB149_121 Depth=1
	s_mov_b64 s[14:15], s[2:3]
.LBB149_125:                            ;   in Loop: Header=BB149_121 Depth=1
	s_andn2_b64 vcc, exec, s[12:13]
	s_cbranch_vccnz .LBB149_120
; %bb.126:                              ;   in Loop: Header=BB149_121 Depth=1
	s_lshl_b32 s14, s14, 3
	s_add_i32 s17, s14, 0
	s_mov_b64 s[14:15], s[8:9]
.LBB149_127:                            ;   Parent Loop BB149_121 Depth=1
                                        ; =>  This Inner Loop Header: Depth=2
	v_mov_b32_e32 v8, s17
	ds_read_b64 v[8:9], v8
	s_add_i32 s17, s17, 8
	s_add_u32 s14, s14, -1
	s_addc_u32 s15, s15, -1
	s_cmp_lg_u64 s[14:15], 0
	s_waitcnt lgkmcnt(0)
	v_cmp_gt_i64_e32 vcc, v[4:5], v[8:9]
	v_cndmask_b32_e64 v8, 0, 1, vcc
	v_add_co_u32_e32 v6, vcc, v6, v8
	v_addc_co_u32_e32 v7, vcc, 0, v7, vcc
	s_cbranch_scc1 .LBB149_127
	s_branch .LBB149_120
.LBB149_128:
	s_endpgm
	.section	.rodata,"a",@progbits
	.p2align	6, 0x0
	.amdhsa_kernel _ZN9rocsparseL26csrgemm_fill_block_per_rowILj1024ELj64ELj32768ELj137ELj32Ell21rocsparse_complex_numIfEEEvT5_PKS3_S5_NS_24const_host_device_scalarIT6_EEPKT4_S5_PKS7_SB_S5_SD_S8_SB_S5_SD_SB_PS3_PS7_21rocsparse_index_base_SG_SG_SG_bbb
		.amdhsa_group_segment_fixed_size 0
		.amdhsa_private_segment_fixed_size 0
		.amdhsa_kernarg_size 156
		.amdhsa_user_sgpr_count 6
		.amdhsa_user_sgpr_private_segment_buffer 1
		.amdhsa_user_sgpr_dispatch_ptr 0
		.amdhsa_user_sgpr_queue_ptr 0
		.amdhsa_user_sgpr_kernarg_segment_ptr 1
		.amdhsa_user_sgpr_dispatch_id 0
		.amdhsa_user_sgpr_flat_scratch_init 0
		.amdhsa_user_sgpr_kernarg_preload_length 0
		.amdhsa_user_sgpr_kernarg_preload_offset 0
		.amdhsa_user_sgpr_private_segment_size 0
		.amdhsa_uses_dynamic_stack 0
		.amdhsa_system_sgpr_private_segment_wavefront_offset 0
		.amdhsa_system_sgpr_workgroup_id_x 1
		.amdhsa_system_sgpr_workgroup_id_y 0
		.amdhsa_system_sgpr_workgroup_id_z 0
		.amdhsa_system_sgpr_workgroup_info 0
		.amdhsa_system_vgpr_workitem_id 0
		.amdhsa_next_free_vgpr 27
		.amdhsa_next_free_sgpr 96
		.amdhsa_accum_offset 28
		.amdhsa_reserve_vcc 1
		.amdhsa_reserve_flat_scratch 0
		.amdhsa_float_round_mode_32 0
		.amdhsa_float_round_mode_16_64 0
		.amdhsa_float_denorm_mode_32 3
		.amdhsa_float_denorm_mode_16_64 3
		.amdhsa_dx10_clamp 1
		.amdhsa_ieee_mode 1
		.amdhsa_fp16_overflow 0
		.amdhsa_tg_split 0
		.amdhsa_exception_fp_ieee_invalid_op 0
		.amdhsa_exception_fp_denorm_src 0
		.amdhsa_exception_fp_ieee_div_zero 0
		.amdhsa_exception_fp_ieee_overflow 0
		.amdhsa_exception_fp_ieee_underflow 0
		.amdhsa_exception_fp_ieee_inexact 0
		.amdhsa_exception_int_div_zero 0
	.end_amdhsa_kernel
	.section	.text._ZN9rocsparseL26csrgemm_fill_block_per_rowILj1024ELj64ELj32768ELj137ELj32Ell21rocsparse_complex_numIfEEEvT5_PKS3_S5_NS_24const_host_device_scalarIT6_EEPKT4_S5_PKS7_SB_S5_SD_S8_SB_S5_SD_SB_PS3_PS7_21rocsparse_index_base_SG_SG_SG_bbb,"axG",@progbits,_ZN9rocsparseL26csrgemm_fill_block_per_rowILj1024ELj64ELj32768ELj137ELj32Ell21rocsparse_complex_numIfEEEvT5_PKS3_S5_NS_24const_host_device_scalarIT6_EEPKT4_S5_PKS7_SB_S5_SD_S8_SB_S5_SD_SB_PS3_PS7_21rocsparse_index_base_SG_SG_SG_bbb,comdat
.Lfunc_end149:
	.size	_ZN9rocsparseL26csrgemm_fill_block_per_rowILj1024ELj64ELj32768ELj137ELj32Ell21rocsparse_complex_numIfEEEvT5_PKS3_S5_NS_24const_host_device_scalarIT6_EEPKT4_S5_PKS7_SB_S5_SD_S8_SB_S5_SD_SB_PS3_PS7_21rocsparse_index_base_SG_SG_SG_bbb, .Lfunc_end149-_ZN9rocsparseL26csrgemm_fill_block_per_rowILj1024ELj64ELj32768ELj137ELj32Ell21rocsparse_complex_numIfEEEvT5_PKS3_S5_NS_24const_host_device_scalarIT6_EEPKT4_S5_PKS7_SB_S5_SD_S8_SB_S5_SD_SB_PS3_PS7_21rocsparse_index_base_SG_SG_SG_bbb
                                        ; -- End function
	.section	.AMDGPU.csdata,"",@progbits
; Kernel info:
; codeLenInByte = 4916
; NumSgprs: 100
; NumVgprs: 27
; NumAgprs: 0
; TotalNumVgprs: 27
; ScratchSize: 0
; MemoryBound: 0
; FloatMode: 240
; IeeeMode: 1
; LDSByteSize: 0 bytes/workgroup (compile time only)
; SGPRBlocks: 12
; VGPRBlocks: 3
; NumSGPRsForWavesPerEU: 100
; NumVGPRsForWavesPerEU: 27
; AccumOffset: 28
; Occupancy: 8
; WaveLimiterHint : 1
; COMPUTE_PGM_RSRC2:SCRATCH_EN: 0
; COMPUTE_PGM_RSRC2:USER_SGPR: 6
; COMPUTE_PGM_RSRC2:TRAP_HANDLER: 0
; COMPUTE_PGM_RSRC2:TGID_X_EN: 1
; COMPUTE_PGM_RSRC2:TGID_Y_EN: 0
; COMPUTE_PGM_RSRC2:TGID_Z_EN: 0
; COMPUTE_PGM_RSRC2:TIDIG_COMP_CNT: 0
; COMPUTE_PGM_RSRC3_GFX90A:ACCUM_OFFSET: 6
; COMPUTE_PGM_RSRC3_GFX90A:TG_SPLIT: 0
	.section	.text._ZN9rocsparseL26csrgemm_fill_block_per_rowILj1024ELj64ELj32768ELj137ELj64Ell21rocsparse_complex_numIfEEEvT5_PKS3_S5_NS_24const_host_device_scalarIT6_EEPKT4_S5_PKS7_SB_S5_SD_S8_SB_S5_SD_SB_PS3_PS7_21rocsparse_index_base_SG_SG_SG_bbb,"axG",@progbits,_ZN9rocsparseL26csrgemm_fill_block_per_rowILj1024ELj64ELj32768ELj137ELj64Ell21rocsparse_complex_numIfEEEvT5_PKS3_S5_NS_24const_host_device_scalarIT6_EEPKT4_S5_PKS7_SB_S5_SD_S8_SB_S5_SD_SB_PS3_PS7_21rocsparse_index_base_SG_SG_SG_bbb,comdat
	.globl	_ZN9rocsparseL26csrgemm_fill_block_per_rowILj1024ELj64ELj32768ELj137ELj64Ell21rocsparse_complex_numIfEEEvT5_PKS3_S5_NS_24const_host_device_scalarIT6_EEPKT4_S5_PKS7_SB_S5_SD_S8_SB_S5_SD_SB_PS3_PS7_21rocsparse_index_base_SG_SG_SG_bbb ; -- Begin function _ZN9rocsparseL26csrgemm_fill_block_per_rowILj1024ELj64ELj32768ELj137ELj64Ell21rocsparse_complex_numIfEEEvT5_PKS3_S5_NS_24const_host_device_scalarIT6_EEPKT4_S5_PKS7_SB_S5_SD_S8_SB_S5_SD_SB_PS3_PS7_21rocsparse_index_base_SG_SG_SG_bbb
	.p2align	8
	.type	_ZN9rocsparseL26csrgemm_fill_block_per_rowILj1024ELj64ELj32768ELj137ELj64Ell21rocsparse_complex_numIfEEEvT5_PKS3_S5_NS_24const_host_device_scalarIT6_EEPKT4_S5_PKS7_SB_S5_SD_S8_SB_S5_SD_SB_PS3_PS7_21rocsparse_index_base_SG_SG_SG_bbb,@function
_ZN9rocsparseL26csrgemm_fill_block_per_rowILj1024ELj64ELj32768ELj137ELj64Ell21rocsparse_complex_numIfEEEvT5_PKS3_S5_NS_24const_host_device_scalarIT6_EEPKT4_S5_PKS7_SB_S5_SD_S8_SB_S5_SD_SB_PS3_PS7_21rocsparse_index_base_SG_SG_SG_bbb: ; @_ZN9rocsparseL26csrgemm_fill_block_per_rowILj1024ELj64ELj32768ELj137ELj64Ell21rocsparse_complex_numIfEEEvT5_PKS3_S5_NS_24const_host_device_scalarIT6_EEPKT4_S5_PKS7_SB_S5_SD_S8_SB_S5_SD_SB_PS3_PS7_21rocsparse_index_base_SG_SG_SG_bbb
; %bb.0:
	s_load_dwordx8 s[36:43], s[4:5], 0x60
	s_load_dwordx8 s[8:15], s[4:5], 0x40
	s_load_dword s7, s[4:5], 0x98
	s_load_dwordx4 s[24:27], s[4:5], 0x8
	s_load_dwordx8 s[16:23], s[4:5], 0x20
	s_load_dwordx2 s[34:35], s[4:5], 0x80
	s_load_dwordx4 s[44:47], s[4:5], 0x88
	s_waitcnt lgkmcnt(0)
	s_bitcmp1_b32 s7, 0
	s_cselect_b64 s[30:31], -1, 0
	s_bitcmp1_b32 s7, 16
	s_cselect_b64 s[0:1], -1, 0
	s_xor_b64 s[0:1], s[0:1], -1
	v_cndmask_b32_e64 v1, 0, 1, s[0:1]
	s_mov_b32 s3, 0
	s_bitcmp0_b32 s7, 0
	v_cmp_ne_u32_e64 s[0:1], 1, v1
	s_mov_b32 s57, 0
	s_cbranch_scc1 .LBB150_5
; %bb.1:
	s_load_dwordx2 s[2:3], s[4:5], 0x18
	s_and_b64 vcc, exec, s[0:1]
	s_waitcnt lgkmcnt(0)
	s_mov_b32 s57, s2
	s_cbranch_vccnz .LBB150_3
; %bb.2:
	s_load_dword s57, s[2:3], 0x0
.LBB150_3:
	s_and_b64 vcc, exec, s[0:1]
	s_cbranch_vccnz .LBB150_5
; %bb.4:
	s_load_dword s3, s[2:3], 0x4
.LBB150_5:
	s_bitcmp1_b32 s7, 8
	s_cselect_b64 s[28:29], -1, 0
	s_bfe_u32 s2, s7, 0x10008
	s_mov_b32 s56, 0
	s_cmp_eq_u32 s2, 0
	s_mov_b32 s33, 0
	s_cbranch_scc1 .LBB150_11
; %bb.6:
	s_and_b64 vcc, exec, s[0:1]
	s_mov_b32 s33, s12
	s_cbranch_vccnz .LBB150_8
; %bb.7:
	s_load_dword s33, s[12:13], 0x0
.LBB150_8:
	s_and_b64 vcc, exec, s[0:1]
	s_cbranch_vccnz .LBB150_10
; %bb.9:
	s_load_dword s13, s[12:13], 0x4
.LBB150_10:
	s_waitcnt lgkmcnt(0)
	s_mov_b32 s56, s13
.LBB150_11:
	s_load_dwordx2 s[48:49], s[4:5], 0x0
	v_or_b32_e32 v1, 0xfffffc00, v0
	v_lshl_add_u32 v14, v0, 3, 0
	s_mov_b64 s[0:1], 0
	v_mov_b32_e32 v4, 0
	s_waitcnt lgkmcnt(0)
	v_pk_mov_b32 v[2:3], s[48:49], s[48:49] op_sel:[0,1]
	s_movk_i32 s2, 0x7bff
	v_mov_b32_e32 v5, v14
	v_mov_b32_e32 v6, v1
.LBB150_12:                             ; =>This Inner Loop Header: Depth=1
	v_add_u32_e32 v6, 0x400, v6
	v_cmp_lt_u32_e32 vcc, s2, v6
	ds_write_b64 v5, v[2:3]
	v_add_u32_e32 v7, 0x40000, v5
	v_add_u32_e32 v5, 0x2000, v5
	s_or_b64 s[0:1], vcc, s[0:1]
	ds_write2_b32 v7, v4, v4 offset1:1
	s_andn2_b64 exec, exec, s[0:1]
	s_cbranch_execnz .LBB150_12
; %bb.13:
	s_or_b64 exec, exec, s[0:1]
	s_waitcnt lgkmcnt(0)
	s_barrier
	s_load_dwordx2 s[0:1], s[24:25], 0x0
	s_mov_b32 s7, 0
	v_lshrrev_b32_e32 v11, 6, v0
	s_waitcnt lgkmcnt(0)
	s_lshl_b64 s[0:1], s[0:1], 3
	s_add_u32 s2, s26, s0
	s_addc_u32 s4, s27, s1
	s_lshl_b64 s[0:1], s[6:7], 3
	s_add_u32 s0, s2, s0
	s_addc_u32 s1, s4, s1
	s_load_dwordx2 s[50:51], s[0:1], 0x0
	s_and_b64 vcc, exec, s[30:31]
	s_cbranch_vccz .LBB150_33
; %bb.14:
	s_waitcnt lgkmcnt(0)
	s_lshl_b64 s[0:1], s[50:51], 3
	s_add_u32 s0, s16, s0
	s_addc_u32 s1, s17, s1
	s_load_dwordx4 s[24:27], s[0:1], 0x0
	v_subrev_co_u32_e32 v2, vcc, s44, v11
	v_subb_co_u32_e64 v3, s[4:5], 0, 0, vcc
	s_waitcnt lgkmcnt(0)
	s_sub_u32 s0, s26, s44
	v_mov_b32_e32 v4, s25
	v_add_co_u32_e32 v2, vcc, s24, v2
	s_subb_u32 s1, s27, 0
	v_addc_co_u32_e32 v3, vcc, v4, v3, vcc
	v_cmp_gt_i64_e32 vcc, s[0:1], v[2:3]
	s_and_saveexec_b64 s[4:5], vcc
	s_cbranch_execz .LBB150_32
; %bb.15:
	v_and_b32_e32 v4, 63, v0
	v_subrev_co_u32_e32 v15, vcc, s45, v4
	s_mov_b32 s6, 0
	v_subb_co_u32_e64 v16, s[12:13], 0, 0, vcc
	s_mov_b32 s2, s44
	s_mov_b32 s58, s45
	s_mov_b64 s[12:13], 0
	v_mov_b32_e32 v17, s19
	v_mov_b32_e32 v18, s7
	;; [unrolled: 1-line block ×4, first 2 shown]
	s_movk_i32 s19, 0x89
	s_branch .LBB150_17
.LBB150_16:                             ;   in Loop: Header=BB150_17 Depth=1
	s_or_b64 exec, exec, s[6:7]
	v_add_co_u32_e32 v2, vcc, 16, v2
	v_addc_co_u32_e32 v3, vcc, 0, v3, vcc
	v_cmp_le_i64_e32 vcc, s[0:1], v[2:3]
	s_or_b64 s[12:13], vcc, s[12:13]
	s_andn2_b64 exec, exec, s[12:13]
	s_cbranch_execz .LBB150_32
.LBB150_17:                             ; =>This Loop Header: Depth=1
                                        ;     Child Loop BB150_20 Depth 2
                                        ;       Child Loop BB150_22 Depth 3
	v_lshlrev_b64 v[8:9], 3, v[2:3]
	v_add_co_u32_e32 v4, vcc, s18, v8
	v_addc_co_u32_e32 v5, vcc, v17, v9, vcc
	global_load_dwordx2 v[4:5], v[4:5], off
	s_waitcnt vmcnt(0)
	v_subrev_co_u32_e32 v4, vcc, s2, v4
	v_subb_co_u32_e32 v5, vcc, v5, v18, vcc
	v_lshlrev_b64 v[4:5], 3, v[4:5]
	v_add_co_u32_e32 v4, vcc, s22, v4
	v_addc_co_u32_e32 v5, vcc, v19, v5, vcc
	global_load_dwordx4 v[22:25], v[4:5], off
	s_waitcnt vmcnt(0)
	v_subrev_co_u32_e32 v4, vcc, s58, v24
	v_subb_co_u32_e32 v5, vcc, v25, v20, vcc
	v_add_co_u32_e32 v6, vcc, v22, v15
	v_addc_co_u32_e32 v7, vcc, v23, v16, vcc
	v_cmp_lt_i64_e32 vcc, v[6:7], v[4:5]
	s_and_saveexec_b64 s[6:7], vcc
	s_cbranch_execz .LBB150_16
; %bb.18:                               ;   in Loop: Header=BB150_17 Depth=1
	v_mov_b32_e32 v10, s21
	v_add_co_u32_e32 v8, vcc, s20, v8
	v_addc_co_u32_e32 v9, vcc, v10, v9, vcc
	global_load_dwordx2 v[8:9], v[8:9], off
	s_mov_b64 s[16:17], 0
	s_waitcnt vmcnt(0)
	v_mul_f32_e64 v21, v9, -s3
	v_mul_f32_e32 v22, s57, v9
	v_fmac_f32_e32 v21, s57, v8
	v_fmac_f32_e32 v22, s3, v8
	s_branch .LBB150_20
.LBB150_19:                             ;   in Loop: Header=BB150_20 Depth=2
	s_or_b64 exec, exec, s[24:25]
	v_add_co_u32_e32 v6, vcc, 64, v6
	v_addc_co_u32_e32 v7, vcc, 0, v7, vcc
	v_cmp_ge_i64_e32 vcc, v[6:7], v[4:5]
	s_or_b64 s[16:17], vcc, s[16:17]
	s_andn2_b64 exec, exec, s[16:17]
	s_cbranch_execz .LBB150_16
.LBB150_20:                             ;   Parent Loop BB150_17 Depth=1
                                        ; =>  This Loop Header: Depth=2
                                        ;       Child Loop BB150_22 Depth 3
	v_lshlrev_b64 v[8:9], 3, v[6:7]
	v_mov_b32_e32 v10, s9
	v_add_co_u32_e32 v12, vcc, s8, v8
	v_addc_co_u32_e32 v13, vcc, v10, v9, vcc
	v_mov_b32_e32 v10, s11
	v_add_co_u32_e32 v8, vcc, s10, v8
	global_load_dwordx2 v[12:13], v[12:13], off
	v_addc_co_u32_e32 v9, vcc, v10, v9, vcc
	global_load_dwordx2 v[26:27], v[8:9], off
	s_mov_b64 s[24:25], 0
	s_waitcnt vmcnt(1)
	v_subrev_co_u32_e32 v8, vcc, s58, v12
	v_mul_lo_u32 v10, v8, s19
	s_waitcnt vmcnt(0)
	v_mul_f32_e64 v23, v27, -v22
	v_mul_f32_e32 v24, v21, v27
	v_subb_co_u32_e32 v9, vcc, v13, v20, vcc
	v_fmac_f32_e32 v23, v21, v26
	v_fmac_f32_e32 v24, v22, v26
	v_and_b32_e32 v10, 0x7fff, v10
	s_branch .LBB150_22
.LBB150_21:                             ;   in Loop: Header=BB150_22 Depth=3
	s_or_b64 exec, exec, s[26:27]
	s_xor_b64 s[26:27], s[30:31], -1
	s_and_b64 s[26:27], exec, s[26:27]
	s_or_b64 s[24:25], s[26:27], s[24:25]
	s_andn2_b64 exec, exec, s[24:25]
	s_cbranch_execz .LBB150_19
.LBB150_22:                             ;   Parent Loop BB150_17 Depth=1
                                        ;     Parent Loop BB150_20 Depth=2
                                        ; =>    This Inner Loop Header: Depth=3
	v_lshl_add_u32 v25, v10, 3, 0
	ds_read_b64 v[12:13], v25
                                        ; implicit-def: $sgpr30_sgpr31
	s_waitcnt lgkmcnt(0)
	v_cmp_ne_u64_e32 vcc, v[12:13], v[8:9]
	s_and_saveexec_b64 s[26:27], vcc
	s_xor_b64 s[26:27], exec, s[26:27]
	s_cbranch_execz .LBB150_30
; %bb.23:                               ;   in Loop: Header=BB150_22 Depth=3
	v_cmp_ne_u64_e32 vcc, s[48:49], v[12:13]
                                        ; implicit-def: $sgpr30_sgpr31
	s_and_saveexec_b64 s[44:45], vcc
	s_xor_b64 s[44:45], exec, s[44:45]
; %bb.24:                               ;   in Loop: Header=BB150_22 Depth=3
	v_add_u32_e32 v10, 1, v10
	v_and_b32_e32 v10, 0x7fff, v10
	s_mov_b64 s[30:31], -1
                                        ; implicit-def: $vgpr25
; %bb.25:                               ;   in Loop: Header=BB150_22 Depth=3
	s_andn2_saveexec_b64 s[44:45], s[44:45]
	s_cbranch_execz .LBB150_29
; %bb.26:                               ;   in Loop: Header=BB150_22 Depth=3
	v_pk_mov_b32 v[12:13], s[48:49], s[48:49] op_sel:[0,1]
	ds_cmpst_rtn_b64 v[12:13], v25, v[12:13], v[8:9]
	s_mov_b64 s[52:53], -1
	s_waitcnt lgkmcnt(0)
	v_cmp_eq_u64_e32 vcc, s[48:49], v[12:13]
	s_and_saveexec_b64 s[54:55], vcc
	s_cbranch_execz .LBB150_28
; %bb.27:                               ;   in Loop: Header=BB150_22 Depth=3
	v_add_u32_e32 v12, 0x40000, v25
	ds_add_f32 v12, v23
	ds_add_f32 v12, v24 offset:4
	s_xor_b64 s[52:53], exec, -1
.LBB150_28:                             ;   in Loop: Header=BB150_22 Depth=3
	s_or_b64 exec, exec, s[54:55]
	s_andn2_b64 s[30:31], s[30:31], exec
	s_and_b64 s[52:53], s[52:53], exec
	s_or_b64 s[30:31], s[30:31], s[52:53]
.LBB150_29:                             ;   in Loop: Header=BB150_22 Depth=3
	s_or_b64 exec, exec, s[44:45]
	s_and_b64 s[30:31], s[30:31], exec
                                        ; implicit-def: $vgpr25
.LBB150_30:                             ;   in Loop: Header=BB150_22 Depth=3
	s_andn2_saveexec_b64 s[26:27], s[26:27]
	s_cbranch_execz .LBB150_21
; %bb.31:                               ;   in Loop: Header=BB150_22 Depth=3
	v_add_u32_e32 v12, 0x40000, v25
	ds_add_f32 v12, v23
	ds_add_f32 v12, v24 offset:4
	s_andn2_b64 s[30:31], s[30:31], exec
	s_branch .LBB150_21
.LBB150_32:
	s_or_b64 exec, exec, s[4:5]
.LBB150_33:
	s_andn2_b64 vcc, exec, s[28:29]
	s_cbranch_vccnz .LBB150_50
; %bb.34:
	s_waitcnt lgkmcnt(0)
	s_lshl_b64 s[0:1], s[50:51], 3
	s_add_u32 s0, s14, s0
	s_addc_u32 s1, s15, s1
	s_load_dwordx4 s[8:11], s[0:1], 0x0
	v_subrev_co_u32_e32 v2, vcc, s47, v0
	v_subb_co_u32_e64 v3, s[2:3], 0, 0, vcc
	s_waitcnt lgkmcnt(0)
	s_sub_u32 s0, s10, s47
	v_mov_b32_e32 v4, s9
	v_add_co_u32_e32 v2, vcc, s8, v2
	s_subb_u32 s1, s11, 0
	v_addc_co_u32_e32 v3, vcc, v4, v3, vcc
	s_mov_b32 s6, 0
	v_cmp_gt_i64_e32 vcc, s[0:1], v[2:3]
	s_and_saveexec_b64 s[2:3], vcc
	s_cbranch_execz .LBB150_49
; %bb.35:
	s_mov_b32 s18, s47
	s_mov_b64 s[4:5], 0
	v_mov_b32_e32 v7, s37
	v_mov_b32_e32 v10, s6
	;; [unrolled: 1-line block ×3, first 2 shown]
	s_movk_i32 s19, 0x89
	s_branch .LBB150_37
.LBB150_36:                             ;   in Loop: Header=BB150_37 Depth=1
	s_or_b64 exec, exec, s[6:7]
	v_add_co_u32_e32 v2, vcc, 0x400, v2
	v_addc_co_u32_e32 v3, vcc, 0, v3, vcc
	v_cmp_le_i64_e32 vcc, s[0:1], v[2:3]
	s_or_b64 s[4:5], vcc, s[4:5]
	s_andn2_b64 exec, exec, s[4:5]
	s_cbranch_execz .LBB150_49
.LBB150_37:                             ; =>This Loop Header: Depth=1
                                        ;     Child Loop BB150_39 Depth 2
	v_lshlrev_b64 v[4:5], 3, v[2:3]
	v_add_co_u32_e32 v8, vcc, s36, v4
	v_addc_co_u32_e32 v9, vcc, v7, v5, vcc
	v_add_co_u32_e32 v4, vcc, s38, v4
	global_load_dwordx2 v[8:9], v[8:9], off
	v_addc_co_u32_e32 v5, vcc, v12, v5, vcc
	global_load_dwordx2 v[16:17], v[4:5], off
	s_mov_b64 s[6:7], 0
	s_waitcnt vmcnt(1)
	v_subrev_co_u32_e32 v4, vcc, s18, v8
	v_mul_lo_u32 v6, v4, s19
	s_waitcnt vmcnt(0)
	v_mul_f32_e64 v13, v17, -s56
	v_mul_f32_e32 v15, s33, v17
	v_subb_co_u32_e32 v5, vcc, v9, v10, vcc
	v_fmac_f32_e32 v13, s33, v16
	v_fmac_f32_e32 v15, s56, v16
	v_and_b32_e32 v6, 0x7fff, v6
	s_branch .LBB150_39
.LBB150_38:                             ;   in Loop: Header=BB150_39 Depth=2
	s_or_b64 exec, exec, s[8:9]
	s_xor_b64 s[8:9], s[10:11], -1
	s_and_b64 s[8:9], exec, s[8:9]
	s_or_b64 s[6:7], s[8:9], s[6:7]
	s_andn2_b64 exec, exec, s[6:7]
	s_cbranch_execz .LBB150_36
.LBB150_39:                             ;   Parent Loop BB150_37 Depth=1
                                        ; =>  This Inner Loop Header: Depth=2
	v_lshl_add_u32 v16, v6, 3, 0
	ds_read_b64 v[8:9], v16
                                        ; implicit-def: $sgpr10_sgpr11
	s_waitcnt lgkmcnt(0)
	v_cmp_ne_u64_e32 vcc, v[8:9], v[4:5]
	s_and_saveexec_b64 s[8:9], vcc
	s_xor_b64 s[8:9], exec, s[8:9]
	s_cbranch_execz .LBB150_47
; %bb.40:                               ;   in Loop: Header=BB150_39 Depth=2
	v_cmp_ne_u64_e32 vcc, s[48:49], v[8:9]
                                        ; implicit-def: $sgpr10_sgpr11
	s_and_saveexec_b64 s[12:13], vcc
	s_xor_b64 s[12:13], exec, s[12:13]
; %bb.41:                               ;   in Loop: Header=BB150_39 Depth=2
	v_add_u32_e32 v6, 1, v6
	v_and_b32_e32 v6, 0x7fff, v6
	s_mov_b64 s[10:11], -1
                                        ; implicit-def: $vgpr16
; %bb.42:                               ;   in Loop: Header=BB150_39 Depth=2
	s_andn2_saveexec_b64 s[12:13], s[12:13]
	s_cbranch_execz .LBB150_46
; %bb.43:                               ;   in Loop: Header=BB150_39 Depth=2
	v_pk_mov_b32 v[8:9], s[48:49], s[48:49] op_sel:[0,1]
	ds_cmpst_rtn_b64 v[8:9], v16, v[8:9], v[4:5]
	s_mov_b64 s[14:15], -1
	s_waitcnt lgkmcnt(0)
	v_cmp_eq_u64_e32 vcc, s[48:49], v[8:9]
	s_and_saveexec_b64 s[16:17], vcc
	s_cbranch_execz .LBB150_45
; %bb.44:                               ;   in Loop: Header=BB150_39 Depth=2
	v_add_u32_e32 v8, 0x40000, v16
	ds_add_f32 v8, v13
	ds_add_f32 v8, v15 offset:4
	s_xor_b64 s[14:15], exec, -1
.LBB150_45:                             ;   in Loop: Header=BB150_39 Depth=2
	s_or_b64 exec, exec, s[16:17]
	s_andn2_b64 s[10:11], s[10:11], exec
	s_and_b64 s[14:15], s[14:15], exec
	s_or_b64 s[10:11], s[10:11], s[14:15]
.LBB150_46:                             ;   in Loop: Header=BB150_39 Depth=2
	s_or_b64 exec, exec, s[12:13]
	s_and_b64 s[10:11], s[10:11], exec
                                        ; implicit-def: $vgpr16
.LBB150_47:                             ;   in Loop: Header=BB150_39 Depth=2
	s_andn2_saveexec_b64 s[8:9], s[8:9]
	s_cbranch_execz .LBB150_38
; %bb.48:                               ;   in Loop: Header=BB150_39 Depth=2
	v_add_u32_e32 v8, 0x40000, v16
	ds_add_f32 v8, v13
	ds_add_f32 v8, v15 offset:4
	s_andn2_b64 s[10:11], s[10:11], exec
	s_branch .LBB150_38
.LBB150_49:
	s_or_b64 exec, exec, s[2:3]
.LBB150_50:
	v_mbcnt_lo_u32_b32 v2, -1, 0
	v_mbcnt_hi_u32_b32 v2, -1, v2
	v_sub_u32_e32 v2, 63, v2
	s_add_i32 s33, 0, 0x80000
	s_movk_i32 s0, 0x3ff
	s_movk_i32 s2, 0x7f
	;; [unrolled: 1-line block ×15, first 2 shown]
	s_add_i32 s63, 0, 0x80078
	v_mov_b32_e32 v3, 0
	v_lshrrev_b64 v[4:5], v2, -1
	v_lshl_add_u32 v15, v11, 3, s33
	v_cmp_eq_u32_e32 vcc, s0, v0
	v_cmp_lt_u32_e64 s[0:1], 63, v0
	v_cmp_lt_u32_e64 s[2:3], s2, v0
	;; [unrolled: 1-line block ×15, first 2 shown]
	s_mov_b64 s[36:37], 0
	v_pk_mov_b32 v[6:7], 0, 0
	s_add_i32 s44, 0, 0x80008
	s_add_i32 s45, 0, 0x80010
	;; [unrolled: 1-line block ×14, first 2 shown]
	v_mov_b32_e32 v16, s63
	s_movk_i32 s64, 0x7bff
	s_waitcnt lgkmcnt(0)
	s_barrier
	s_branch .LBB150_52
.LBB150_51:                             ;   in Loop: Header=BB150_52 Depth=1
	s_or_b64 exec, exec, s[30:31]
	s_waitcnt lgkmcnt(0)
	s_barrier
	ds_read_b64 v[8:9], v16
	v_add_u32_e32 v1, 0x400, v1
	v_add_u32_e32 v14, 0x2000, v14
	s_waitcnt lgkmcnt(0)
	v_add_co_u32_e64 v6, s[30:31], v8, v6
	v_addc_co_u32_e64 v7, s[30:31], v9, v7, s[30:31]
	v_cmp_lt_u32_e64 s[30:31], s64, v1
	s_or_b64 s[36:37], s[30:31], s[36:37]
	s_andn2_b64 exec, exec, s[36:37]
	s_cbranch_execz .LBB150_86
.LBB150_52:                             ; =>This Inner Loop Header: Depth=1
	ds_read_b64 v[8:9], v14
	v_add_u32_e32 v2, 0x40000, v14
	ds_read2_b32 v[10:11], v2 offset1:1
	s_waitcnt lgkmcnt(0)
	s_barrier
	v_cmp_gt_i64_e64 s[30:31], s[48:49], v[8:9]
	v_and_b32_e32 v13, s30, v4
	s_bcnt1_i32_b64 s38, s[30:31]
	v_and_b32_e32 v12, s31, v5
	v_bcnt_u32_b32 v13, v13, 0
	v_mov_b32_e32 v2, s38
	v_bcnt_u32_b32 v12, v12, v13
	ds_write_b64 v15, v[2:3]
	s_waitcnt lgkmcnt(0)
	s_barrier
	s_and_saveexec_b64 s[38:39], s[0:1]
	s_cbranch_execnz .LBB150_69
; %bb.53:                               ;   in Loop: Header=BB150_52 Depth=1
	s_or_b64 exec, exec, s[38:39]
	s_and_saveexec_b64 s[38:39], s[2:3]
	s_cbranch_execnz .LBB150_70
.LBB150_54:                             ;   in Loop: Header=BB150_52 Depth=1
	s_or_b64 exec, exec, s[38:39]
	s_and_saveexec_b64 s[38:39], s[4:5]
	s_cbranch_execnz .LBB150_71
.LBB150_55:                             ;   in Loop: Header=BB150_52 Depth=1
	s_or_b64 exec, exec, s[38:39]
	s_and_saveexec_b64 s[38:39], s[6:7]
	s_cbranch_execnz .LBB150_72
.LBB150_56:                             ;   in Loop: Header=BB150_52 Depth=1
	s_or_b64 exec, exec, s[38:39]
	s_and_saveexec_b64 s[38:39], s[8:9]
	s_cbranch_execnz .LBB150_73
.LBB150_57:                             ;   in Loop: Header=BB150_52 Depth=1
	s_or_b64 exec, exec, s[38:39]
	s_and_saveexec_b64 s[38:39], s[10:11]
	s_cbranch_execnz .LBB150_74
.LBB150_58:                             ;   in Loop: Header=BB150_52 Depth=1
	s_or_b64 exec, exec, s[38:39]
	s_and_saveexec_b64 s[38:39], s[12:13]
	s_cbranch_execnz .LBB150_75
.LBB150_59:                             ;   in Loop: Header=BB150_52 Depth=1
	s_or_b64 exec, exec, s[38:39]
	s_and_saveexec_b64 s[38:39], s[14:15]
	s_cbranch_execnz .LBB150_76
.LBB150_60:                             ;   in Loop: Header=BB150_52 Depth=1
	s_or_b64 exec, exec, s[38:39]
	s_and_saveexec_b64 s[38:39], s[16:17]
	s_cbranch_execnz .LBB150_77
.LBB150_61:                             ;   in Loop: Header=BB150_52 Depth=1
	s_or_b64 exec, exec, s[38:39]
	s_and_saveexec_b64 s[38:39], s[18:19]
	s_cbranch_execnz .LBB150_78
.LBB150_62:                             ;   in Loop: Header=BB150_52 Depth=1
	s_or_b64 exec, exec, s[38:39]
	s_and_saveexec_b64 s[38:39], s[20:21]
	s_cbranch_execnz .LBB150_79
.LBB150_63:                             ;   in Loop: Header=BB150_52 Depth=1
	s_or_b64 exec, exec, s[38:39]
	s_and_saveexec_b64 s[38:39], s[22:23]
	s_cbranch_execnz .LBB150_80
.LBB150_64:                             ;   in Loop: Header=BB150_52 Depth=1
	s_or_b64 exec, exec, s[38:39]
	s_and_saveexec_b64 s[38:39], s[24:25]
	s_cbranch_execnz .LBB150_81
.LBB150_65:                             ;   in Loop: Header=BB150_52 Depth=1
	s_or_b64 exec, exec, s[38:39]
	s_and_saveexec_b64 s[38:39], s[26:27]
	s_cbranch_execnz .LBB150_82
.LBB150_66:                             ;   in Loop: Header=BB150_52 Depth=1
	s_or_b64 exec, exec, s[38:39]
	s_and_saveexec_b64 s[38:39], s[28:29]
	s_cbranch_execnz .LBB150_83
.LBB150_67:                             ;   in Loop: Header=BB150_52 Depth=1
	s_or_b64 exec, exec, s[38:39]
	v_ashrrev_i32_e32 v13, 31, v12
	s_and_saveexec_b64 s[38:39], s[30:31]
	s_cbranch_execnz .LBB150_84
.LBB150_68:                             ;   in Loop: Header=BB150_52 Depth=1
	s_or_b64 exec, exec, s[38:39]
	s_and_saveexec_b64 s[30:31], vcc
	s_cbranch_execz .LBB150_51
	s_branch .LBB150_85
.LBB150_69:                             ;   in Loop: Header=BB150_52 Depth=1
	v_mov_b32_e32 v2, s33
	ds_read_b32 v2, v2
	s_waitcnt lgkmcnt(0)
	v_add_u32_e32 v12, v2, v12
	s_or_b64 exec, exec, s[38:39]
	s_and_saveexec_b64 s[38:39], s[2:3]
	s_cbranch_execz .LBB150_54
.LBB150_70:                             ;   in Loop: Header=BB150_52 Depth=1
	v_mov_b32_e32 v2, s44
	ds_read_b32 v2, v2
	s_waitcnt lgkmcnt(0)
	v_add_u32_e32 v12, v12, v2
	s_or_b64 exec, exec, s[38:39]
	s_and_saveexec_b64 s[38:39], s[4:5]
	s_cbranch_execz .LBB150_55
.LBB150_71:                             ;   in Loop: Header=BB150_52 Depth=1
	v_mov_b32_e32 v2, s45
	ds_read_b32 v2, v2
	s_waitcnt lgkmcnt(0)
	v_add_u32_e32 v12, v12, v2
	s_or_b64 exec, exec, s[38:39]
	s_and_saveexec_b64 s[38:39], s[6:7]
	s_cbranch_execz .LBB150_56
.LBB150_72:                             ;   in Loop: Header=BB150_52 Depth=1
	v_mov_b32_e32 v2, s47
	ds_read_b32 v2, v2
	s_waitcnt lgkmcnt(0)
	v_add_u32_e32 v12, v12, v2
	s_or_b64 exec, exec, s[38:39]
	s_and_saveexec_b64 s[38:39], s[8:9]
	s_cbranch_execz .LBB150_57
.LBB150_73:                             ;   in Loop: Header=BB150_52 Depth=1
	v_mov_b32_e32 v2, s52
	ds_read_b32 v2, v2
	s_waitcnt lgkmcnt(0)
	v_add_u32_e32 v12, v12, v2
	s_or_b64 exec, exec, s[38:39]
	s_and_saveexec_b64 s[38:39], s[10:11]
	s_cbranch_execz .LBB150_58
.LBB150_74:                             ;   in Loop: Header=BB150_52 Depth=1
	v_mov_b32_e32 v2, s53
	ds_read_b32 v2, v2
	s_waitcnt lgkmcnt(0)
	v_add_u32_e32 v12, v12, v2
	s_or_b64 exec, exec, s[38:39]
	s_and_saveexec_b64 s[38:39], s[12:13]
	s_cbranch_execz .LBB150_59
.LBB150_75:                             ;   in Loop: Header=BB150_52 Depth=1
	v_mov_b32_e32 v2, s54
	ds_read_b32 v2, v2
	s_waitcnt lgkmcnt(0)
	v_add_u32_e32 v12, v12, v2
	s_or_b64 exec, exec, s[38:39]
	s_and_saveexec_b64 s[38:39], s[14:15]
	s_cbranch_execz .LBB150_60
.LBB150_76:                             ;   in Loop: Header=BB150_52 Depth=1
	v_mov_b32_e32 v2, s55
	ds_read_b32 v2, v2
	s_waitcnt lgkmcnt(0)
	v_add_u32_e32 v12, v12, v2
	s_or_b64 exec, exec, s[38:39]
	s_and_saveexec_b64 s[38:39], s[16:17]
	s_cbranch_execz .LBB150_61
.LBB150_77:                             ;   in Loop: Header=BB150_52 Depth=1
	v_mov_b32_e32 v2, s56
	ds_read_b32 v2, v2
	s_waitcnt lgkmcnt(0)
	v_add_u32_e32 v12, v12, v2
	s_or_b64 exec, exec, s[38:39]
	s_and_saveexec_b64 s[38:39], s[18:19]
	s_cbranch_execz .LBB150_62
.LBB150_78:                             ;   in Loop: Header=BB150_52 Depth=1
	v_mov_b32_e32 v2, s57
	ds_read_b32 v2, v2
	s_waitcnt lgkmcnt(0)
	v_add_u32_e32 v12, v12, v2
	s_or_b64 exec, exec, s[38:39]
	s_and_saveexec_b64 s[38:39], s[20:21]
	s_cbranch_execz .LBB150_63
.LBB150_79:                             ;   in Loop: Header=BB150_52 Depth=1
	v_mov_b32_e32 v2, s58
	ds_read_b32 v2, v2
	s_waitcnt lgkmcnt(0)
	v_add_u32_e32 v12, v12, v2
	s_or_b64 exec, exec, s[38:39]
	s_and_saveexec_b64 s[38:39], s[22:23]
	s_cbranch_execz .LBB150_64
.LBB150_80:                             ;   in Loop: Header=BB150_52 Depth=1
	v_mov_b32_e32 v2, s59
	ds_read_b32 v2, v2
	s_waitcnt lgkmcnt(0)
	v_add_u32_e32 v12, v12, v2
	s_or_b64 exec, exec, s[38:39]
	s_and_saveexec_b64 s[38:39], s[24:25]
	s_cbranch_execz .LBB150_65
.LBB150_81:                             ;   in Loop: Header=BB150_52 Depth=1
	v_mov_b32_e32 v2, s60
	ds_read_b32 v2, v2
	s_waitcnt lgkmcnt(0)
	v_add_u32_e32 v12, v12, v2
	s_or_b64 exec, exec, s[38:39]
	s_and_saveexec_b64 s[38:39], s[26:27]
	s_cbranch_execz .LBB150_66
.LBB150_82:                             ;   in Loop: Header=BB150_52 Depth=1
	v_mov_b32_e32 v2, s61
	ds_read_b32 v2, v2
	s_waitcnt lgkmcnt(0)
	v_add_u32_e32 v12, v12, v2
	s_or_b64 exec, exec, s[38:39]
	s_and_saveexec_b64 s[38:39], s[28:29]
	s_cbranch_execz .LBB150_67
.LBB150_83:                             ;   in Loop: Header=BB150_52 Depth=1
	v_mov_b32_e32 v2, s62
	ds_read_b32 v2, v2
	s_waitcnt lgkmcnt(0)
	v_add_u32_e32 v12, v12, v2
	s_or_b64 exec, exec, s[38:39]
	v_ashrrev_i32_e32 v13, 31, v12
	s_and_saveexec_b64 s[38:39], s[30:31]
	s_cbranch_execz .LBB150_68
.LBB150_84:                             ;   in Loop: Header=BB150_52 Depth=1
	v_add3_u32 v2, v6, -1, v12
	v_lshl_add_u32 v2, v2, 3, 0
	v_add_u32_e32 v17, 0x40000, v2
	ds_write_b64 v2, v[8:9]
	ds_write2_b32 v17, v10, v11 offset1:1
	s_or_b64 exec, exec, s[38:39]
	s_and_saveexec_b64 s[30:31], vcc
	s_cbranch_execz .LBB150_51
.LBB150_85:                             ;   in Loop: Header=BB150_52 Depth=1
	v_mov_b32_e32 v2, s63
	ds_write_b64 v2, v[12:13]
	s_branch .LBB150_51
.LBB150_86:
	s_or_b64 exec, exec, s[36:37]
	s_lshl_b64 s[0:1], s[50:51], 3
	s_add_u32 s0, s40, s0
	s_addc_u32 s1, s41, s1
	s_load_dwordx4 s[0:3], s[0:1], 0x0
	v_mov_b32_e32 v1, 0
	s_waitcnt lgkmcnt(0)
	s_sub_u32 s4, s2, s0
	s_subb_u32 s5, s3, s1
	v_cmp_gt_i64_e32 vcc, s[4:5], v[0:1]
	s_and_saveexec_b64 s[6:7], vcc
	s_cbranch_execz .LBB150_96
; %bb.87:
	s_sub_u32 s6, s0, s46
	s_subb_u32 s7, s1, 0
	s_and_b32 s8, s4, 7
	s_sub_u32 s0, s0, s2
	s_mov_b32 s16, 0
	s_subb_u32 s1, s1, s3
	s_mov_b32 s9, s16
	s_and_b32 s2, s4, -8
	v_cmp_lt_u64_e64 s[0:1], s[0:1], -7
	s_cmp_lg_u64 s[8:9], 0
	v_cndmask_b32_e64 v2, 0, 1, s[0:1]
	s_mov_b32 s3, s5
	s_mov_b64 s[10:11], 0
	s_cselect_b64 s[12:13], -1, 0
	v_cmp_ne_u32_e64 s[0:1], 1, v2
	s_branch .LBB150_89
.LBB150_88:                             ;   in Loop: Header=BB150_89 Depth=1
	v_mov_b32_e32 v8, s16
	s_waitcnt lgkmcnt(1)
	v_add_co_u32_e32 v4, vcc, s46, v4
	v_addc_co_u32_e32 v5, vcc, v5, v8, vcc
	v_lshlrev_b64 v[6:7], 3, v[6:7]
	v_mov_b32_e32 v9, s43
	v_add_co_u32_e32 v8, vcc, s42, v6
	v_addc_co_u32_e32 v9, vcc, v9, v7, vcc
	global_store_dwordx2 v[8:9], v[4:5], off
	v_mov_b32_e32 v5, s35
	v_add_co_u32_e32 v4, vcc, s34, v6
	v_addc_co_u32_e32 v5, vcc, v5, v7, vcc
	v_add_co_u32_e32 v0, vcc, 0x400, v0
	v_addc_co_u32_e32 v1, vcc, 0, v1, vcc
	v_cmp_le_i64_e32 vcc, s[4:5], v[0:1]
	s_or_b64 s[10:11], vcc, s[10:11]
	s_waitcnt lgkmcnt(0)
	global_store_dwordx2 v[4:5], v[2:3], off
	s_andn2_b64 exec, exec, s[10:11]
	s_cbranch_execz .LBB150_96
.LBB150_89:                             ; =>This Loop Header: Depth=1
                                        ;     Child Loop BB150_91 Depth 2
                                        ;     Child Loop BB150_95 Depth 2
	v_lshl_add_u32 v2, v0, 3, 0
	v_add_u32_e32 v3, 0x40000, v2
	ds_read_b64 v[4:5], v2
	ds_read2_b32 v[2:3], v3 offset1:1
	s_and_b64 vcc, exec, s[0:1]
	v_pk_mov_b32 v[6:7], s[6:7], s[6:7] op_sel:[0,1]
	s_mov_b64 s[14:15], 0
	s_cbranch_vccnz .LBB150_93
; %bb.90:                               ;   in Loop: Header=BB150_89 Depth=1
	s_mov_b32 s17, 0
	v_pk_mov_b32 v[6:7], s[6:7], s[6:7] op_sel:[0,1]
.LBB150_91:                             ;   Parent Loop BB150_89 Depth=1
                                        ; =>  This Inner Loop Header: Depth=2
	v_mov_b32_e32 v20, s17
	ds_read2_b64 v[8:11], v20 offset1:1
	ds_read2_b64 v[12:15], v20 offset0:2 offset1:3
	ds_read2_b64 v[16:19], v20 offset0:4 offset1:5
	;; [unrolled: 1-line block ×3, first 2 shown]
	s_add_u32 s14, s14, 8
	s_waitcnt lgkmcnt(3)
	v_cmp_gt_i64_e32 vcc, v[4:5], v[8:9]
	v_cndmask_b32_e64 v8, 0, 1, vcc
	v_cmp_gt_i64_e32 vcc, v[4:5], v[10:11]
	v_cndmask_b32_e64 v9, 0, 1, vcc
	s_waitcnt lgkmcnt(2)
	v_cmp_gt_i64_e32 vcc, v[4:5], v[12:13]
	v_cndmask_b32_e64 v10, 0, 1, vcc
	v_cmp_gt_i64_e32 vcc, v[4:5], v[14:15]
	v_cndmask_b32_e64 v11, 0, 1, vcc
	;; [unrolled: 5-line block ×4, first 2 shown]
	v_add_co_u32_e32 v6, vcc, v6, v8
	v_addc_co_u32_e32 v7, vcc, 0, v7, vcc
	v_add_co_u32_e32 v6, vcc, v6, v9
	v_addc_co_u32_e32 v7, vcc, 0, v7, vcc
	;; [unrolled: 2-line block ×7, first 2 shown]
	s_addc_u32 s15, s15, 0
	s_add_i32 s17, s17, 64
	v_add_co_u32_e32 v6, vcc, v6, v15
	s_cmp_eq_u64 s[2:3], s[14:15]
	v_addc_co_u32_e32 v7, vcc, 0, v7, vcc
	s_cbranch_scc0 .LBB150_91
; %bb.92:                               ;   in Loop: Header=BB150_89 Depth=1
	s_mov_b64 s[14:15], s[2:3]
.LBB150_93:                             ;   in Loop: Header=BB150_89 Depth=1
	s_andn2_b64 vcc, exec, s[12:13]
	s_cbranch_vccnz .LBB150_88
; %bb.94:                               ;   in Loop: Header=BB150_89 Depth=1
	s_lshl_b32 s14, s14, 3
	s_add_i32 s17, s14, 0
	s_mov_b64 s[14:15], s[8:9]
.LBB150_95:                             ;   Parent Loop BB150_89 Depth=1
                                        ; =>  This Inner Loop Header: Depth=2
	v_mov_b32_e32 v8, s17
	ds_read_b64 v[8:9], v8
	s_add_i32 s17, s17, 8
	s_add_u32 s14, s14, -1
	s_addc_u32 s15, s15, -1
	s_cmp_lg_u64 s[14:15], 0
	s_waitcnt lgkmcnt(0)
	v_cmp_gt_i64_e32 vcc, v[4:5], v[8:9]
	v_cndmask_b32_e64 v8, 0, 1, vcc
	v_add_co_u32_e32 v6, vcc, v6, v8
	v_addc_co_u32_e32 v7, vcc, 0, v7, vcc
	s_cbranch_scc1 .LBB150_95
	s_branch .LBB150_88
.LBB150_96:
	s_endpgm
	.section	.rodata,"a",@progbits
	.p2align	6, 0x0
	.amdhsa_kernel _ZN9rocsparseL26csrgemm_fill_block_per_rowILj1024ELj64ELj32768ELj137ELj64Ell21rocsparse_complex_numIfEEEvT5_PKS3_S5_NS_24const_host_device_scalarIT6_EEPKT4_S5_PKS7_SB_S5_SD_S8_SB_S5_SD_SB_PS3_PS7_21rocsparse_index_base_SG_SG_SG_bbb
		.amdhsa_group_segment_fixed_size 0
		.amdhsa_private_segment_fixed_size 0
		.amdhsa_kernarg_size 156
		.amdhsa_user_sgpr_count 6
		.amdhsa_user_sgpr_private_segment_buffer 1
		.amdhsa_user_sgpr_dispatch_ptr 0
		.amdhsa_user_sgpr_queue_ptr 0
		.amdhsa_user_sgpr_kernarg_segment_ptr 1
		.amdhsa_user_sgpr_dispatch_id 0
		.amdhsa_user_sgpr_flat_scratch_init 0
		.amdhsa_user_sgpr_kernarg_preload_length 0
		.amdhsa_user_sgpr_kernarg_preload_offset 0
		.amdhsa_user_sgpr_private_segment_size 0
		.amdhsa_uses_dynamic_stack 0
		.amdhsa_system_sgpr_private_segment_wavefront_offset 0
		.amdhsa_system_sgpr_workgroup_id_x 1
		.amdhsa_system_sgpr_workgroup_id_y 0
		.amdhsa_system_sgpr_workgroup_id_z 0
		.amdhsa_system_sgpr_workgroup_info 0
		.amdhsa_system_vgpr_workitem_id 0
		.amdhsa_next_free_vgpr 28
		.amdhsa_next_free_sgpr 65
		.amdhsa_accum_offset 28
		.amdhsa_reserve_vcc 1
		.amdhsa_reserve_flat_scratch 0
		.amdhsa_float_round_mode_32 0
		.amdhsa_float_round_mode_16_64 0
		.amdhsa_float_denorm_mode_32 3
		.amdhsa_float_denorm_mode_16_64 3
		.amdhsa_dx10_clamp 1
		.amdhsa_ieee_mode 1
		.amdhsa_fp16_overflow 0
		.amdhsa_tg_split 0
		.amdhsa_exception_fp_ieee_invalid_op 0
		.amdhsa_exception_fp_denorm_src 0
		.amdhsa_exception_fp_ieee_div_zero 0
		.amdhsa_exception_fp_ieee_overflow 0
		.amdhsa_exception_fp_ieee_underflow 0
		.amdhsa_exception_fp_ieee_inexact 0
		.amdhsa_exception_int_div_zero 0
	.end_amdhsa_kernel
	.section	.text._ZN9rocsparseL26csrgemm_fill_block_per_rowILj1024ELj64ELj32768ELj137ELj64Ell21rocsparse_complex_numIfEEEvT5_PKS3_S5_NS_24const_host_device_scalarIT6_EEPKT4_S5_PKS7_SB_S5_SD_S8_SB_S5_SD_SB_PS3_PS7_21rocsparse_index_base_SG_SG_SG_bbb,"axG",@progbits,_ZN9rocsparseL26csrgemm_fill_block_per_rowILj1024ELj64ELj32768ELj137ELj64Ell21rocsparse_complex_numIfEEEvT5_PKS3_S5_NS_24const_host_device_scalarIT6_EEPKT4_S5_PKS7_SB_S5_SD_S8_SB_S5_SD_SB_PS3_PS7_21rocsparse_index_base_SG_SG_SG_bbb,comdat
.Lfunc_end150:
	.size	_ZN9rocsparseL26csrgemm_fill_block_per_rowILj1024ELj64ELj32768ELj137ELj64Ell21rocsparse_complex_numIfEEEvT5_PKS3_S5_NS_24const_host_device_scalarIT6_EEPKT4_S5_PKS7_SB_S5_SD_S8_SB_S5_SD_SB_PS3_PS7_21rocsparse_index_base_SG_SG_SG_bbb, .Lfunc_end150-_ZN9rocsparseL26csrgemm_fill_block_per_rowILj1024ELj64ELj32768ELj137ELj64Ell21rocsparse_complex_numIfEEEvT5_PKS3_S5_NS_24const_host_device_scalarIT6_EEPKT4_S5_PKS7_SB_S5_SD_S8_SB_S5_SD_SB_PS3_PS7_21rocsparse_index_base_SG_SG_SG_bbb
                                        ; -- End function
	.section	.AMDGPU.csdata,"",@progbits
; Kernel info:
; codeLenInByte = 3472
; NumSgprs: 69
; NumVgprs: 28
; NumAgprs: 0
; TotalNumVgprs: 28
; ScratchSize: 0
; MemoryBound: 0
; FloatMode: 240
; IeeeMode: 1
; LDSByteSize: 0 bytes/workgroup (compile time only)
; SGPRBlocks: 8
; VGPRBlocks: 3
; NumSGPRsForWavesPerEU: 69
; NumVGPRsForWavesPerEU: 28
; AccumOffset: 28
; Occupancy: 8
; WaveLimiterHint : 1
; COMPUTE_PGM_RSRC2:SCRATCH_EN: 0
; COMPUTE_PGM_RSRC2:USER_SGPR: 6
; COMPUTE_PGM_RSRC2:TRAP_HANDLER: 0
; COMPUTE_PGM_RSRC2:TGID_X_EN: 1
; COMPUTE_PGM_RSRC2:TGID_Y_EN: 0
; COMPUTE_PGM_RSRC2:TGID_Z_EN: 0
; COMPUTE_PGM_RSRC2:TIDIG_COMP_CNT: 0
; COMPUTE_PGM_RSRC3_GFX90A:ACCUM_OFFSET: 6
; COMPUTE_PGM_RSRC3_GFX90A:TG_SPLIT: 0
	.section	.text._ZN9rocsparseL36csrgemm_fill_block_per_row_multipassILj512ELj16ELj2048ELj32Ell21rocsparse_complex_numIfEEEvT4_PKS3_S5_NS_24const_host_device_scalarIT5_EEPKT3_S5_PKS7_SB_S5_SD_S8_SB_S5_SD_SB_PS3_PS7_PS9_21rocsparse_index_base_SH_SH_SH_bbb,"axG",@progbits,_ZN9rocsparseL36csrgemm_fill_block_per_row_multipassILj512ELj16ELj2048ELj32Ell21rocsparse_complex_numIfEEEvT4_PKS3_S5_NS_24const_host_device_scalarIT5_EEPKT3_S5_PKS7_SB_S5_SD_S8_SB_S5_SD_SB_PS3_PS7_PS9_21rocsparse_index_base_SH_SH_SH_bbb,comdat
	.globl	_ZN9rocsparseL36csrgemm_fill_block_per_row_multipassILj512ELj16ELj2048ELj32Ell21rocsparse_complex_numIfEEEvT4_PKS3_S5_NS_24const_host_device_scalarIT5_EEPKT3_S5_PKS7_SB_S5_SD_S8_SB_S5_SD_SB_PS3_PS7_PS9_21rocsparse_index_base_SH_SH_SH_bbb ; -- Begin function _ZN9rocsparseL36csrgemm_fill_block_per_row_multipassILj512ELj16ELj2048ELj32Ell21rocsparse_complex_numIfEEEvT4_PKS3_S5_NS_24const_host_device_scalarIT5_EEPKT3_S5_PKS7_SB_S5_SD_S8_SB_S5_SD_SB_PS3_PS7_PS9_21rocsparse_index_base_SH_SH_SH_bbb
	.p2align	8
	.type	_ZN9rocsparseL36csrgemm_fill_block_per_row_multipassILj512ELj16ELj2048ELj32Ell21rocsparse_complex_numIfEEEvT4_PKS3_S5_NS_24const_host_device_scalarIT5_EEPKT3_S5_PKS7_SB_S5_SD_S8_SB_S5_SD_SB_PS3_PS7_PS9_21rocsparse_index_base_SH_SH_SH_bbb,@function
_ZN9rocsparseL36csrgemm_fill_block_per_row_multipassILj512ELj16ELj2048ELj32Ell21rocsparse_complex_numIfEEEvT4_PKS3_S5_NS_24const_host_device_scalarIT5_EEPKT3_S5_PKS7_SB_S5_SD_S8_SB_S5_SD_SB_PS3_PS7_PS9_21rocsparse_index_base_SH_SH_SH_bbb: ; @_ZN9rocsparseL36csrgemm_fill_block_per_row_multipassILj512ELj16ELj2048ELj32Ell21rocsparse_complex_numIfEEEvT4_PKS3_S5_NS_24const_host_device_scalarIT5_EEPKT3_S5_PKS7_SB_S5_SD_S8_SB_S5_SD_SB_PS3_PS7_PS9_21rocsparse_index_base_SH_SH_SH_bbb
; %bb.0:
	s_load_dwordx8 s[40:47], s[4:5], 0x80
	s_load_dword s7, s[4:5], 0xa0
	s_load_dwordx8 s[8:15], s[4:5], 0x60
                                        ; implicit-def: $vgpr43 : SGPR spill to VGPR lane
	s_mov_b32 s73, 0
	s_mov_b32 s33, 0
	s_waitcnt lgkmcnt(0)
	s_bitcmp1_b32 s7, 0
	v_writelane_b32 v43, s8, 0
	v_writelane_b32 v43, s9, 1
	;; [unrolled: 1-line block ×8, first 2 shown]
	s_load_dwordx8 s[56:63], s[4:5], 0x40
	s_load_dwordx4 s[8:11], s[4:5], 0x8
	s_load_dwordx8 s[64:71], s[4:5], 0x20
	s_cselect_b64 s[12:13], -1, 0
	s_bitcmp1_b32 s7, 16
	s_cselect_b64 s[0:1], -1, 0
	s_xor_b64 s[2:3], s[0:1], -1
	s_bitcmp0_b32 s7, 0
	s_cbranch_scc1 .LBB151_5
; %bb.1:
	s_load_dwordx2 s[72:73], s[4:5], 0x18
	v_cndmask_b32_e64 v1, 0, 1, s[2:3]
	v_cmp_ne_u32_e64 s[0:1], 1, v1
	s_andn2_b64 vcc, exec, s[2:3]
	s_waitcnt lgkmcnt(0)
	s_mov_b32 s33, s72
	s_cbranch_vccnz .LBB151_3
; %bb.2:
	s_load_dword s33, s[72:73], 0x0
.LBB151_3:
	s_and_b64 vcc, exec, s[0:1]
	s_cbranch_vccnz .LBB151_5
; %bb.4:
	s_load_dword s73, s[72:73], 0x4
.LBB151_5:
	s_bitcmp1_b32 s7, 8
	s_cselect_b64 s[0:1], -1, 0
	v_writelane_b32 v43, s0, 8
	v_writelane_b32 v43, s1, 9
	s_bfe_u32 s0, s7, 0x10008
	s_mov_b32 s86, 0
	s_cmp_eq_u32 s0, 0
	s_mov_b32 s72, 0
	s_cbranch_scc1 .LBB151_11
; %bb.6:
	v_cndmask_b32_e64 v1, 0, 1, s[2:3]
	v_cmp_ne_u32_e64 s[0:1], 1, v1
	s_andn2_b64 vcc, exec, s[2:3]
	s_waitcnt lgkmcnt(0)
	s_mov_b32 s72, s60
	s_cbranch_vccnz .LBB151_8
; %bb.7:
	s_load_dword s72, s[60:61], 0x0
.LBB151_8:
	s_and_b64 vcc, exec, s[0:1]
	s_cbranch_vccnz .LBB151_10
; %bb.9:
	s_load_dword s61, s[60:61], 0x4
.LBB151_10:
	s_waitcnt lgkmcnt(0)
	s_mov_b32 s86, s61
.LBB151_11:
	s_waitcnt lgkmcnt(0)
	s_load_dwordx2 s[0:1], s[8:9], 0x0
	s_mov_b32 s7, 0
	v_cndmask_b32_e64 v1, 0, 1, s[12:13]
	s_mov_b64 s[60:61], 0
	s_waitcnt lgkmcnt(0)
	s_lshl_b64 s[0:1], s[0:1], 3
	s_add_u32 s2, s10, s0
	s_addc_u32 s3, s11, s1
	s_lshl_b64 s[0:1], s[6:7], 3
	s_add_u32 s0, s2, s0
	s_addc_u32 s1, s3, s1
	s_load_dwordx2 s[6:7], s[0:1], 0x0
	v_cmp_ne_u32_e64 s[0:1], 1, v1
	s_andn2_b64 vcc, exec, s[12:13]
	s_mov_b64 s[2:3], 0
	s_cbranch_vccz .LBB151_14
; %bb.12:
	s_and_b64 vcc, exec, s[0:1]
	s_cbranch_vccz .LBB151_15
.LBB151_13:
	s_load_dwordx2 s[64:65], s[4:5], 0x0
	s_waitcnt lgkmcnt(0)
	v_cmp_lt_i64_e64 s[0:1], s[64:65], 1
	s_and_b64 vcc, exec, s[0:1]
	s_cbranch_vccz .LBB151_16
	s_branch .LBB151_70
.LBB151_14:
	s_waitcnt lgkmcnt(0)
	s_lshl_b64 s[2:3], s[6:7], 3
	s_add_u32 s2, s64, s2
	s_addc_u32 s3, s65, s3
	s_load_dwordx2 s[2:3], s[2:3], 0x0
	s_waitcnt lgkmcnt(0)
	s_sub_u32 s2, s2, s44
	s_subb_u32 s3, s3, 0
	s_and_b64 vcc, exec, s[0:1]
	s_cbranch_vccnz .LBB151_13
.LBB151_15:
	s_waitcnt lgkmcnt(0)
	s_lshl_b64 s[0:1], s[6:7], 3
	s_add_u32 s0, s64, s0
	s_addc_u32 s1, s65, s1
	s_load_dwordx2 s[0:1], s[0:1], 0x8
	s_waitcnt lgkmcnt(0)
	s_sub_u32 s60, s0, s44
	s_subb_u32 s61, s1, 0
	s_load_dwordx2 s[64:65], s[4:5], 0x0
	s_waitcnt lgkmcnt(0)
	v_cmp_lt_i64_e64 s[0:1], s[64:65], 1
	s_and_b64 vcc, exec, s[0:1]
	s_cbranch_vccnz .LBB151_70
.LBB151_16:
	v_readlane_b32 s48, v43, 0
	s_lshl_b64 s[4:5], s[6:7], 3
	v_readlane_b32 s52, v43, 4
	v_readlane_b32 s53, v43, 5
	s_add_u32 s0, s52, s4
	s_addc_u32 s1, s53, s5
	s_load_dwordx2 s[0:1], s[0:1], 0x0
	v_readlane_b32 s49, v43, 1
	v_readlane_b32 s50, v43, 2
	;; [unrolled: 1-line block ×4, first 2 shown]
	s_waitcnt lgkmcnt(0)
	s_sub_u32 s38, s0, s46
	s_subb_u32 s39, s1, 0
	v_cmp_eq_u32_e64 s[0:1], 0, v0
	v_readlane_b32 s55, v43, 7
	v_writelane_b32 v43, s0, 10
	v_writelane_b32 v43, s1, 11
	s_add_u32 s0, s62, s4
	s_addc_u32 s1, s63, s5
	v_lshrrev_b32_e32 v1, 4, v0
	v_writelane_b32 v43, s0, 12
	v_subrev_co_u32_e64 v34, s[4:5], s47, v0
	v_mov_b32_e32 v3, s3
	v_add_co_u32_e32 v6, vcc, s2, v1
	v_writelane_b32 v43, s1, 13
	v_subb_co_u32_e64 v35, s[4:5], 0, 0, s[4:5]
	s_movk_i32 s0, 0x1ff
	v_addc_co_u32_e32 v7, vcc, 0, v3, vcc
	v_cmp_eq_u32_e64 s[4:5], s0, v0
	s_movk_i32 s0, 0x60
	v_cmp_gt_i64_e32 vcc, s[60:61], v[6:7]
	v_cmp_gt_u32_e64 s[10:11], s0, v0
	s_movk_i32 s0, 0x80
	s_and_b64 s[62:63], s[12:13], vcc
	v_cmp_gt_u32_e64 s[12:13], s0, v0
	s_movk_i32 s0, 0xa0
	v_cmp_gt_u32_e64 s[14:15], s0, v0
	s_movk_i32 s0, 0xc0
	v_cmp_gt_u32_e64 s[16:17], s0, v0
	s_movk_i32 s0, 0xe0
	v_cmp_gt_u32_e64 s[18:19], s0, v0
	s_movk_i32 s0, 0x100
	s_add_u32 s91, s70, 8
	v_cmp_gt_u32_e64 s[20:21], s0, v0
	s_movk_i32 s0, 0x120
	s_addc_u32 s92, s71, 0
	v_cmp_gt_u32_e64 s[22:23], s0, v0
	s_movk_i32 s0, 0x140
	s_add_u32 s93, s54, -8
	v_cmp_gt_u32_e64 s[24:25], s0, v0
	s_movk_i32 s0, 0x160
	s_addc_u32 s94, s55, -1
	v_cmp_gt_u32_e64 s[26:27], s0, v0
	s_movk_i32 s0, 0x180
	s_add_u32 s95, s40, -8
	v_mbcnt_lo_u32_b32 v1, -1, 0
	v_cmp_gt_u32_e64 s[28:29], s0, v0
	s_movk_i32 s0, 0x1a0
	s_addc_u32 s48, s41, -1
	v_mbcnt_hi_u32_b32 v1, -1, v1
	v_cmp_gt_u32_e64 s[30:31], s0, v0
	s_movk_i32 s0, 0x1c0
	s_add_u32 s49, s58, 4
	v_sub_u32_e32 v1, 63, v1
	v_cmp_gt_u32_e64 s[34:35], s0, v0
	s_movk_i32 s0, 0x1e0
	s_addc_u32 s52, s59, 0
	v_add_co_u32_e32 v39, vcc, s46, v0
	s_mov_b32 s87, 0
	v_and_b32_e32 v2, 15, v0
	v_mov_b32_e32 v4, 0
	v_lshrrev_b64 v[8:9], v1, -1
	v_lshrrev_b32_e32 v1, 3, v0
	v_cmp_gt_u32_e64 s[36:37], s0, v0
	v_addc_co_u32_e64 v40, s[40:41], 0, 0, vcc
	s_add_u32 s0, s50, 4
	v_mov_b32_e32 v10, 0x800
	s_mov_b32 s88, s87
	v_cmp_eq_u32_e64 s[2:3], 15, v2
	s_mov_b32 s89, s47
	s_mov_b32 s90, s87
	v_and_b32_e32 v36, 60, v1
	v_cmp_gt_u32_e64 s[6:7], 32, v0
	v_cmp_gt_u32_e64 s[8:9], 64, v0
	v_or_b32_e32 v37, 0xfffffe00, v0
	v_lshlrev_b32_e32 v38, 3, v0
	v_writelane_b32 v43, s0, 14
	s_addc_u32 s0, s51, 0
	v_pk_mov_b32 v[0:1], s[38:39], s[38:39] op_sel:[0,1]
	s_mov_b64 s[40:41], 0
	v_mov_b32_e32 v11, 0
	v_mov_b32_e32 v5, v4
	;; [unrolled: 1-line block ×3, first 2 shown]
	s_movk_i32 s53, 0x5ff
	v_writelane_b32 v43, s0, 15
	s_branch .LBB151_18
.LBB151_17:                             ;   in Loop: Header=BB151_18 Depth=1
	s_or_b64 exec, exec, s[38:39]
	ds_read_b64 v[12:13], v4 offset:18432
	s_waitcnt lgkmcnt(0)
	s_barrier
	v_add_co_u32_e32 v10, vcc, 0x800, v12
	v_addc_co_u32_e32 v11, vcc, 0, v13, vcc
	v_cmp_le_i64_e32 vcc, s[64:65], v[12:13]
	v_readfirstlane_b32 s40, v12
	v_readfirstlane_b32 s41, v13
	s_cbranch_vccnz .LBB151_70
.LBB151_18:                             ; =>This Loop Header: Depth=1
                                        ;     Child Loop BB151_19 Depth 2
                                        ;     Child Loop BB151_25 Depth 2
                                        ;       Child Loop BB151_33 Depth 3
                                        ;     Child Loop BB151_49 Depth 2
                                        ;     Child Loop BB151_61 Depth 2
	;; [unrolled: 1-line block ×3, first 2 shown]
	s_mov_b64 s[38:39], 0
	v_mov_b32_e32 v3, v38
	v_mov_b32_e32 v12, v37
.LBB151_19:                             ;   Parent Loop BB151_18 Depth=1
                                        ; =>  This Inner Loop Header: Depth=2
	ds_write_b8 v12, v4 offset:16896
	ds_write_b64 v3, v[4:5]
	v_add_u32_e32 v12, 0x200, v12
	v_cmp_lt_u32_e32 vcc, s53, v12
	s_or_b64 s[38:39], vcc, s[38:39]
	v_add_u32_e32 v3, 0x1000, v3
	s_andn2_b64 exec, exec, s[38:39]
	s_cbranch_execnz .LBB151_19
; %bb.20:                               ;   in Loop: Header=BB151_18 Depth=1
	s_or_b64 exec, exec, s[38:39]
	v_readlane_b32 s0, v43, 10
	v_readlane_b32 s1, v43, 11
	s_and_saveexec_b64 s[38:39], s[0:1]
	s_cbranch_execz .LBB151_22
; %bb.21:                               ;   in Loop: Header=BB151_18 Depth=1
	v_pk_mov_b32 v[12:13], s[64:65], s[64:65] op_sel:[0,1]
	ds_write_b64 v4, v[12:13] offset:18432
.LBB151_22:                             ;   in Loop: Header=BB151_18 Depth=1
	s_or_b64 exec, exec, s[38:39]
	v_pk_mov_b32 v[12:13], s[64:65], s[64:65] op_sel:[0,1]
	s_waitcnt lgkmcnt(0)
	s_barrier
	s_and_saveexec_b64 s[46:47], s[62:63]
	s_cbranch_execz .LBB151_45
; %bb.23:                               ;   in Loop: Header=BB151_18 Depth=1
	s_cmp_lg_u64 s[40:41], 0
	s_mov_b64 s[50:51], 0
	s_cselect_b64 s[54:55], -1, 0
	v_pk_mov_b32 v[12:13], s[64:65], s[64:65] op_sel:[0,1]
	v_pk_mov_b32 v[14:15], v[6:7], v[6:7] op_sel:[0,1]
	s_branch .LBB151_25
.LBB151_24:                             ;   in Loop: Header=BB151_25 Depth=2
	s_or_b64 exec, exec, s[38:39]
	v_add_co_u32_e32 v14, vcc, 32, v14
	v_addc_co_u32_e32 v15, vcc, 0, v15, vcc
	v_cmp_le_i64_e32 vcc, s[60:61], v[14:15]
	s_or_b64 s[50:51], vcc, s[50:51]
	s_andn2_b64 exec, exec, s[50:51]
	s_cbranch_execz .LBB151_44
.LBB151_25:                             ;   Parent Loop BB151_18 Depth=1
                                        ; =>  This Loop Header: Depth=2
                                        ;       Child Loop BB151_33 Depth 3
	v_lshlrev_b64 v[16:17], 3, v[14:15]
	v_mov_b32_e32 v3, s67
	v_add_co_u32_e32 v18, vcc, s66, v16
	v_addc_co_u32_e32 v19, vcc, v3, v17, vcc
	global_load_dwordx2 v[20:21], v[18:19], off
	v_mov_b32_e32 v3, s69
	v_add_co_u32_e32 v18, vcc, s68, v16
	v_addc_co_u32_e32 v19, vcc, v3, v17, vcc
	global_load_dwordx2 v[22:23], v[18:19], off
	s_and_b64 vcc, exec, s[54:55]
	s_cbranch_vccz .LBB151_27
; %bb.26:                               ;   in Loop: Header=BB151_25 Depth=2
	v_mov_b32_e32 v3, s43
	v_add_co_u32_e32 v18, vcc, s42, v16
	v_addc_co_u32_e32 v19, vcc, v3, v17, vcc
	global_load_dwordx2 v[18:19], v[18:19], off
	s_mov_b64 s[38:39], 0
	s_branch .LBB151_28
.LBB151_27:                             ;   in Loop: Header=BB151_25 Depth=2
	s_mov_b64 s[38:39], -1
                                        ; implicit-def: $vgpr18_vgpr19
.LBB151_28:                             ;   in Loop: Header=BB151_25 Depth=2
	v_mov_b32_e32 v3, s88
	s_waitcnt vmcnt(1)
	v_subrev_co_u32_e32 v20, vcc, s44, v20
	v_subb_co_u32_e32 v21, vcc, v21, v3, vcc
	s_andn2_b64 vcc, exec, s[38:39]
	v_lshlrev_b64 v[20:21], 3, v[20:21]
	s_cbranch_vccnz .LBB151_30
; %bb.29:                               ;   in Loop: Header=BB151_25 Depth=2
	v_mov_b32_e32 v3, s71
	s_waitcnt vmcnt(0)
	v_add_co_u32_e32 v18, vcc, s70, v20
	v_addc_co_u32_e32 v19, vcc, v3, v21, vcc
	global_load_dwordx2 v[18:19], v[18:19], off
	v_mov_b32_e32 v3, s87
	s_waitcnt vmcnt(0)
	v_subrev_co_u32_e32 v18, vcc, s45, v18
	v_subb_co_u32_e32 v19, vcc, v19, v3, vcc
.LBB151_30:                             ;   in Loop: Header=BB151_25 Depth=2
	v_mov_b32_e32 v3, s92
	v_add_co_u32_e32 v20, vcc, s91, v20
	v_addc_co_u32_e32 v21, vcc, v3, v21, vcc
	global_load_dwordx2 v[20:21], v[20:21], off
	v_mov_b32_e32 v3, s87
	s_waitcnt vmcnt(0)
	v_subrev_co_u32_e32 v20, vcc, s45, v20
	v_subb_co_u32_e32 v21, vcc, v21, v3, vcc
	v_add_co_u32_e32 v18, vcc, v18, v2
	v_addc_co_u32_e32 v19, vcc, 0, v19, vcc
	v_cmp_lt_i64_e32 vcc, v[18:19], v[20:21]
	s_and_saveexec_b64 s[58:59], vcc
	s_cbranch_execz .LBB151_42
; %bb.31:                               ;   in Loop: Header=BB151_25 Depth=2
	v_mul_f32_e64 v3, v23, -s73
	v_mul_f32_e32 v42, s33, v23
	v_lshlrev_b64 v[24:25], 3, v[18:19]
	v_fmac_f32_e32 v3, s33, v22
	v_fmac_f32_e32 v42, s73, v22
	v_mov_b32_e32 v23, s57
	v_add_co_u32_e32 v22, vcc, s56, v24
	v_addc_co_u32_e32 v23, vcc, v23, v25, vcc
	v_mov_b32_e32 v26, s52
	v_add_co_u32_e32 v24, vcc, s49, v24
	v_addc_co_u32_e32 v25, vcc, v26, v25, vcc
	s_mov_b64 s[78:79], 0
	v_pk_mov_b32 v[28:29], v[18:19], v[18:19] op_sel:[0,1]
                                        ; implicit-def: $sgpr76_sgpr77
                                        ; implicit-def: $sgpr80_sgpr81
	s_branch .LBB151_33
.LBB151_32:                             ;   in Loop: Header=BB151_33 Depth=3
	s_or_b64 exec, exec, s[82:83]
	s_and_b64 s[0:1], exec, s[84:85]
	s_or_b64 s[78:79], s[0:1], s[78:79]
	s_andn2_b64 s[0:1], s[76:77], exec
	s_and_b64 s[38:39], s[80:81], exec
	s_or_b64 s[76:77], s[0:1], s[38:39]
	v_pk_mov_b32 v[28:29], v[30:31], v[30:31] op_sel:[0,1]
	s_andn2_b64 exec, exec, s[78:79]
	s_cbranch_execz .LBB151_39
.LBB151_33:                             ;   Parent Loop BB151_18 Depth=1
                                        ;     Parent Loop BB151_25 Depth=2
                                        ; =>    This Inner Loop Header: Depth=3
	global_load_dwordx2 v[26:27], v[22:23], off
	v_mov_b32_e32 v30, s87
	s_waitcnt vmcnt(0)
	v_subrev_co_u32_e32 v26, vcc, s45, v26
	v_subb_co_u32_e32 v27, vcc, v27, v30, vcc
	v_cmp_lt_i64_e32 vcc, v[26:27], v[10:11]
	v_cmp_gt_i64_e64 s[38:39], s[40:41], v[26:27]
	s_xor_b64 s[82:83], vcc, -1
	s_or_b64 s[84:85], s[38:39], s[82:83]
	s_mov_b64 s[38:39], 0
                                        ; implicit-def: $sgpr82_sgpr83
	s_and_saveexec_b64 s[74:75], s[84:85]
	s_xor_b64 s[84:85], exec, s[74:75]
; %bb.34:                               ;   in Loop: Header=BB151_33 Depth=3
	s_mov_b64 s[82:83], -1
	s_and_b64 s[38:39], vcc, exec
; %bb.35:                               ;   in Loop: Header=BB151_33 Depth=3
	s_andn2_saveexec_b64 s[84:85], s[84:85]
	s_cbranch_execz .LBB151_37
; %bb.36:                               ;   in Loop: Header=BB151_33 Depth=3
	global_load_dwordx2 v[30:31], v[24:25], off offset:-4
	v_subrev_u32_e32 v32, s40, v26
	ds_write_b8 v32, v41 offset:16384
	v_lshlrev_b32_e32 v32, 3, v32
	s_or_b64 s[38:39], s[38:39], exec
	s_waitcnt vmcnt(0)
	v_mul_f32_e64 v33, v31, -v42
	v_mul_f32_e32 v31, v3, v31
	v_fmac_f32_e32 v33, v3, v30
	v_fmac_f32_e32 v31, v42, v30
	ds_add_f32 v32, v33
	ds_add_f32 v32, v31 offset:4
.LBB151_37:                             ;   in Loop: Header=BB151_33 Depth=3
	s_or_b64 exec, exec, s[84:85]
	s_andn2_b64 s[0:1], s[80:81], exec
	s_and_b64 s[74:75], s[82:83], exec
	s_mov_b64 s[84:85], -1
	s_or_b64 s[80:81], s[0:1], s[74:75]
	v_pk_mov_b32 v[32:33], v[28:29], v[28:29] op_sel:[0,1]
                                        ; implicit-def: $vgpr30_vgpr31
	s_and_saveexec_b64 s[82:83], s[38:39]
	s_cbranch_execz .LBB151_32
; %bb.38:                               ;   in Loop: Header=BB151_33 Depth=3
	v_add_co_u32_e32 v30, vcc, 16, v28
	v_addc_co_u32_e32 v31, vcc, 0, v29, vcc
	v_add_co_u32_e32 v22, vcc, 0x80, v22
	v_addc_co_u32_e32 v23, vcc, 0, v23, vcc
	;; [unrolled: 2-line block ×3, first 2 shown]
	v_cmp_ge_i64_e32 vcc, v[30:31], v[20:21]
	s_andn2_b64 s[80:81], s[80:81], exec
	s_orn2_b64 s[84:85], vcc, exec
	v_pk_mov_b32 v[32:33], v[28:29], v[28:29] op_sel:[0,1]
	s_branch .LBB151_32
.LBB151_39:                             ;   in Loop: Header=BB151_25 Depth=2
	s_or_b64 exec, exec, s[78:79]
	s_and_saveexec_b64 s[0:1], s[76:77]
	s_xor_b64 s[38:39], exec, s[0:1]
; %bb.40:                               ;   in Loop: Header=BB151_25 Depth=2
	v_cmp_lt_i64_e32 vcc, v[26:27], v[12:13]
	v_cndmask_b32_e32 v13, v13, v27, vcc
	v_cndmask_b32_e32 v12, v12, v26, vcc
	v_pk_mov_b32 v[18:19], v[32:33], v[32:33] op_sel:[0,1]
; %bb.41:                               ;   in Loop: Header=BB151_25 Depth=2
	s_or_b64 exec, exec, s[38:39]
.LBB151_42:                             ;   in Loop: Header=BB151_25 Depth=2
	s_or_b64 exec, exec, s[58:59]
	v_mov_b32_dpp v20, v18 row_shr:1 row_mask:0xf bank_mask:0xf
	v_mov_b32_dpp v21, v19 row_shr:1 row_mask:0xf bank_mask:0xf
	v_cmp_lt_i64_e32 vcc, v[20:21], v[18:19]
	v_cndmask_b32_e32 v19, v19, v21, vcc
	v_cndmask_b32_e32 v18, v18, v20, vcc
	s_nop 0
	v_mov_b32_dpp v21, v19 row_shr:2 row_mask:0xf bank_mask:0xf
	v_mov_b32_dpp v20, v18 row_shr:2 row_mask:0xf bank_mask:0xf
	v_cmp_lt_i64_e32 vcc, v[20:21], v[18:19]
	v_cndmask_b32_e32 v19, v19, v21, vcc
	v_cndmask_b32_e32 v18, v18, v20, vcc
	s_nop 0
	;; [unrolled: 6-line block ×3, first 2 shown]
	v_mov_b32_dpp v21, v19 row_shr:8 row_mask:0xf bank_mask:0xc
	v_mov_b32_dpp v20, v18 row_shr:8 row_mask:0xf bank_mask:0xc
	s_and_saveexec_b64 s[38:39], s[2:3]
	s_cbranch_execz .LBB151_24
; %bb.43:                               ;   in Loop: Header=BB151_25 Depth=2
	v_cmp_lt_i64_e32 vcc, v[20:21], v[18:19]
	v_cndmask_b32_e32 v19, v19, v21, vcc
	v_cndmask_b32_e32 v18, v18, v20, vcc
	v_mov_b32_e32 v3, s43
	v_add_co_u32_e32 v16, vcc, s42, v16
	v_addc_co_u32_e32 v17, vcc, v3, v17, vcc
	global_store_dwordx2 v[16:17], v[18:19], off
	s_branch .LBB151_24
.LBB151_44:                             ;   in Loop: Header=BB151_18 Depth=1
	s_or_b64 exec, exec, s[50:51]
.LBB151_45:                             ;   in Loop: Header=BB151_18 Depth=1
	s_or_b64 exec, exec, s[46:47]
	v_readlane_b32 s0, v43, 8
	v_readlane_b32 s1, v43, 9
	s_andn2_b64 vcc, exec, s[0:1]
	s_cbranch_vccnz .LBB151_59
; %bb.46:                               ;   in Loop: Header=BB151_18 Depth=1
	v_readlane_b32 s0, v43, 12
	v_readlane_b32 s1, v43, 13
	s_load_dwordx4 s[76:79], s[0:1], 0x0
	s_waitcnt lgkmcnt(0)
	s_sub_u32 s50, s78, s89
	v_mov_b32_e32 v3, s77
	v_add_co_u32_e32 v14, vcc, s76, v34
	s_subb_u32 s51, s79, 0
	v_addc_co_u32_e32 v15, vcc, v3, v35, vcc
	v_cmp_gt_i64_e32 vcc, s[50:51], v[14:15]
	s_and_saveexec_b64 s[46:47], vcc
	s_cbranch_execz .LBB151_58
; %bb.47:                               ;   in Loop: Header=BB151_18 Depth=1
	v_readlane_b32 s76, v43, 0
	v_readlane_b32 s77, v43, 1
	v_lshlrev_b64 v[18:19], 3, v[14:15]
	s_mov_b64 s[0:1], s[76:77]
	v_mov_b32_e32 v3, s1
	v_add_co_u32_e32 v16, vcc, s0, v18
	v_readlane_b32 s0, v43, 15
	v_addc_co_u32_e32 v17, vcc, v3, v19, vcc
	v_mov_b32_e32 v3, s0
	v_readlane_b32 s0, v43, 14
	v_add_co_u32_e32 v18, vcc, s0, v18
	v_addc_co_u32_e32 v19, vcc, v3, v19, vcc
	s_mov_b64 s[54:55], 0
	v_readlane_b32 s78, v43, 2
	v_readlane_b32 s79, v43, 3
	v_readlane_b32 s80, v43, 4
	v_readlane_b32 s81, v43, 5
	v_readlane_b32 s82, v43, 6
	v_readlane_b32 s83, v43, 7
                                        ; implicit-def: $sgpr58_sgpr59
                                        ; implicit-def: $sgpr76_sgpr77
	s_branch .LBB151_49
.LBB151_48:                             ;   in Loop: Header=BB151_49 Depth=2
	s_or_b64 exec, exec, s[78:79]
	s_and_b64 s[0:1], exec, s[80:81]
	s_or_b64 s[54:55], s[0:1], s[54:55]
	s_andn2_b64 s[0:1], s[58:59], exec
	s_and_b64 s[38:39], s[76:77], exec
	s_or_b64 s[58:59], s[0:1], s[38:39]
	s_andn2_b64 exec, exec, s[54:55]
	s_cbranch_execz .LBB151_55
.LBB151_49:                             ;   Parent Loop BB151_18 Depth=1
                                        ; =>  This Inner Loop Header: Depth=2
	global_load_dwordx2 v[20:21], v[16:17], off
	v_mov_b32_e32 v3, s90
                                        ; implicit-def: $sgpr78_sgpr79
	s_waitcnt vmcnt(0)
	v_subrev_co_u32_e32 v20, vcc, s89, v20
	v_subb_co_u32_e32 v21, vcc, v21, v3, vcc
	v_cmp_lt_i64_e32 vcc, v[20:21], v[10:11]
	v_cmp_gt_i64_e64 s[38:39], s[40:41], v[20:21]
	s_xor_b64 s[0:1], vcc, -1
	s_or_b64 s[0:1], s[38:39], s[0:1]
	s_mov_b64 s[38:39], 0
	s_and_saveexec_b64 s[74:75], s[0:1]
	s_xor_b64 s[80:81], exec, s[74:75]
; %bb.50:                               ;   in Loop: Header=BB151_49 Depth=2
	s_mov_b64 s[78:79], -1
	s_and_b64 s[38:39], vcc, exec
; %bb.51:                               ;   in Loop: Header=BB151_49 Depth=2
	s_andn2_saveexec_b64 s[80:81], s[80:81]
	s_cbranch_execz .LBB151_53
; %bb.52:                               ;   in Loop: Header=BB151_49 Depth=2
	global_load_dwordx2 v[22:23], v[18:19], off offset:-4
	v_subrev_u32_e32 v3, s40, v20
	ds_write_b8 v3, v41 offset:16384
	v_lshlrev_b32_e32 v3, 3, v3
	s_or_b64 s[38:39], s[38:39], exec
	s_waitcnt vmcnt(0)
	v_mul_f32_e64 v24, v23, -s86
	v_mul_f32_e32 v23, s72, v23
	v_fmac_f32_e32 v24, s72, v22
	v_fmac_f32_e32 v23, s86, v22
	ds_add_f32 v3, v24
	ds_add_f32 v3, v23 offset:4
.LBB151_53:                             ;   in Loop: Header=BB151_49 Depth=2
	s_or_b64 exec, exec, s[80:81]
	s_andn2_b64 s[0:1], s[76:77], exec
	s_and_b64 s[74:75], s[78:79], exec
	s_mov_b64 s[80:81], -1
	s_or_b64 s[76:77], s[0:1], s[74:75]
	s_and_saveexec_b64 s[78:79], s[38:39]
	s_cbranch_execz .LBB151_48
; %bb.54:                               ;   in Loop: Header=BB151_49 Depth=2
	v_add_co_u32_e32 v14, vcc, 0x200, v14
	v_addc_co_u32_e32 v15, vcc, 0, v15, vcc
	v_add_co_u32_e32 v16, vcc, 0x1000, v16
	v_addc_co_u32_e32 v17, vcc, 0, v17, vcc
	;; [unrolled: 2-line block ×3, first 2 shown]
	v_cmp_le_i64_e32 vcc, s[50:51], v[14:15]
	s_andn2_b64 s[76:77], s[76:77], exec
	s_orn2_b64 s[80:81], vcc, exec
	s_branch .LBB151_48
.LBB151_55:                             ;   in Loop: Header=BB151_18 Depth=1
	s_or_b64 exec, exec, s[54:55]
	s_and_saveexec_b64 s[0:1], s[58:59]
	s_xor_b64 s[38:39], exec, s[0:1]
; %bb.56:                               ;   in Loop: Header=BB151_18 Depth=1
	v_cmp_lt_i64_e32 vcc, v[20:21], v[12:13]
	v_cndmask_b32_e32 v13, v13, v21, vcc
	v_cndmask_b32_e32 v12, v12, v20, vcc
; %bb.57:                               ;   in Loop: Header=BB151_18 Depth=1
	s_or_b64 exec, exec, s[38:39]
.LBB151_58:                             ;   in Loop: Header=BB151_18 Depth=1
	s_or_b64 exec, exec, s[46:47]
.LBB151_59:                             ;   in Loop: Header=BB151_18 Depth=1
	v_mov_b32_dpp v10, v12 row_shr:1 row_mask:0xf bank_mask:0xf
	v_mov_b32_dpp v11, v13 row_shr:1 row_mask:0xf bank_mask:0xf
	v_cmp_lt_i64_e32 vcc, v[10:11], v[12:13]
	v_cndmask_b32_e32 v11, v13, v11, vcc
	v_cndmask_b32_e32 v10, v12, v10, vcc
	s_nop 0
	v_mov_b32_dpp v13, v11 row_shr:2 row_mask:0xf bank_mask:0xf
	v_mov_b32_dpp v12, v10 row_shr:2 row_mask:0xf bank_mask:0xf
	v_cmp_lt_i64_e32 vcc, v[12:13], v[10:11]
	v_cndmask_b32_e32 v11, v11, v13, vcc
	v_cndmask_b32_e32 v10, v10, v12, vcc
	s_nop 0
	;; [unrolled: 6-line block ×3, first 2 shown]
	v_mov_b32_dpp v13, v11 row_shr:8 row_mask:0xf bank_mask:0xc
	v_mov_b32_dpp v12, v10 row_shr:8 row_mask:0xf bank_mask:0xc
	s_and_saveexec_b64 s[38:39], s[2:3]
	s_cbranch_execz .LBB151_64
; %bb.60:                               ;   in Loop: Header=BB151_18 Depth=1
	v_cmp_lt_i64_e32 vcc, v[12:13], v[10:11]
	s_mov_b64 s[50:51], exec
	v_cndmask_b32_e32 v3, v11, v13, vcc
	v_cndmask_b32_e32 v10, v10, v12, vcc
	s_mov_b64 s[46:47], -1
.LBB151_61:                             ;   Parent Loop BB151_18 Depth=1
                                        ; =>  This Inner Loop Header: Depth=2
	s_ff1_i32_b64 s54, s[50:51]
	v_readlane_b32 s55, v3, s54
	v_readlane_b32 s58, v10, s54
	v_mov_b32_e32 v12, s58
	v_mov_b32_e32 v13, s55
	v_cmp_lt_u64_e32 vcc, s[46:47], v[12:13]
	s_and_b64 s[0:1], vcc, exec
	s_cselect_b32 s47, s47, s55
	s_cselect_b32 s46, s46, s58
	s_lshl_b64 s[0:1], 1, s54
	s_andn2_b64 s[50:51], s[50:51], s[0:1]
	s_cmp_lg_u64 s[50:51], 0
	s_cbranch_scc1 .LBB151_61
; %bb.62:                               ;   in Loop: Header=BB151_18 Depth=1
	v_mbcnt_lo_u32_b32 v3, exec_lo, 0
	v_mbcnt_hi_u32_b32 v3, exec_hi, v3
	v_cmp_eq_u32_e32 vcc, 0, v3
	s_and_saveexec_b64 s[0:1], vcc
	s_xor_b64 s[0:1], exec, s[0:1]
	s_cbranch_execz .LBB151_64
; %bb.63:                               ;   in Loop: Header=BB151_18 Depth=1
	v_pk_mov_b32 v[10:11], s[46:47], s[46:47] op_sel:[0,1]
	ds_min_u64 v4, v[10:11] offset:18432
.LBB151_64:                             ;   in Loop: Header=BB151_18 Depth=1
	s_or_b64 exec, exec, s[38:39]
	v_mov_b32_e32 v3, s41
	v_add_co_u32_e32 v10, vcc, s40, v39
	v_addc_co_u32_e32 v11, vcc, v40, v3, vcc
	s_mov_b64 s[38:39], 0
	v_mov_b32_e32 v3, v38
	v_mov_b32_e32 v14, v37
	s_waitcnt lgkmcnt(0)
	s_barrier
	s_branch .LBB151_66
.LBB151_65:                             ;   in Loop: Header=BB151_66 Depth=2
	s_or_b64 exec, exec, s[40:41]
	s_waitcnt lgkmcnt(0)
	s_barrier
	ds_read_b32 v12, v4 offset:60
	v_add_u32_e32 v14, 0x200, v14
	v_add_u32_e32 v3, 0x1000, v3
	s_waitcnt lgkmcnt(0)
	v_ashrrev_i32_e32 v13, 31, v12
	v_add_co_u32_e32 v0, vcc, v0, v12
	v_addc_co_u32_e32 v1, vcc, v1, v13, vcc
	v_add_co_u32_e32 v10, vcc, 0x200, v10
	v_addc_co_u32_e32 v11, vcc, 0, v11, vcc
	v_cmp_lt_u32_e32 vcc, s53, v14
	s_or_b64 s[38:39], vcc, s[38:39]
	s_andn2_b64 exec, exec, s[38:39]
	s_cbranch_execz .LBB151_17
.LBB151_66:                             ;   Parent Loop BB151_18 Depth=1
                                        ; =>  This Inner Loop Header: Depth=2
	ds_read_u8 v31, v14 offset:16896
	ds_read_b64 v[12:13], v3
	s_waitcnt lgkmcnt(0)
	s_barrier
	v_cmp_ne_u16_e32 vcc, 0, v31
	s_bcnt1_i32_b64 s0, vcc
	v_and_b32_e32 v16, vcc_lo, v8
	v_bcnt_u32_b32 v20, v16, 0
	v_mov_b32_e32 v16, s0
	ds_write_b32 v36, v16
	s_waitcnt lgkmcnt(0)
	s_barrier
	ds_read_b128 v[16:19], v4
	v_and_b32_e32 v15, vcc_hi, v9
	v_bcnt_u32_b32 v15, v15, v20
	ds_read_b128 v[20:23], v4 offset:16
	ds_read_b128 v[24:27], v4 offset:32
	ds_read_b96 v[28:30], v4 offset:48
	s_waitcnt lgkmcnt(3)
	v_cndmask_b32_e64 v16, v16, 0, s[6:7]
	v_add_u32_e32 v15, v16, v15
	v_cndmask_b32_e64 v16, v17, 0, s[8:9]
	v_cndmask_b32_e64 v17, v18, 0, s[10:11]
	v_add3_u32 v15, v15, v16, v17
	v_cndmask_b32_e64 v16, v19, 0, s[12:13]
	s_waitcnt lgkmcnt(2)
	v_cndmask_b32_e64 v17, v20, 0, s[14:15]
	v_add3_u32 v15, v15, v16, v17
	v_cndmask_b32_e64 v16, v21, 0, s[16:17]
	v_cndmask_b32_e64 v17, v22, 0, s[18:19]
	v_add3_u32 v15, v15, v16, v17
	v_cndmask_b32_e64 v16, v23, 0, s[20:21]
	s_waitcnt lgkmcnt(1)
	v_cndmask_b32_e64 v17, v24, 0, s[22:23]
	v_add3_u32 v15, v15, v16, v17
	;; [unrolled: 7-line block ×3, first 2 shown]
	v_cndmask_b32_e64 v16, v29, 0, s[34:35]
	v_cndmask_b32_e64 v17, v30, 0, s[36:37]
	v_add3_u32 v15, v15, v16, v17
	v_and_b32_e32 v16, 1, v31
	v_cmp_eq_u32_e32 vcc, 1, v16
	s_and_saveexec_b64 s[40:41], vcc
	s_cbranch_execz .LBB151_68
; %bb.67:                               ;   in Loop: Header=BB151_66 Depth=2
	v_ashrrev_i32_e32 v17, 31, v15
	v_add_co_u32_e32 v16, vcc, v0, v15
	v_addc_co_u32_e32 v17, vcc, v1, v17, vcc
	v_lshlrev_b64 v[16:17], 3, v[16:17]
	v_mov_b32_e32 v19, s94
	v_add_co_u32_e32 v18, vcc, s93, v16
	v_addc_co_u32_e32 v19, vcc, v19, v17, vcc
	global_store_dwordx2 v[18:19], v[10:11], off
	v_mov_b32_e32 v18, s48
	v_add_co_u32_e32 v16, vcc, s95, v16
	v_addc_co_u32_e32 v17, vcc, v18, v17, vcc
	global_store_dwordx2 v[16:17], v[12:13], off
.LBB151_68:                             ;   in Loop: Header=BB151_66 Depth=2
	s_or_b64 exec, exec, s[40:41]
	s_and_saveexec_b64 s[40:41], s[4:5]
	s_cbranch_execz .LBB151_65
; %bb.69:                               ;   in Loop: Header=BB151_66 Depth=2
	ds_write_b32 v4, v15 offset:60
	s_branch .LBB151_65
.LBB151_70:
	s_endpgm
	.section	.rodata,"a",@progbits
	.p2align	6, 0x0
	.amdhsa_kernel _ZN9rocsparseL36csrgemm_fill_block_per_row_multipassILj512ELj16ELj2048ELj32Ell21rocsparse_complex_numIfEEEvT4_PKS3_S5_NS_24const_host_device_scalarIT5_EEPKT3_S5_PKS7_SB_S5_SD_S8_SB_S5_SD_SB_PS3_PS7_PS9_21rocsparse_index_base_SH_SH_SH_bbb
		.amdhsa_group_segment_fixed_size 18440
		.amdhsa_private_segment_fixed_size 0
		.amdhsa_kernarg_size 164
		.amdhsa_user_sgpr_count 6
		.amdhsa_user_sgpr_private_segment_buffer 1
		.amdhsa_user_sgpr_dispatch_ptr 0
		.amdhsa_user_sgpr_queue_ptr 0
		.amdhsa_user_sgpr_kernarg_segment_ptr 1
		.amdhsa_user_sgpr_dispatch_id 0
		.amdhsa_user_sgpr_flat_scratch_init 0
		.amdhsa_user_sgpr_kernarg_preload_length 0
		.amdhsa_user_sgpr_kernarg_preload_offset 0
		.amdhsa_user_sgpr_private_segment_size 0
		.amdhsa_uses_dynamic_stack 0
		.amdhsa_system_sgpr_private_segment_wavefront_offset 0
		.amdhsa_system_sgpr_workgroup_id_x 1
		.amdhsa_system_sgpr_workgroup_id_y 0
		.amdhsa_system_sgpr_workgroup_id_z 0
		.amdhsa_system_sgpr_workgroup_info 0
		.amdhsa_system_vgpr_workitem_id 0
		.amdhsa_next_free_vgpr 44
		.amdhsa_next_free_sgpr 96
		.amdhsa_accum_offset 44
		.amdhsa_reserve_vcc 1
		.amdhsa_reserve_flat_scratch 0
		.amdhsa_float_round_mode_32 0
		.amdhsa_float_round_mode_16_64 0
		.amdhsa_float_denorm_mode_32 3
		.amdhsa_float_denorm_mode_16_64 3
		.amdhsa_dx10_clamp 1
		.amdhsa_ieee_mode 1
		.amdhsa_fp16_overflow 0
		.amdhsa_tg_split 0
		.amdhsa_exception_fp_ieee_invalid_op 0
		.amdhsa_exception_fp_denorm_src 0
		.amdhsa_exception_fp_ieee_div_zero 0
		.amdhsa_exception_fp_ieee_overflow 0
		.amdhsa_exception_fp_ieee_underflow 0
		.amdhsa_exception_fp_ieee_inexact 0
		.amdhsa_exception_int_div_zero 0
	.end_amdhsa_kernel
	.section	.text._ZN9rocsparseL36csrgemm_fill_block_per_row_multipassILj512ELj16ELj2048ELj32Ell21rocsparse_complex_numIfEEEvT4_PKS3_S5_NS_24const_host_device_scalarIT5_EEPKT3_S5_PKS7_SB_S5_SD_S8_SB_S5_SD_SB_PS3_PS7_PS9_21rocsparse_index_base_SH_SH_SH_bbb,"axG",@progbits,_ZN9rocsparseL36csrgemm_fill_block_per_row_multipassILj512ELj16ELj2048ELj32Ell21rocsparse_complex_numIfEEEvT4_PKS3_S5_NS_24const_host_device_scalarIT5_EEPKT3_S5_PKS7_SB_S5_SD_S8_SB_S5_SD_SB_PS3_PS7_PS9_21rocsparse_index_base_SH_SH_SH_bbb,comdat
.Lfunc_end151:
	.size	_ZN9rocsparseL36csrgemm_fill_block_per_row_multipassILj512ELj16ELj2048ELj32Ell21rocsparse_complex_numIfEEEvT4_PKS3_S5_NS_24const_host_device_scalarIT5_EEPKT3_S5_PKS7_SB_S5_SD_S8_SB_S5_SD_SB_PS3_PS7_PS9_21rocsparse_index_base_SH_SH_SH_bbb, .Lfunc_end151-_ZN9rocsparseL36csrgemm_fill_block_per_row_multipassILj512ELj16ELj2048ELj32Ell21rocsparse_complex_numIfEEEvT4_PKS3_S5_NS_24const_host_device_scalarIT5_EEPKT3_S5_PKS7_SB_S5_SD_S8_SB_S5_SD_SB_PS3_PS7_PS9_21rocsparse_index_base_SH_SH_SH_bbb
                                        ; -- End function
	.section	.AMDGPU.csdata,"",@progbits
; Kernel info:
; codeLenInByte = 3384
; NumSgprs: 100
; NumVgprs: 44
; NumAgprs: 0
; TotalNumVgprs: 44
; ScratchSize: 0
; MemoryBound: 0
; FloatMode: 240
; IeeeMode: 1
; LDSByteSize: 18440 bytes/workgroup (compile time only)
; SGPRBlocks: 12
; VGPRBlocks: 5
; NumSGPRsForWavesPerEU: 100
; NumVGPRsForWavesPerEU: 44
; AccumOffset: 44
; Occupancy: 6
; WaveLimiterHint : 1
; COMPUTE_PGM_RSRC2:SCRATCH_EN: 0
; COMPUTE_PGM_RSRC2:USER_SGPR: 6
; COMPUTE_PGM_RSRC2:TRAP_HANDLER: 0
; COMPUTE_PGM_RSRC2:TGID_X_EN: 1
; COMPUTE_PGM_RSRC2:TGID_Y_EN: 0
; COMPUTE_PGM_RSRC2:TGID_Z_EN: 0
; COMPUTE_PGM_RSRC2:TIDIG_COMP_CNT: 0
; COMPUTE_PGM_RSRC3_GFX90A:ACCUM_OFFSET: 10
; COMPUTE_PGM_RSRC3_GFX90A:TG_SPLIT: 0
	.section	.text._ZN9rocsparseL36csrgemm_fill_block_per_row_multipassILj512ELj16ELj2048ELj64Ell21rocsparse_complex_numIfEEEvT4_PKS3_S5_NS_24const_host_device_scalarIT5_EEPKT3_S5_PKS7_SB_S5_SD_S8_SB_S5_SD_SB_PS3_PS7_PS9_21rocsparse_index_base_SH_SH_SH_bbb,"axG",@progbits,_ZN9rocsparseL36csrgemm_fill_block_per_row_multipassILj512ELj16ELj2048ELj64Ell21rocsparse_complex_numIfEEEvT4_PKS3_S5_NS_24const_host_device_scalarIT5_EEPKT3_S5_PKS7_SB_S5_SD_S8_SB_S5_SD_SB_PS3_PS7_PS9_21rocsparse_index_base_SH_SH_SH_bbb,comdat
	.globl	_ZN9rocsparseL36csrgemm_fill_block_per_row_multipassILj512ELj16ELj2048ELj64Ell21rocsparse_complex_numIfEEEvT4_PKS3_S5_NS_24const_host_device_scalarIT5_EEPKT3_S5_PKS7_SB_S5_SD_S8_SB_S5_SD_SB_PS3_PS7_PS9_21rocsparse_index_base_SH_SH_SH_bbb ; -- Begin function _ZN9rocsparseL36csrgemm_fill_block_per_row_multipassILj512ELj16ELj2048ELj64Ell21rocsparse_complex_numIfEEEvT4_PKS3_S5_NS_24const_host_device_scalarIT5_EEPKT3_S5_PKS7_SB_S5_SD_S8_SB_S5_SD_SB_PS3_PS7_PS9_21rocsparse_index_base_SH_SH_SH_bbb
	.p2align	8
	.type	_ZN9rocsparseL36csrgemm_fill_block_per_row_multipassILj512ELj16ELj2048ELj64Ell21rocsparse_complex_numIfEEEvT4_PKS3_S5_NS_24const_host_device_scalarIT5_EEPKT3_S5_PKS7_SB_S5_SD_S8_SB_S5_SD_SB_PS3_PS7_PS9_21rocsparse_index_base_SH_SH_SH_bbb,@function
_ZN9rocsparseL36csrgemm_fill_block_per_row_multipassILj512ELj16ELj2048ELj64Ell21rocsparse_complex_numIfEEEvT4_PKS3_S5_NS_24const_host_device_scalarIT5_EEPKT3_S5_PKS7_SB_S5_SD_S8_SB_S5_SD_SB_PS3_PS7_PS9_21rocsparse_index_base_SH_SH_SH_bbb: ; @_ZN9rocsparseL36csrgemm_fill_block_per_row_multipassILj512ELj16ELj2048ELj64Ell21rocsparse_complex_numIfEEEvT4_PKS3_S5_NS_24const_host_device_scalarIT5_EEPKT3_S5_PKS7_SB_S5_SD_S8_SB_S5_SD_SB_PS3_PS7_PS9_21rocsparse_index_base_SH_SH_SH_bbb
; %bb.0:
	s_load_dwordx8 s[20:27], s[4:5], 0x80
	s_load_dword s7, s[4:5], 0xa0
	s_load_dwordx8 s[36:43], s[4:5], 0x60
	s_load_dwordx8 s[44:51], s[4:5], 0x40
	s_load_dwordx4 s[8:11], s[4:5], 0x8
	s_load_dwordx8 s[52:59], s[4:5], 0x20
	s_waitcnt lgkmcnt(0)
	s_bitcmp1_b32 s7, 0
	s_cselect_b64 s[12:13], -1, 0
	s_bitcmp1_b32 s7, 16
	s_cselect_b64 s[0:1], -1, 0
	s_xor_b64 s[2:3], s[0:1], -1
	s_mov_b32 s29, 0
	s_bitcmp0_b32 s7, 0
	s_mov_b32 s33, 0
	s_cbranch_scc1 .LBB152_5
; %bb.1:
	s_load_dwordx2 s[28:29], s[4:5], 0x18
	v_cndmask_b32_e64 v1, 0, 1, s[2:3]
	v_cmp_ne_u32_e64 s[0:1], 1, v1
	s_andn2_b64 vcc, exec, s[2:3]
	s_waitcnt lgkmcnt(0)
	s_mov_b32 s33, s28
	s_cbranch_vccnz .LBB152_3
; %bb.2:
	s_load_dword s33, s[28:29], 0x0
.LBB152_3:
	s_and_b64 vcc, exec, s[0:1]
	s_cbranch_vccnz .LBB152_5
; %bb.4:
	s_load_dword s29, s[28:29], 0x4
.LBB152_5:
	s_bitcmp1_b32 s7, 8
	s_cselect_b64 s[30:31], -1, 0
	s_bfe_u32 s0, s7, 0x10008
	s_mov_b32 s70, 0
	s_cmp_eq_u32 s0, 0
	s_mov_b32 s28, 0
	s_cbranch_scc1 .LBB152_11
; %bb.6:
	v_cndmask_b32_e64 v1, 0, 1, s[2:3]
	v_cmp_ne_u32_e64 s[0:1], 1, v1
	s_andn2_b64 vcc, exec, s[2:3]
	s_mov_b32 s28, s48
	s_cbranch_vccnz .LBB152_8
; %bb.7:
	s_load_dword s28, s[48:49], 0x0
.LBB152_8:
	s_and_b64 vcc, exec, s[0:1]
	s_cbranch_vccnz .LBB152_10
; %bb.9:
	s_load_dword s49, s[48:49], 0x4
.LBB152_10:
	s_waitcnt lgkmcnt(0)
	s_mov_b32 s70, s49
.LBB152_11:
	s_load_dwordx2 s[0:1], s[8:9], 0x0
	s_mov_b32 s7, 0
	v_cndmask_b32_e64 v1, 0, 1, s[12:13]
	s_mov_b64 s[34:35], 0
	s_waitcnt lgkmcnt(0)
	s_lshl_b64 s[0:1], s[0:1], 3
	s_add_u32 s2, s10, s0
	s_addc_u32 s3, s11, s1
	s_lshl_b64 s[0:1], s[6:7], 3
	s_add_u32 s0, s2, s0
	s_addc_u32 s1, s3, s1
	s_load_dwordx2 s[6:7], s[0:1], 0x0
	v_cmp_ne_u32_e64 s[0:1], 1, v1
	s_andn2_b64 vcc, exec, s[12:13]
	s_mov_b64 s[2:3], 0
	s_cbranch_vccz .LBB152_14
; %bb.12:
	s_and_b64 vcc, exec, s[0:1]
	s_cbranch_vccz .LBB152_15
.LBB152_13:
	s_load_dwordx2 s[48:49], s[4:5], 0x0
	s_waitcnt lgkmcnt(0)
	v_cmp_lt_i64_e64 s[0:1], s[48:49], 1
	s_and_b64 vcc, exec, s[0:1]
	s_cbranch_vccz .LBB152_16
	s_branch .LBB152_70
.LBB152_14:
	s_waitcnt lgkmcnt(0)
	s_lshl_b64 s[2:3], s[6:7], 3
	s_add_u32 s2, s52, s2
	s_addc_u32 s3, s53, s3
	s_load_dwordx2 s[2:3], s[2:3], 0x0
	s_waitcnt lgkmcnt(0)
	s_sub_u32 s2, s2, s24
	s_subb_u32 s3, s3, 0
	s_and_b64 vcc, exec, s[0:1]
	s_cbranch_vccnz .LBB152_13
.LBB152_15:
	s_waitcnt lgkmcnt(0)
	s_lshl_b64 s[0:1], s[6:7], 3
	s_add_u32 s0, s52, s0
	s_addc_u32 s1, s53, s1
	s_load_dwordx2 s[0:1], s[0:1], 0x8
	s_waitcnt lgkmcnt(0)
	s_sub_u32 s34, s0, s24
	s_subb_u32 s35, s1, 0
	s_load_dwordx2 s[48:49], s[4:5], 0x0
	s_waitcnt lgkmcnt(0)
	v_cmp_lt_i64_e64 s[0:1], s[48:49], 1
	s_and_b64 vcc, exec, s[0:1]
	s_cbranch_vccnz .LBB152_70
.LBB152_16:
	s_lshl_b64 s[4:5], s[6:7], 3
	s_add_u32 s0, s40, s4
	s_addc_u32 s1, s41, s5
	s_load_dwordx2 s[0:1], s[0:1], 0x0
	v_lshrrev_b32_e32 v1, 4, v0
	v_mov_b32_e32 v3, s3
	v_add_co_u32_e32 v6, vcc, s2, v1
	s_waitcnt lgkmcnt(0)
	s_sub_u32 s52, s0, s26
	s_subb_u32 s53, s1, 0
	v_addc_co_u32_e32 v7, vcc, 0, v3, vcc
	v_cmp_gt_i64_e32 vcc, s[34:35], v[6:7]
	s_add_u32 s40, s50, s4
	s_addc_u32 s41, s51, s5
	s_and_b64 s[50:51], s[12:13], vcc
	s_add_u32 s75, s58, 8
	s_addc_u32 s76, s59, 0
	s_add_u32 s77, s42, -8
	s_addc_u32 s78, s43, -1
	s_add_u32 s79, s20, -8
	s_addc_u32 s80, s21, -1
	v_subrev_co_u32_e64 v34, s[4:5], s27, v0
	v_mbcnt_lo_u32_b32 v3, -1, 0
	s_add_u32 s81, s46, 4
	v_subb_co_u32_e64 v35, s[4:5], 0, 0, s[4:5]
	v_mbcnt_hi_u32_b32 v3, -1, v3
	s_addc_u32 s82, s47, 0
	s_mov_b32 s71, 0
	v_and_b32_e32 v2, 15, v0
	v_mov_b32_e32 v4, 0
	v_sub_u32_e32 v3, 63, v3
	s_movk_i32 s4, 0x1ff
	s_movk_i32 s8, 0x80
	;; [unrolled: 1-line block ×7, first 2 shown]
	s_add_u32 s83, s38, 4
	v_add_co_u32_e32 v39, vcc, s26, v0
	v_mov_b32_e32 v10, 0x800
	v_cmp_eq_u32_e64 s[0:1], 0, v0
	s_mov_b32 s72, s71
	v_cmp_eq_u32_e64 s[2:3], 15, v2
	s_mov_b32 s73, s27
	s_mov_b32 s74, s71
	v_lshrrev_b64 v[8:9], v3, -1
	v_and_b32_e32 v36, 28, v1
	v_cmp_eq_u32_e64 s[4:5], s4, v0
	v_cmp_gt_u32_e64 s[6:7], 64, v0
	v_cmp_gt_u32_e64 s[8:9], s8, v0
	;; [unrolled: 1-line block ×7, first 2 shown]
	v_or_b32_e32 v37, 0xfffffe00, v0
	v_lshlrev_b32_e32 v38, 3, v0
	s_addc_u32 s84, s39, 0
	v_addc_co_u32_e64 v40, s[20:21], 0, 0, vcc
	s_mov_b64 s[26:27], 0
	v_mov_b32_e32 v11, 0
	v_pk_mov_b32 v[0:1], s[52:53], s[52:53] op_sel:[0,1]
	v_mov_b32_e32 v5, v4
	s_movk_i32 s85, 0x5ff
	v_mov_b32_e32 v41, 1
	s_branch .LBB152_18
.LBB152_17:                             ;   in Loop: Header=BB152_18 Depth=1
	s_or_b64 exec, exec, s[20:21]
	ds_read_b64 v[12:13], v4 offset:18432
	s_waitcnt lgkmcnt(0)
	s_barrier
	v_add_co_u32_e32 v10, vcc, 0x800, v12
	v_addc_co_u32_e32 v11, vcc, 0, v13, vcc
	v_cmp_le_i64_e32 vcc, s[48:49], v[12:13]
	v_readfirstlane_b32 s26, v12
	v_readfirstlane_b32 s27, v13
	s_cbranch_vccnz .LBB152_70
.LBB152_18:                             ; =>This Loop Header: Depth=1
                                        ;     Child Loop BB152_19 Depth 2
                                        ;     Child Loop BB152_25 Depth 2
                                        ;       Child Loop BB152_33 Depth 3
                                        ;     Child Loop BB152_49 Depth 2
                                        ;     Child Loop BB152_61 Depth 2
	;; [unrolled: 1-line block ×3, first 2 shown]
	s_mov_b64 s[20:21], 0
	v_mov_b32_e32 v3, v38
	v_mov_b32_e32 v12, v37
.LBB152_19:                             ;   Parent Loop BB152_18 Depth=1
                                        ; =>  This Inner Loop Header: Depth=2
	ds_write_b8 v12, v4 offset:16896
	ds_write_b64 v3, v[4:5]
	v_add_u32_e32 v12, 0x200, v12
	v_cmp_lt_u32_e32 vcc, s85, v12
	s_or_b64 s[20:21], vcc, s[20:21]
	v_add_u32_e32 v3, 0x1000, v3
	s_andn2_b64 exec, exec, s[20:21]
	s_cbranch_execnz .LBB152_19
; %bb.20:                               ;   in Loop: Header=BB152_18 Depth=1
	s_or_b64 exec, exec, s[20:21]
	s_and_saveexec_b64 s[20:21], s[0:1]
	s_cbranch_execz .LBB152_22
; %bb.21:                               ;   in Loop: Header=BB152_18 Depth=1
	v_pk_mov_b32 v[12:13], s[48:49], s[48:49] op_sel:[0,1]
	ds_write_b64 v4, v[12:13] offset:18432
.LBB152_22:                             ;   in Loop: Header=BB152_18 Depth=1
	s_or_b64 exec, exec, s[20:21]
	v_pk_mov_b32 v[12:13], s[48:49], s[48:49] op_sel:[0,1]
	s_waitcnt lgkmcnt(0)
	s_barrier
	s_and_saveexec_b64 s[38:39], s[50:51]
	s_cbranch_execz .LBB152_45
; %bb.23:                               ;   in Loop: Header=BB152_18 Depth=1
	s_cmp_lg_u64 s[26:27], 0
	s_mov_b64 s[42:43], 0
	s_cselect_b64 s[46:47], -1, 0
	v_pk_mov_b32 v[12:13], s[48:49], s[48:49] op_sel:[0,1]
	v_pk_mov_b32 v[14:15], v[6:7], v[6:7] op_sel:[0,1]
	s_branch .LBB152_25
.LBB152_24:                             ;   in Loop: Header=BB152_25 Depth=2
	s_or_b64 exec, exec, s[20:21]
	v_add_co_u32_e32 v14, vcc, 32, v14
	v_addc_co_u32_e32 v15, vcc, 0, v15, vcc
	v_cmp_le_i64_e32 vcc, s[34:35], v[14:15]
	s_or_b64 s[42:43], vcc, s[42:43]
	s_andn2_b64 exec, exec, s[42:43]
	s_cbranch_execz .LBB152_44
.LBB152_25:                             ;   Parent Loop BB152_18 Depth=1
                                        ; =>  This Loop Header: Depth=2
                                        ;       Child Loop BB152_33 Depth 3
	v_lshlrev_b64 v[16:17], 3, v[14:15]
	v_mov_b32_e32 v3, s55
	v_add_co_u32_e32 v18, vcc, s54, v16
	v_addc_co_u32_e32 v19, vcc, v3, v17, vcc
	global_load_dwordx2 v[20:21], v[18:19], off
	v_mov_b32_e32 v3, s57
	v_add_co_u32_e32 v18, vcc, s56, v16
	v_addc_co_u32_e32 v19, vcc, v3, v17, vcc
	global_load_dwordx2 v[22:23], v[18:19], off
	s_and_b64 vcc, exec, s[46:47]
	s_cbranch_vccz .LBB152_27
; %bb.26:                               ;   in Loop: Header=BB152_25 Depth=2
	v_mov_b32_e32 v3, s23
	v_add_co_u32_e32 v18, vcc, s22, v16
	v_addc_co_u32_e32 v19, vcc, v3, v17, vcc
	global_load_dwordx2 v[18:19], v[18:19], off
	s_mov_b64 s[20:21], 0
	s_branch .LBB152_28
.LBB152_27:                             ;   in Loop: Header=BB152_25 Depth=2
	s_mov_b64 s[20:21], -1
                                        ; implicit-def: $vgpr18_vgpr19
.LBB152_28:                             ;   in Loop: Header=BB152_25 Depth=2
	v_mov_b32_e32 v3, s72
	s_waitcnt vmcnt(1)
	v_subrev_co_u32_e32 v20, vcc, s24, v20
	v_subb_co_u32_e32 v21, vcc, v21, v3, vcc
	s_andn2_b64 vcc, exec, s[20:21]
	v_lshlrev_b64 v[20:21], 3, v[20:21]
	s_cbranch_vccnz .LBB152_30
; %bb.29:                               ;   in Loop: Header=BB152_25 Depth=2
	v_mov_b32_e32 v3, s59
	s_waitcnt vmcnt(0)
	v_add_co_u32_e32 v18, vcc, s58, v20
	v_addc_co_u32_e32 v19, vcc, v3, v21, vcc
	global_load_dwordx2 v[18:19], v[18:19], off
	v_mov_b32_e32 v3, s71
	s_waitcnt vmcnt(0)
	v_subrev_co_u32_e32 v18, vcc, s25, v18
	v_subb_co_u32_e32 v19, vcc, v19, v3, vcc
.LBB152_30:                             ;   in Loop: Header=BB152_25 Depth=2
	v_mov_b32_e32 v3, s76
	v_add_co_u32_e32 v20, vcc, s75, v20
	v_addc_co_u32_e32 v21, vcc, v3, v21, vcc
	global_load_dwordx2 v[20:21], v[20:21], off
	v_mov_b32_e32 v3, s71
	s_waitcnt vmcnt(0)
	v_subrev_co_u32_e32 v20, vcc, s25, v20
	v_subb_co_u32_e32 v21, vcc, v21, v3, vcc
	v_add_co_u32_e32 v18, vcc, v18, v2
	v_addc_co_u32_e32 v19, vcc, 0, v19, vcc
	v_cmp_lt_i64_e32 vcc, v[18:19], v[20:21]
	s_and_saveexec_b64 s[52:53], vcc
	s_cbranch_execz .LBB152_42
; %bb.31:                               ;   in Loop: Header=BB152_25 Depth=2
	v_mul_f32_e64 v3, v23, -s29
	v_mul_f32_e32 v42, s33, v23
	v_lshlrev_b64 v[24:25], 3, v[18:19]
	v_fmac_f32_e32 v3, s33, v22
	v_fmac_f32_e32 v42, s29, v22
	v_mov_b32_e32 v23, s45
	v_add_co_u32_e32 v22, vcc, s44, v24
	v_addc_co_u32_e32 v23, vcc, v23, v25, vcc
	v_mov_b32_e32 v26, s82
	v_add_co_u32_e32 v24, vcc, s81, v24
	v_addc_co_u32_e32 v25, vcc, v26, v25, vcc
	s_mov_b64 s[62:63], 0
	v_pk_mov_b32 v[28:29], v[18:19], v[18:19] op_sel:[0,1]
                                        ; implicit-def: $sgpr60_sgpr61
                                        ; implicit-def: $sgpr64_sgpr65
	s_branch .LBB152_33
.LBB152_32:                             ;   in Loop: Header=BB152_33 Depth=3
	s_or_b64 exec, exec, s[66:67]
	s_and_b64 s[20:21], exec, s[68:69]
	s_or_b64 s[62:63], s[20:21], s[62:63]
	s_andn2_b64 s[20:21], s[60:61], exec
	s_and_b64 s[60:61], s[64:65], exec
	s_or_b64 s[60:61], s[20:21], s[60:61]
	v_pk_mov_b32 v[28:29], v[30:31], v[30:31] op_sel:[0,1]
	s_andn2_b64 exec, exec, s[62:63]
	s_cbranch_execz .LBB152_39
.LBB152_33:                             ;   Parent Loop BB152_18 Depth=1
                                        ;     Parent Loop BB152_25 Depth=2
                                        ; =>    This Inner Loop Header: Depth=3
	global_load_dwordx2 v[26:27], v[22:23], off
	v_mov_b32_e32 v30, s71
	s_waitcnt vmcnt(0)
	v_subrev_co_u32_e32 v26, vcc, s25, v26
	v_subb_co_u32_e32 v27, vcc, v27, v30, vcc
	v_cmp_lt_i64_e32 vcc, v[26:27], v[10:11]
	v_cmp_gt_i64_e64 s[20:21], s[26:27], v[26:27]
	s_xor_b64 s[66:67], vcc, -1
	s_or_b64 s[68:69], s[20:21], s[66:67]
	s_mov_b64 s[20:21], 0
                                        ; implicit-def: $sgpr66_sgpr67
	s_and_saveexec_b64 s[86:87], s[68:69]
	s_xor_b64 s[68:69], exec, s[86:87]
; %bb.34:                               ;   in Loop: Header=BB152_33 Depth=3
	s_mov_b64 s[66:67], -1
	s_and_b64 s[20:21], vcc, exec
; %bb.35:                               ;   in Loop: Header=BB152_33 Depth=3
	s_andn2_saveexec_b64 s[68:69], s[68:69]
	s_cbranch_execz .LBB152_37
; %bb.36:                               ;   in Loop: Header=BB152_33 Depth=3
	global_load_dwordx2 v[30:31], v[24:25], off offset:-4
	v_subrev_u32_e32 v32, s26, v26
	ds_write_b8 v32, v41 offset:16384
	v_lshlrev_b32_e32 v32, 3, v32
	s_or_b64 s[20:21], s[20:21], exec
	s_waitcnt vmcnt(0)
	v_mul_f32_e64 v33, v31, -v42
	v_mul_f32_e32 v31, v3, v31
	v_fmac_f32_e32 v33, v3, v30
	v_fmac_f32_e32 v31, v42, v30
	ds_add_f32 v32, v33
	ds_add_f32 v32, v31 offset:4
.LBB152_37:                             ;   in Loop: Header=BB152_33 Depth=3
	s_or_b64 exec, exec, s[68:69]
	s_andn2_b64 s[64:65], s[64:65], exec
	s_and_b64 s[66:67], s[66:67], exec
	s_mov_b64 s[68:69], -1
	s_or_b64 s[64:65], s[64:65], s[66:67]
	v_pk_mov_b32 v[32:33], v[28:29], v[28:29] op_sel:[0,1]
                                        ; implicit-def: $vgpr30_vgpr31
	s_and_saveexec_b64 s[66:67], s[20:21]
	s_cbranch_execz .LBB152_32
; %bb.38:                               ;   in Loop: Header=BB152_33 Depth=3
	v_add_co_u32_e32 v30, vcc, 16, v28
	v_addc_co_u32_e32 v31, vcc, 0, v29, vcc
	v_add_co_u32_e32 v22, vcc, 0x80, v22
	v_addc_co_u32_e32 v23, vcc, 0, v23, vcc
	;; [unrolled: 2-line block ×3, first 2 shown]
	v_cmp_ge_i64_e32 vcc, v[30:31], v[20:21]
	s_andn2_b64 s[64:65], s[64:65], exec
	s_orn2_b64 s[68:69], vcc, exec
	v_pk_mov_b32 v[32:33], v[28:29], v[28:29] op_sel:[0,1]
	s_branch .LBB152_32
.LBB152_39:                             ;   in Loop: Header=BB152_25 Depth=2
	s_or_b64 exec, exec, s[62:63]
	s_and_saveexec_b64 s[20:21], s[60:61]
	s_xor_b64 s[20:21], exec, s[20:21]
; %bb.40:                               ;   in Loop: Header=BB152_25 Depth=2
	v_cmp_lt_i64_e32 vcc, v[26:27], v[12:13]
	v_cndmask_b32_e32 v13, v13, v27, vcc
	v_cndmask_b32_e32 v12, v12, v26, vcc
	v_pk_mov_b32 v[18:19], v[32:33], v[32:33] op_sel:[0,1]
; %bb.41:                               ;   in Loop: Header=BB152_25 Depth=2
	s_or_b64 exec, exec, s[20:21]
.LBB152_42:                             ;   in Loop: Header=BB152_25 Depth=2
	s_or_b64 exec, exec, s[52:53]
	v_mov_b32_dpp v20, v18 row_shr:1 row_mask:0xf bank_mask:0xf
	v_mov_b32_dpp v21, v19 row_shr:1 row_mask:0xf bank_mask:0xf
	v_cmp_lt_i64_e32 vcc, v[20:21], v[18:19]
	v_cndmask_b32_e32 v19, v19, v21, vcc
	v_cndmask_b32_e32 v18, v18, v20, vcc
	s_nop 0
	v_mov_b32_dpp v21, v19 row_shr:2 row_mask:0xf bank_mask:0xf
	v_mov_b32_dpp v20, v18 row_shr:2 row_mask:0xf bank_mask:0xf
	v_cmp_lt_i64_e32 vcc, v[20:21], v[18:19]
	v_cndmask_b32_e32 v19, v19, v21, vcc
	v_cndmask_b32_e32 v18, v18, v20, vcc
	s_nop 0
	;; [unrolled: 6-line block ×3, first 2 shown]
	v_mov_b32_dpp v21, v19 row_shr:8 row_mask:0xf bank_mask:0xc
	v_mov_b32_dpp v20, v18 row_shr:8 row_mask:0xf bank_mask:0xc
	s_and_saveexec_b64 s[20:21], s[2:3]
	s_cbranch_execz .LBB152_24
; %bb.43:                               ;   in Loop: Header=BB152_25 Depth=2
	v_cmp_lt_i64_e32 vcc, v[20:21], v[18:19]
	v_cndmask_b32_e32 v19, v19, v21, vcc
	v_cndmask_b32_e32 v18, v18, v20, vcc
	v_mov_b32_e32 v3, s23
	v_add_co_u32_e32 v16, vcc, s22, v16
	v_addc_co_u32_e32 v17, vcc, v3, v17, vcc
	global_store_dwordx2 v[16:17], v[18:19], off
	s_branch .LBB152_24
.LBB152_44:                             ;   in Loop: Header=BB152_18 Depth=1
	s_or_b64 exec, exec, s[42:43]
.LBB152_45:                             ;   in Loop: Header=BB152_18 Depth=1
	s_or_b64 exec, exec, s[38:39]
	s_andn2_b64 vcc, exec, s[30:31]
	s_cbranch_vccnz .LBB152_59
; %bb.46:                               ;   in Loop: Header=BB152_18 Depth=1
	s_load_dwordx4 s[60:63], s[40:41], 0x0
	s_waitcnt lgkmcnt(0)
	s_sub_u32 s42, s62, s73
	v_mov_b32_e32 v3, s61
	v_add_co_u32_e32 v14, vcc, s60, v34
	s_subb_u32 s43, s63, 0
	v_addc_co_u32_e32 v15, vcc, v3, v35, vcc
	v_cmp_gt_i64_e32 vcc, s[42:43], v[14:15]
	s_and_saveexec_b64 s[38:39], vcc
	s_cbranch_execz .LBB152_58
; %bb.47:                               ;   in Loop: Header=BB152_18 Depth=1
	v_lshlrev_b64 v[18:19], 3, v[14:15]
	v_mov_b32_e32 v3, s37
	v_add_co_u32_e32 v16, vcc, s36, v18
	v_addc_co_u32_e32 v17, vcc, v3, v19, vcc
	v_mov_b32_e32 v3, s84
	v_add_co_u32_e32 v18, vcc, s83, v18
	v_addc_co_u32_e32 v19, vcc, v3, v19, vcc
	s_mov_b64 s[46:47], 0
                                        ; implicit-def: $sgpr52_sgpr53
                                        ; implicit-def: $sgpr60_sgpr61
	s_branch .LBB152_49
.LBB152_48:                             ;   in Loop: Header=BB152_49 Depth=2
	s_or_b64 exec, exec, s[62:63]
	s_and_b64 s[20:21], exec, s[64:65]
	s_or_b64 s[46:47], s[20:21], s[46:47]
	s_andn2_b64 s[20:21], s[52:53], exec
	s_and_b64 s[52:53], s[60:61], exec
	s_or_b64 s[52:53], s[20:21], s[52:53]
	s_andn2_b64 exec, exec, s[46:47]
	s_cbranch_execz .LBB152_55
.LBB152_49:                             ;   Parent Loop BB152_18 Depth=1
                                        ; =>  This Inner Loop Header: Depth=2
	global_load_dwordx2 v[20:21], v[16:17], off
	v_mov_b32_e32 v3, s74
	s_waitcnt vmcnt(0)
	v_subrev_co_u32_e32 v20, vcc, s73, v20
	v_subb_co_u32_e32 v21, vcc, v21, v3, vcc
	v_cmp_lt_i64_e32 vcc, v[20:21], v[10:11]
	v_cmp_gt_i64_e64 s[20:21], s[26:27], v[20:21]
	s_xor_b64 s[62:63], vcc, -1
	s_or_b64 s[64:65], s[20:21], s[62:63]
	s_mov_b64 s[20:21], 0
                                        ; implicit-def: $sgpr62_sgpr63
	s_and_saveexec_b64 s[66:67], s[64:65]
	s_xor_b64 s[64:65], exec, s[66:67]
; %bb.50:                               ;   in Loop: Header=BB152_49 Depth=2
	s_mov_b64 s[62:63], -1
	s_and_b64 s[20:21], vcc, exec
; %bb.51:                               ;   in Loop: Header=BB152_49 Depth=2
	s_andn2_saveexec_b64 s[64:65], s[64:65]
	s_cbranch_execz .LBB152_53
; %bb.52:                               ;   in Loop: Header=BB152_49 Depth=2
	global_load_dwordx2 v[22:23], v[18:19], off offset:-4
	v_subrev_u32_e32 v3, s26, v20
	ds_write_b8 v3, v41 offset:16384
	v_lshlrev_b32_e32 v3, 3, v3
	s_or_b64 s[20:21], s[20:21], exec
	s_waitcnt vmcnt(0)
	v_mul_f32_e64 v24, v23, -s70
	v_mul_f32_e32 v23, s28, v23
	v_fmac_f32_e32 v24, s28, v22
	v_fmac_f32_e32 v23, s70, v22
	ds_add_f32 v3, v24
	ds_add_f32 v3, v23 offset:4
.LBB152_53:                             ;   in Loop: Header=BB152_49 Depth=2
	s_or_b64 exec, exec, s[64:65]
	s_andn2_b64 s[60:61], s[60:61], exec
	s_and_b64 s[62:63], s[62:63], exec
	s_mov_b64 s[64:65], -1
	s_or_b64 s[60:61], s[60:61], s[62:63]
	s_and_saveexec_b64 s[62:63], s[20:21]
	s_cbranch_execz .LBB152_48
; %bb.54:                               ;   in Loop: Header=BB152_49 Depth=2
	v_add_co_u32_e32 v14, vcc, 0x200, v14
	v_addc_co_u32_e32 v15, vcc, 0, v15, vcc
	v_add_co_u32_e32 v16, vcc, 0x1000, v16
	v_addc_co_u32_e32 v17, vcc, 0, v17, vcc
	;; [unrolled: 2-line block ×3, first 2 shown]
	v_cmp_le_i64_e32 vcc, s[42:43], v[14:15]
	s_andn2_b64 s[60:61], s[60:61], exec
	s_orn2_b64 s[64:65], vcc, exec
	s_branch .LBB152_48
.LBB152_55:                             ;   in Loop: Header=BB152_18 Depth=1
	s_or_b64 exec, exec, s[46:47]
	s_and_saveexec_b64 s[20:21], s[52:53]
	s_xor_b64 s[20:21], exec, s[20:21]
; %bb.56:                               ;   in Loop: Header=BB152_18 Depth=1
	v_cmp_lt_i64_e32 vcc, v[20:21], v[12:13]
	v_cndmask_b32_e32 v13, v13, v21, vcc
	v_cndmask_b32_e32 v12, v12, v20, vcc
; %bb.57:                               ;   in Loop: Header=BB152_18 Depth=1
	s_or_b64 exec, exec, s[20:21]
.LBB152_58:                             ;   in Loop: Header=BB152_18 Depth=1
	s_or_b64 exec, exec, s[38:39]
.LBB152_59:                             ;   in Loop: Header=BB152_18 Depth=1
	v_mov_b32_dpp v10, v12 row_shr:1 row_mask:0xf bank_mask:0xf
	v_mov_b32_dpp v11, v13 row_shr:1 row_mask:0xf bank_mask:0xf
	v_cmp_lt_i64_e32 vcc, v[10:11], v[12:13]
	v_cndmask_b32_e32 v11, v13, v11, vcc
	v_cndmask_b32_e32 v10, v12, v10, vcc
	s_nop 0
	v_mov_b32_dpp v13, v11 row_shr:2 row_mask:0xf bank_mask:0xf
	v_mov_b32_dpp v12, v10 row_shr:2 row_mask:0xf bank_mask:0xf
	v_cmp_lt_i64_e32 vcc, v[12:13], v[10:11]
	v_cndmask_b32_e32 v11, v11, v13, vcc
	v_cndmask_b32_e32 v10, v10, v12, vcc
	s_nop 0
	;; [unrolled: 6-line block ×3, first 2 shown]
	v_mov_b32_dpp v13, v11 row_shr:8 row_mask:0xf bank_mask:0xc
	v_mov_b32_dpp v12, v10 row_shr:8 row_mask:0xf bank_mask:0xc
	s_and_saveexec_b64 s[20:21], s[2:3]
	s_cbranch_execz .LBB152_64
; %bb.60:                               ;   in Loop: Header=BB152_18 Depth=1
	v_cmp_lt_i64_e32 vcc, v[12:13], v[10:11]
	s_mov_b64 s[42:43], exec
	v_cndmask_b32_e32 v3, v11, v13, vcc
	v_cndmask_b32_e32 v10, v10, v12, vcc
	s_mov_b64 s[38:39], -1
.LBB152_61:                             ;   Parent Loop BB152_18 Depth=1
                                        ; =>  This Inner Loop Header: Depth=2
	s_ff1_i32_b64 s52, s[42:43]
	v_readlane_b32 s53, v3, s52
	v_readlane_b32 s60, v10, s52
	v_mov_b32_e32 v12, s60
	v_mov_b32_e32 v13, s53
	v_cmp_lt_u64_e32 vcc, s[38:39], v[12:13]
	s_and_b64 s[46:47], vcc, exec
	s_cselect_b32 s39, s39, s53
	s_cselect_b32 s38, s38, s60
	s_lshl_b64 s[46:47], 1, s52
	s_andn2_b64 s[42:43], s[42:43], s[46:47]
	s_cmp_lg_u64 s[42:43], 0
	s_cbranch_scc1 .LBB152_61
; %bb.62:                               ;   in Loop: Header=BB152_18 Depth=1
	v_mbcnt_lo_u32_b32 v3, exec_lo, 0
	v_mbcnt_hi_u32_b32 v3, exec_hi, v3
	v_cmp_eq_u32_e32 vcc, 0, v3
	s_and_saveexec_b64 s[42:43], vcc
	s_xor_b64 s[42:43], exec, s[42:43]
	s_cbranch_execz .LBB152_64
; %bb.63:                               ;   in Loop: Header=BB152_18 Depth=1
	v_pk_mov_b32 v[10:11], s[38:39], s[38:39] op_sel:[0,1]
	ds_min_u64 v4, v[10:11] offset:18432
.LBB152_64:                             ;   in Loop: Header=BB152_18 Depth=1
	s_or_b64 exec, exec, s[20:21]
	v_mov_b32_e32 v3, s27
	v_add_co_u32_e32 v10, vcc, s26, v39
	v_addc_co_u32_e32 v11, vcc, v40, v3, vcc
	s_mov_b64 s[20:21], 0
	v_mov_b32_e32 v3, v38
	v_mov_b32_e32 v14, v37
	s_waitcnt lgkmcnt(0)
	s_barrier
	s_branch .LBB152_66
.LBB152_65:                             ;   in Loop: Header=BB152_66 Depth=2
	s_or_b64 exec, exec, s[26:27]
	s_waitcnt lgkmcnt(0)
	s_barrier
	ds_read_b32 v12, v4 offset:28
	v_add_u32_e32 v14, 0x200, v14
	v_add_u32_e32 v3, 0x1000, v3
	s_waitcnt lgkmcnt(0)
	v_ashrrev_i32_e32 v13, 31, v12
	v_add_co_u32_e32 v0, vcc, v0, v12
	v_addc_co_u32_e32 v1, vcc, v1, v13, vcc
	v_add_co_u32_e32 v10, vcc, 0x200, v10
	v_addc_co_u32_e32 v11, vcc, 0, v11, vcc
	v_cmp_lt_u32_e32 vcc, s85, v14
	s_or_b64 s[20:21], vcc, s[20:21]
	s_andn2_b64 exec, exec, s[20:21]
	s_cbranch_execz .LBB152_17
.LBB152_66:                             ;   Parent Loop BB152_18 Depth=1
                                        ; =>  This Inner Loop Header: Depth=2
	ds_read_u8 v23, v14 offset:16896
	ds_read_b64 v[12:13], v3
	s_waitcnt lgkmcnt(0)
	s_barrier
	v_cmp_ne_u16_e32 vcc, 0, v23
	s_bcnt1_i32_b64 s26, vcc
	v_mov_b32_e32 v16, s26
	ds_write_b32 v36, v16
	s_waitcnt lgkmcnt(0)
	s_barrier
	ds_read_b128 v[16:19], v4
	v_and_b32_e32 v20, vcc_lo, v8
	v_and_b32_e32 v15, vcc_hi, v9
	v_bcnt_u32_b32 v20, v20, 0
	v_bcnt_u32_b32 v15, v15, v20
	ds_read_b96 v[20:22], v4 offset:16
	s_waitcnt lgkmcnt(1)
	v_cndmask_b32_e64 v16, v16, 0, s[6:7]
	v_add_u32_e32 v15, v16, v15
	v_cndmask_b32_e64 v16, v17, 0, s[8:9]
	v_cndmask_b32_e64 v17, v18, 0, s[10:11]
	v_add3_u32 v15, v15, v16, v17
	v_cndmask_b32_e64 v16, v19, 0, s[12:13]
	s_waitcnt lgkmcnt(0)
	v_cndmask_b32_e64 v17, v20, 0, s[14:15]
	v_add3_u32 v15, v15, v16, v17
	v_cndmask_b32_e64 v16, v21, 0, s[16:17]
	v_cndmask_b32_e64 v17, v22, 0, s[18:19]
	v_add3_u32 v15, v15, v16, v17
	v_and_b32_e32 v16, 1, v23
	v_cmp_eq_u32_e32 vcc, 1, v16
	s_and_saveexec_b64 s[26:27], vcc
	s_cbranch_execz .LBB152_68
; %bb.67:                               ;   in Loop: Header=BB152_66 Depth=2
	v_ashrrev_i32_e32 v17, 31, v15
	v_add_co_u32_e32 v16, vcc, v0, v15
	v_addc_co_u32_e32 v17, vcc, v1, v17, vcc
	v_lshlrev_b64 v[16:17], 3, v[16:17]
	v_mov_b32_e32 v19, s78
	v_add_co_u32_e32 v18, vcc, s77, v16
	v_addc_co_u32_e32 v19, vcc, v19, v17, vcc
	global_store_dwordx2 v[18:19], v[10:11], off
	v_mov_b32_e32 v18, s80
	v_add_co_u32_e32 v16, vcc, s79, v16
	v_addc_co_u32_e32 v17, vcc, v18, v17, vcc
	global_store_dwordx2 v[16:17], v[12:13], off
.LBB152_68:                             ;   in Loop: Header=BB152_66 Depth=2
	s_or_b64 exec, exec, s[26:27]
	s_and_saveexec_b64 s[26:27], s[4:5]
	s_cbranch_execz .LBB152_65
; %bb.69:                               ;   in Loop: Header=BB152_66 Depth=2
	ds_write_b32 v4, v15 offset:28
	s_branch .LBB152_65
.LBB152_70:
	s_endpgm
	.section	.rodata,"a",@progbits
	.p2align	6, 0x0
	.amdhsa_kernel _ZN9rocsparseL36csrgemm_fill_block_per_row_multipassILj512ELj16ELj2048ELj64Ell21rocsparse_complex_numIfEEEvT4_PKS3_S5_NS_24const_host_device_scalarIT5_EEPKT3_S5_PKS7_SB_S5_SD_S8_SB_S5_SD_SB_PS3_PS7_PS9_21rocsparse_index_base_SH_SH_SH_bbb
		.amdhsa_group_segment_fixed_size 18440
		.amdhsa_private_segment_fixed_size 0
		.amdhsa_kernarg_size 164
		.amdhsa_user_sgpr_count 6
		.amdhsa_user_sgpr_private_segment_buffer 1
		.amdhsa_user_sgpr_dispatch_ptr 0
		.amdhsa_user_sgpr_queue_ptr 0
		.amdhsa_user_sgpr_kernarg_segment_ptr 1
		.amdhsa_user_sgpr_dispatch_id 0
		.amdhsa_user_sgpr_flat_scratch_init 0
		.amdhsa_user_sgpr_kernarg_preload_length 0
		.amdhsa_user_sgpr_kernarg_preload_offset 0
		.amdhsa_user_sgpr_private_segment_size 0
		.amdhsa_uses_dynamic_stack 0
		.amdhsa_system_sgpr_private_segment_wavefront_offset 0
		.amdhsa_system_sgpr_workgroup_id_x 1
		.amdhsa_system_sgpr_workgroup_id_y 0
		.amdhsa_system_sgpr_workgroup_id_z 0
		.amdhsa_system_sgpr_workgroup_info 0
		.amdhsa_system_vgpr_workitem_id 0
		.amdhsa_next_free_vgpr 43
		.amdhsa_next_free_sgpr 88
		.amdhsa_accum_offset 44
		.amdhsa_reserve_vcc 1
		.amdhsa_reserve_flat_scratch 0
		.amdhsa_float_round_mode_32 0
		.amdhsa_float_round_mode_16_64 0
		.amdhsa_float_denorm_mode_32 3
		.amdhsa_float_denorm_mode_16_64 3
		.amdhsa_dx10_clamp 1
		.amdhsa_ieee_mode 1
		.amdhsa_fp16_overflow 0
		.amdhsa_tg_split 0
		.amdhsa_exception_fp_ieee_invalid_op 0
		.amdhsa_exception_fp_denorm_src 0
		.amdhsa_exception_fp_ieee_div_zero 0
		.amdhsa_exception_fp_ieee_overflow 0
		.amdhsa_exception_fp_ieee_underflow 0
		.amdhsa_exception_fp_ieee_inexact 0
		.amdhsa_exception_int_div_zero 0
	.end_amdhsa_kernel
	.section	.text._ZN9rocsparseL36csrgemm_fill_block_per_row_multipassILj512ELj16ELj2048ELj64Ell21rocsparse_complex_numIfEEEvT4_PKS3_S5_NS_24const_host_device_scalarIT5_EEPKT3_S5_PKS7_SB_S5_SD_S8_SB_S5_SD_SB_PS3_PS7_PS9_21rocsparse_index_base_SH_SH_SH_bbb,"axG",@progbits,_ZN9rocsparseL36csrgemm_fill_block_per_row_multipassILj512ELj16ELj2048ELj64Ell21rocsparse_complex_numIfEEEvT4_PKS3_S5_NS_24const_host_device_scalarIT5_EEPKT3_S5_PKS7_SB_S5_SD_S8_SB_S5_SD_SB_PS3_PS7_PS9_21rocsparse_index_base_SH_SH_SH_bbb,comdat
.Lfunc_end152:
	.size	_ZN9rocsparseL36csrgemm_fill_block_per_row_multipassILj512ELj16ELj2048ELj64Ell21rocsparse_complex_numIfEEEvT4_PKS3_S5_NS_24const_host_device_scalarIT5_EEPKT3_S5_PKS7_SB_S5_SD_S8_SB_S5_SD_SB_PS3_PS7_PS9_21rocsparse_index_base_SH_SH_SH_bbb, .Lfunc_end152-_ZN9rocsparseL36csrgemm_fill_block_per_row_multipassILj512ELj16ELj2048ELj64Ell21rocsparse_complex_numIfEEEvT4_PKS3_S5_NS_24const_host_device_scalarIT5_EEPKT3_S5_PKS7_SB_S5_SD_S8_SB_S5_SD_SB_PS3_PS7_PS9_21rocsparse_index_base_SH_SH_SH_bbb
                                        ; -- End function
	.section	.AMDGPU.csdata,"",@progbits
; Kernel info:
; codeLenInByte = 2836
; NumSgprs: 92
; NumVgprs: 43
; NumAgprs: 0
; TotalNumVgprs: 43
; ScratchSize: 0
; MemoryBound: 0
; FloatMode: 240
; IeeeMode: 1
; LDSByteSize: 18440 bytes/workgroup (compile time only)
; SGPRBlocks: 11
; VGPRBlocks: 5
; NumSGPRsForWavesPerEU: 92
; NumVGPRsForWavesPerEU: 43
; AccumOffset: 44
; Occupancy: 6
; WaveLimiterHint : 1
; COMPUTE_PGM_RSRC2:SCRATCH_EN: 0
; COMPUTE_PGM_RSRC2:USER_SGPR: 6
; COMPUTE_PGM_RSRC2:TRAP_HANDLER: 0
; COMPUTE_PGM_RSRC2:TGID_X_EN: 1
; COMPUTE_PGM_RSRC2:TGID_Y_EN: 0
; COMPUTE_PGM_RSRC2:TGID_Z_EN: 0
; COMPUTE_PGM_RSRC2:TIDIG_COMP_CNT: 0
; COMPUTE_PGM_RSRC3_GFX90A:ACCUM_OFFSET: 10
; COMPUTE_PGM_RSRC3_GFX90A:TG_SPLIT: 0
	.section	.text._ZN9rocsparseL26csrgemm_group_reduce_part2ILj256ELj11E21rocsparse_complex_numIdEllEEvT3_PKT2_PS3_Pij,"axG",@progbits,_ZN9rocsparseL26csrgemm_group_reduce_part2ILj256ELj11E21rocsparse_complex_numIdEllEEvT3_PKT2_PS3_Pij,comdat
	.globl	_ZN9rocsparseL26csrgemm_group_reduce_part2ILj256ELj11E21rocsparse_complex_numIdEllEEvT3_PKT2_PS3_Pij ; -- Begin function _ZN9rocsparseL26csrgemm_group_reduce_part2ILj256ELj11E21rocsparse_complex_numIdEllEEvT3_PKT2_PS3_Pij
	.p2align	8
	.type	_ZN9rocsparseL26csrgemm_group_reduce_part2ILj256ELj11E21rocsparse_complex_numIdEllEEvT3_PKT2_PS3_Pij,@function
_ZN9rocsparseL26csrgemm_group_reduce_part2ILj256ELj11E21rocsparse_complex_numIdEllEEvT3_PKT2_PS3_Pij: ; @_ZN9rocsparseL26csrgemm_group_reduce_part2ILj256ELj11E21rocsparse_complex_numIdEllEEvT3_PKT2_PS3_Pij
; %bb.0:
	s_mov_b32 s9, 0
	v_mul_u32_u24_e32 v1, 11, v0
	s_mov_b32 s8, s9
	s_mov_b32 s10, s9
	;; [unrolled: 1-line block ×3, first 2 shown]
	s_load_dwordx2 s[2:3], s[4:5], 0x0
	s_load_dwordx2 s[0:1], s[4:5], 0x10
	v_lshlrev_b32_e32 v1, 3, v1
	v_pk_mov_b32 v[2:3], s[8:9], s[8:9] op_sel:[0,1]
	v_pk_mov_b32 v[4:5], s[10:11], s[10:11] op_sel:[0,1]
	ds_write2_b64 v1, v[2:3], v[4:5] offset1:1
	ds_write2_b64 v1, v[2:3], v[4:5] offset0:2 offset1:3
	ds_write2_b64 v1, v[2:3], v[4:5] offset0:4 offset1:5
	;; [unrolled: 1-line block ×4, first 2 shown]
	v_mov_b32_e32 v3, 0
	v_lshl_or_b32 v6, s6, 8, v0
	v_mov_b32_e32 v2, v3
	ds_write_b64 v1, v[2:3] offset:80
	v_mov_b32_e32 v2, v6
	s_waitcnt lgkmcnt(0)
	v_cmp_gt_i64_e32 vcc, s[2:3], v[2:3]
	s_and_saveexec_b64 s[10:11], vcc
	s_cbranch_execz .LBB153_43
; %bb.1:
	s_load_dword s7, s[4:5], 0x20
	s_load_dwordx2 s[12:13], s[4:5], 0x8
	s_load_dwordx2 s[14:15], s[4:5], 0x18
	s_load_dword s8, s[4:5], 0x28
	v_lshlrev_b64 v[4:5], 2, v[2:3]
	s_waitcnt lgkmcnt(0)
	s_cmp_lt_u32 s7, 0x18108
	s_cselect_b64 s[26:27], -1, 0
	s_cmp_lt_u32 s7, 0x30108
	s_cselect_b64 s[30:31], -1, 0
	;; [unrolled: 2-line block ×3, first 2 shown]
	s_cmp_lt_u32 s7, 0xc0108
	v_mov_b32_e32 v6, s15
	v_add_co_u32_e32 v4, vcc, s14, v4
	s_cselect_b64 s[40:41], -1, 0
	s_lshl_b32 s8, s8, 8
	v_addc_co_u32_e32 v5, vcc, v6, v5, vcc
	v_lshlrev_b64 v[6:7], 3, v[2:3]
	s_lshl_b64 s[4:5], s[8:9], 2
	v_mov_b32_e32 v8, s13
	v_add_co_u32_e32 v6, vcc, s12, v6
	s_lshl_b64 s[12:13], s[8:9], 3
	v_addc_co_u32_e32 v7, vcc, v8, v7, vcc
	s_mov_b64 s[14:15], 0
	s_mov_b64 s[16:17], 0x100
	;; [unrolled: 1-line block ×6, first 2 shown]
	s_xor_b64 s[26:27], s[26:27], -1
	v_mov_b32_e32 v12, 6
	s_mov_b64 s[28:29], 0x2001
	s_xor_b64 s[30:31], s[30:31], -1
	v_mov_b32_e32 v13, 7
	s_mov_b64 s[34:35], 0x4001
	;; [unrolled: 3-line block ×3, first 2 shown]
	s_xor_b64 s[40:41], s[40:41], -1
	v_mov_b32_e32 v15, 9
	v_mov_b32_e32 v16, 10
	;; [unrolled: 1-line block ×10, first 2 shown]
	v_pk_mov_b32 v[8:9], v[2:3], v[2:3] op_sel:[0,1]
	s_branch .LBB153_3
.LBB153_2:                              ;   in Loop: Header=BB153_3 Depth=1
	s_or_b64 exec, exec, s[42:43]
	v_add_co_u32_e32 v8, vcc, s8, v8
	v_addc_co_u32_e32 v9, vcc, v9, v22, vcc
	v_add_co_u32_e32 v4, vcc, s4, v4
	v_addc_co_u32_e32 v5, vcc, v5, v23, vcc
	v_cmp_le_i64_e32 vcc, s[2:3], v[8:9]
	s_or_b64 s[14:15], vcc, s[14:15]
	v_add_co_u32_e32 v6, vcc, s12, v6
	v_addc_co_u32_e32 v7, vcc, v7, v24, vcc
	s_andn2_b64 exec, exec, s[14:15]
	s_cbranch_execz .LBB153_43
.LBB153_3:                              ; =>This Inner Loop Header: Depth=1
	global_load_dwordx4 v[26:29], v[6:7], off
	s_waitcnt vmcnt(0)
	v_sub_co_u32_e32 v10, vcc, v28, v26
	v_subb_co_u32_e32 v11, vcc, v29, v27, vcc
	v_cmp_lt_i64_e32 vcc, 16, v[10:11]
	s_and_saveexec_b64 s[42:43], vcc
	s_xor_b64 s[42:43], exec, s[42:43]
	s_cbranch_execz .LBB153_41
; %bb.4:                                ;   in Loop: Header=BB153_3 Depth=1
	v_cmp_lt_u64_e32 vcc, 32, v[10:11]
	s_and_saveexec_b64 s[44:45], vcc
	s_xor_b64 s[44:45], exec, s[44:45]
	s_cbranch_execz .LBB153_38
; %bb.5:                                ;   in Loop: Header=BB153_3 Depth=1
	v_cmp_lt_u64_e32 vcc, s[16:17], v[10:11]
	;; [unrolled: 5-line block ×5, first 2 shown]
	s_and_saveexec_b64 s[52:53], vcc
	s_xor_b64 s[52:53], exec, s[52:53]
	s_cbranch_execz .LBB153_26
; %bb.9:                                ;   in Loop: Header=BB153_3 Depth=1
	v_cmp_gt_u64_e32 vcc, s[24:25], v[10:11]
	s_and_b64 s[54:55], s[26:27], vcc
	s_and_saveexec_b64 s[56:57], s[54:55]
	s_xor_b64 s[54:55], exec, s[56:57]
	s_cbranch_execz .LBB153_11
; %bb.10:                               ;   in Loop: Header=BB153_3 Depth=1
	ds_read_b64 v[10:11], v1 offset:48
	global_store_dword v[4:5], v12, off
	s_waitcnt lgkmcnt(0)
	v_add_co_u32_e32 v10, vcc, 1, v10
	v_addc_co_u32_e32 v11, vcc, 0, v11, vcc
	ds_write_b64 v1, v[10:11] offset:48
                                        ; implicit-def: $vgpr10_vgpr11
.LBB153_11:                             ;   in Loop: Header=BB153_3 Depth=1
	s_andn2_saveexec_b64 s[54:55], s[54:55]
	s_cbranch_execz .LBB153_25
; %bb.12:                               ;   in Loop: Header=BB153_3 Depth=1
	v_cmp_gt_u64_e32 vcc, s[28:29], v[10:11]
	s_and_b64 s[56:57], s[30:31], vcc
	s_and_saveexec_b64 s[58:59], s[56:57]
	s_xor_b64 s[56:57], exec, s[58:59]
	s_cbranch_execz .LBB153_14
; %bb.13:                               ;   in Loop: Header=BB153_3 Depth=1
	ds_read_b64 v[10:11], v1 offset:56
	global_store_dword v[4:5], v13, off
	s_waitcnt lgkmcnt(0)
	v_add_co_u32_e32 v10, vcc, 1, v10
	v_addc_co_u32_e32 v11, vcc, 0, v11, vcc
	ds_write_b64 v1, v[10:11] offset:56
                                        ; implicit-def: $vgpr10_vgpr11
.LBB153_14:                             ;   in Loop: Header=BB153_3 Depth=1
	s_andn2_saveexec_b64 s[56:57], s[56:57]
	s_cbranch_execz .LBB153_24
; %bb.15:                               ;   in Loop: Header=BB153_3 Depth=1
	;; [unrolled: 17-line block ×3, first 2 shown]
	v_cmp_gt_u64_e32 vcc, s[38:39], v[10:11]
	s_and_b64 s[60:61], s[40:41], vcc
	s_and_saveexec_b64 s[62:63], s[60:61]
	s_xor_b64 s[60:61], exec, s[62:63]
	s_cbranch_execz .LBB153_20
; %bb.19:                               ;   in Loop: Header=BB153_3 Depth=1
	ds_read_b64 v[10:11], v1 offset:72
	global_store_dword v[4:5], v15, off
	s_waitcnt lgkmcnt(0)
	v_add_co_u32_e32 v10, vcc, 1, v10
	v_addc_co_u32_e32 v11, vcc, 0, v11, vcc
	ds_write_b64 v1, v[10:11] offset:72
.LBB153_20:                             ;   in Loop: Header=BB153_3 Depth=1
	s_andn2_saveexec_b64 s[60:61], s[60:61]
	s_cbranch_execz .LBB153_22
; %bb.21:                               ;   in Loop: Header=BB153_3 Depth=1
	ds_read_b64 v[10:11], v1 offset:80
	global_store_dword v[4:5], v16, off
	s_waitcnt lgkmcnt(0)
	v_add_co_u32_e32 v10, vcc, 1, v10
	v_addc_co_u32_e32 v11, vcc, 0, v11, vcc
	ds_write_b64 v1, v[10:11] offset:80
.LBB153_22:                             ;   in Loop: Header=BB153_3 Depth=1
	s_or_b64 exec, exec, s[60:61]
.LBB153_23:                             ;   in Loop: Header=BB153_3 Depth=1
	s_or_b64 exec, exec, s[58:59]
.LBB153_24:                             ;   in Loop: Header=BB153_3 Depth=1
	s_or_b64 exec, exec, s[56:57]
.LBB153_25:                             ;   in Loop: Header=BB153_3 Depth=1
	s_or_b64 exec, exec, s[54:55]
.LBB153_26:                             ;   in Loop: Header=BB153_3 Depth=1
	s_andn2_saveexec_b64 s[52:53], s[52:53]
	s_cbranch_execz .LBB153_28
; %bb.27:                               ;   in Loop: Header=BB153_3 Depth=1
	ds_read_b64 v[10:11], v1 offset:40
	global_store_dword v[4:5], v17, off
	s_waitcnt lgkmcnt(0)
	v_add_co_u32_e32 v10, vcc, 1, v10
	v_addc_co_u32_e32 v11, vcc, 0, v11, vcc
	ds_write_b64 v1, v[10:11] offset:40
.LBB153_28:                             ;   in Loop: Header=BB153_3 Depth=1
	s_or_b64 exec, exec, s[52:53]
.LBB153_29:                             ;   in Loop: Header=BB153_3 Depth=1
	s_andn2_saveexec_b64 s[50:51], s[50:51]
	s_cbranch_execz .LBB153_31
; %bb.30:                               ;   in Loop: Header=BB153_3 Depth=1
	ds_read_b64 v[10:11], v1 offset:32
	global_store_dword v[4:5], v18, off
	s_waitcnt lgkmcnt(0)
	v_add_co_u32_e32 v10, vcc, 1, v10
	v_addc_co_u32_e32 v11, vcc, 0, v11, vcc
	ds_write_b64 v1, v[10:11] offset:32
.LBB153_31:                             ;   in Loop: Header=BB153_3 Depth=1
	s_or_b64 exec, exec, s[50:51]
.LBB153_32:                             ;   in Loop: Header=BB153_3 Depth=1
	s_andn2_saveexec_b64 s[48:49], s[48:49]
	s_cbranch_execz .LBB153_34
; %bb.33:                               ;   in Loop: Header=BB153_3 Depth=1
	ds_read_b64 v[10:11], v1 offset:24
	global_store_dword v[4:5], v19, off
	s_waitcnt lgkmcnt(0)
	v_add_co_u32_e32 v10, vcc, 1, v10
	v_addc_co_u32_e32 v11, vcc, 0, v11, vcc
	ds_write_b64 v1, v[10:11] offset:24
.LBB153_34:                             ;   in Loop: Header=BB153_3 Depth=1
	s_or_b64 exec, exec, s[48:49]
.LBB153_35:                             ;   in Loop: Header=BB153_3 Depth=1
	s_andn2_saveexec_b64 s[46:47], s[46:47]
	s_cbranch_execz .LBB153_37
; %bb.36:                               ;   in Loop: Header=BB153_3 Depth=1
	ds_read_b64 v[10:11], v1 offset:16
	global_store_dword v[4:5], v20, off
	s_waitcnt lgkmcnt(0)
	v_add_co_u32_e32 v10, vcc, 1, v10
	v_addc_co_u32_e32 v11, vcc, 0, v11, vcc
	ds_write_b64 v1, v[10:11] offset:16
.LBB153_37:                             ;   in Loop: Header=BB153_3 Depth=1
	s_or_b64 exec, exec, s[46:47]
.LBB153_38:                             ;   in Loop: Header=BB153_3 Depth=1
	s_andn2_saveexec_b64 s[44:45], s[44:45]
	s_cbranch_execz .LBB153_40
; %bb.39:                               ;   in Loop: Header=BB153_3 Depth=1
	ds_read_b64 v[10:11], v1 offset:8
	global_store_dword v[4:5], v21, off
	s_waitcnt lgkmcnt(0)
	v_add_co_u32_e32 v10, vcc, 1, v10
	v_addc_co_u32_e32 v11, vcc, 0, v11, vcc
	ds_write_b64 v1, v[10:11] offset:8
.LBB153_40:                             ;   in Loop: Header=BB153_3 Depth=1
	s_or_b64 exec, exec, s[44:45]
.LBB153_41:                             ;   in Loop: Header=BB153_3 Depth=1
	s_andn2_saveexec_b64 s[42:43], s[42:43]
	s_cbranch_execz .LBB153_2
; %bb.42:                               ;   in Loop: Header=BB153_3 Depth=1
	ds_read_b64 v[10:11], v1
	global_store_dword v[4:5], v3, off
	s_waitcnt lgkmcnt(0)
	v_add_co_u32_e32 v10, vcc, 1, v10
	v_addc_co_u32_e32 v11, vcc, 0, v11, vcc
	ds_write_b64 v1, v[10:11]
	s_branch .LBB153_2
.LBB153_43:
	s_or_b64 exec, exec, s[10:11]
	s_movk_i32 s2, 0x80
	v_cmp_gt_u32_e32 vcc, s2, v0
	s_waitcnt lgkmcnt(0)
	s_barrier
	s_barrier
	;; [unrolled: 1-line block ×3, first 2 shown]
	s_and_saveexec_b64 s[2:3], vcc
	s_cbranch_execz .LBB153_45
; %bb.44:
	v_add_u32_e32 v2, 0x2c00, v1
	ds_read2_b64 v[2:5], v2 offset1:1
	ds_read2_b64 v[6:9], v1 offset1:1
	ds_read2_b64 v[10:13], v1 offset0:2 offset1:3
	ds_read2_b64 v[14:17], v1 offset0:8 offset1:9
	;; [unrolled: 1-line block ×3, first 2 shown]
	s_waitcnt lgkmcnt(3)
	v_add_co_u32_e32 v6, vcc, v6, v2
	v_addc_co_u32_e32 v7, vcc, v7, v3, vcc
	v_add_co_u32_e32 v8, vcc, v8, v4
	v_add_u32_e32 v2, 0x2c10, v1
	v_addc_co_u32_e32 v9, vcc, v9, v5, vcc
	ds_read2_b64 v[2:5], v2 offset1:1
	ds_write2_b64 v1, v[6:7], v[8:9] offset1:1
	v_add_u32_e32 v6, 0x2c20, v1
	ds_read2_b64 v[6:9], v6 offset1:1
	s_waitcnt lgkmcnt(2)
	v_add_co_u32_e32 v2, vcc, v10, v2
	v_addc_co_u32_e32 v3, vcc, v11, v3, vcc
	v_add_co_u32_e32 v4, vcc, v12, v4
	v_addc_co_u32_e32 v5, vcc, v13, v5, vcc
	ds_write2_b64 v1, v[2:3], v[4:5] offset0:2 offset1:3
	ds_read2_b64 v[2:5], v1 offset0:6 offset1:7
	s_waitcnt lgkmcnt(2)
	v_add_co_u32_e32 v10, vcc, v18, v6
	v_addc_co_u32_e32 v11, vcc, v19, v7, vcc
	v_add_co_u32_e32 v12, vcc, v20, v8
	v_add_u32_e32 v6, 0x2c30, v1
	v_addc_co_u32_e32 v13, vcc, v21, v9, vcc
	ds_read2_b64 v[6:9], v6 offset1:1
	ds_write2_b64 v1, v[10:11], v[12:13] offset0:4 offset1:5
	v_add_u32_e32 v10, 0x2c40, v1
	ds_read2_b64 v[10:13], v10 offset1:1
	s_waitcnt lgkmcnt(2)
	v_add_co_u32_e32 v2, vcc, v2, v6
	v_addc_co_u32_e32 v3, vcc, v3, v7, vcc
	v_add_co_u32_e32 v4, vcc, v4, v8
	v_addc_co_u32_e32 v5, vcc, v5, v9, vcc
	ds_write2_b64 v1, v[2:3], v[4:5] offset0:6 offset1:7
	v_add_u32_e32 v2, 0x50, v1
	ds_read2st64_b64 v[2:5], v2 offset1:22
	s_waitcnt lgkmcnt(2)
	v_add_co_u32_e32 v6, vcc, v14, v10
	v_addc_co_u32_e32 v7, vcc, v15, v11, vcc
	v_add_co_u32_e32 v8, vcc, v16, v12
	v_addc_co_u32_e32 v9, vcc, v17, v13, vcc
	s_waitcnt lgkmcnt(0)
	v_add_co_u32_e32 v2, vcc, v2, v4
	v_addc_co_u32_e32 v3, vcc, v3, v5, vcc
	ds_write2_b64 v1, v[6:7], v[8:9] offset0:8 offset1:9
	ds_write_b64 v1, v[2:3] offset:80
.LBB153_45:
	s_or_b64 exec, exec, s[2:3]
	v_cmp_gt_u32_e32 vcc, 64, v0
	s_waitcnt lgkmcnt(0)
	s_barrier
	s_and_saveexec_b64 s[2:3], vcc
	s_cbranch_execz .LBB153_47
; %bb.46:
	v_add_u32_e32 v2, 0x1600, v1
	ds_read2_b64 v[2:5], v2 offset1:1
	ds_read2_b64 v[6:9], v1 offset1:1
	ds_read2_b64 v[10:13], v1 offset0:2 offset1:3
	ds_read2_b64 v[14:17], v1 offset0:8 offset1:9
	;; [unrolled: 1-line block ×3, first 2 shown]
	s_waitcnt lgkmcnt(3)
	v_add_co_u32_e32 v6, vcc, v6, v2
	v_addc_co_u32_e32 v7, vcc, v7, v3, vcc
	v_add_co_u32_e32 v8, vcc, v8, v4
	v_add_u32_e32 v2, 0x1610, v1
	v_addc_co_u32_e32 v9, vcc, v9, v5, vcc
	ds_read2_b64 v[2:5], v2 offset1:1
	ds_write2_b64 v1, v[6:7], v[8:9] offset1:1
	v_add_u32_e32 v6, 0x1620, v1
	ds_read2_b64 v[6:9], v6 offset1:1
	s_waitcnt lgkmcnt(2)
	v_add_co_u32_e32 v2, vcc, v10, v2
	v_addc_co_u32_e32 v3, vcc, v11, v3, vcc
	v_add_co_u32_e32 v4, vcc, v12, v4
	v_addc_co_u32_e32 v5, vcc, v13, v5, vcc
	ds_write2_b64 v1, v[2:3], v[4:5] offset0:2 offset1:3
	ds_read2_b64 v[2:5], v1 offset0:6 offset1:7
	s_waitcnt lgkmcnt(2)
	v_add_co_u32_e32 v10, vcc, v18, v6
	v_addc_co_u32_e32 v11, vcc, v19, v7, vcc
	v_add_co_u32_e32 v12, vcc, v20, v8
	v_add_u32_e32 v6, 0x1630, v1
	v_addc_co_u32_e32 v13, vcc, v21, v9, vcc
	ds_read2_b64 v[6:9], v6 offset1:1
	ds_write2_b64 v1, v[10:11], v[12:13] offset0:4 offset1:5
	v_add_u32_e32 v10, 0x1640, v1
	ds_read2_b64 v[10:13], v10 offset1:1
	s_waitcnt lgkmcnt(2)
	v_add_co_u32_e32 v2, vcc, v2, v6
	v_addc_co_u32_e32 v3, vcc, v3, v7, vcc
	v_add_co_u32_e32 v4, vcc, v4, v8
	v_addc_co_u32_e32 v5, vcc, v5, v9, vcc
	ds_write2_b64 v1, v[2:3], v[4:5] offset0:6 offset1:7
	v_add_u32_e32 v2, 0x50, v1
	ds_read2st64_b64 v[2:5], v2 offset1:11
	s_waitcnt lgkmcnt(2)
	v_add_co_u32_e32 v6, vcc, v14, v10
	v_addc_co_u32_e32 v7, vcc, v15, v11, vcc
	v_add_co_u32_e32 v8, vcc, v16, v12
	v_addc_co_u32_e32 v9, vcc, v17, v13, vcc
	s_waitcnt lgkmcnt(0)
	v_add_co_u32_e32 v2, vcc, v2, v4
	v_addc_co_u32_e32 v3, vcc, v3, v5, vcc
	ds_write2_b64 v1, v[6:7], v[8:9] offset0:8 offset1:9
	ds_write_b64 v1, v[2:3] offset:80
.LBB153_47:
	s_or_b64 exec, exec, s[2:3]
	v_cmp_gt_u32_e32 vcc, 32, v0
	s_waitcnt lgkmcnt(0)
	s_barrier
	s_and_saveexec_b64 s[2:3], vcc
	s_cbranch_execz .LBB153_49
; %bb.48:
	v_add_u32_e32 v2, 0xb00, v1
	ds_read2_b64 v[2:5], v2 offset1:1
	ds_read2_b64 v[6:9], v1 offset1:1
	ds_read2_b64 v[10:13], v1 offset0:2 offset1:3
	ds_read_b64 v[18:19], v1 offset:2896
	ds_read2_b64 v[14:17], v1 offset0:4 offset1:5
	s_waitcnt lgkmcnt(3)
	v_add_co_u32_e32 v6, vcc, v6, v2
	v_addc_co_u32_e32 v7, vcc, v7, v3, vcc
	v_add_co_u32_e32 v8, vcc, v8, v4
	v_add_u32_e32 v2, 0xb10, v1
	v_addc_co_u32_e32 v9, vcc, v9, v5, vcc
	ds_read2_b64 v[2:5], v2 offset1:1
	ds_write2_b64 v1, v[6:7], v[8:9] offset1:1
	v_add_u32_e32 v6, 0xb20, v1
	ds_read2_b64 v[6:9], v6 offset1:1
	s_waitcnt lgkmcnt(2)
	v_add_co_u32_e32 v2, vcc, v10, v2
	v_addc_co_u32_e32 v3, vcc, v11, v3, vcc
	v_add_co_u32_e32 v4, vcc, v12, v4
	v_addc_co_u32_e32 v5, vcc, v13, v5, vcc
	ds_write2_b64 v1, v[2:3], v[4:5] offset0:2 offset1:3
	ds_read2_b64 v[2:5], v1 offset0:6 offset1:7
	s_waitcnt lgkmcnt(2)
	v_add_co_u32_e32 v10, vcc, v14, v6
	v_addc_co_u32_e32 v11, vcc, v15, v7, vcc
	v_add_co_u32_e32 v12, vcc, v16, v8
	v_add_u32_e32 v6, 0xb30, v1
	v_addc_co_u32_e32 v13, vcc, v17, v9, vcc
	ds_read2_b64 v[6:9], v6 offset1:1
	ds_write2_b64 v1, v[10:11], v[12:13] offset0:4 offset1:5
	v_add_u32_e32 v10, 0xb40, v1
	ds_read2_b64 v[10:13], v10 offset1:1
	ds_read2_b64 v[14:17], v1 offset0:8 offset1:9
	s_waitcnt lgkmcnt(3)
	v_add_co_u32_e32 v2, vcc, v2, v6
	v_addc_co_u32_e32 v3, vcc, v3, v7, vcc
	v_add_co_u32_e32 v4, vcc, v4, v8
	v_addc_co_u32_e32 v5, vcc, v5, v9, vcc
	ds_write2_b64 v1, v[2:3], v[4:5] offset0:6 offset1:7
	ds_read_b64 v[2:3], v1 offset:80
	s_waitcnt lgkmcnt(2)
	v_add_co_u32_e32 v4, vcc, v14, v10
	v_addc_co_u32_e32 v5, vcc, v15, v11, vcc
	v_add_co_u32_e32 v6, vcc, v16, v12
	v_addc_co_u32_e32 v7, vcc, v17, v13, vcc
	s_waitcnt lgkmcnt(0)
	v_add_co_u32_e32 v2, vcc, v2, v18
	v_addc_co_u32_e32 v3, vcc, v3, v19, vcc
	ds_write2_b64 v1, v[4:5], v[6:7] offset0:8 offset1:9
	ds_write_b64 v1, v[2:3] offset:80
.LBB153_49:
	s_or_b64 exec, exec, s[2:3]
	v_cmp_gt_u32_e32 vcc, 16, v0
	s_waitcnt lgkmcnt(0)
	s_barrier
	s_and_saveexec_b64 s[2:3], vcc
	s_cbranch_execz .LBB153_51
; %bb.50:
	ds_read2_b64 v[2:5], v1 offset0:176 offset1:177
	ds_read2_b64 v[6:9], v1 offset1:1
	ds_read2_b64 v[10:13], v1 offset0:2 offset1:3
	ds_read2_b64 v[14:17], v1 offset0:8 offset1:9
	ds_read2_b64 v[18:21], v1 offset0:178 offset1:179
	s_waitcnt lgkmcnt(3)
	v_add_co_u32_e32 v2, vcc, v6, v2
	v_addc_co_u32_e32 v3, vcc, v7, v3, vcc
	v_add_co_u32_e32 v4, vcc, v8, v4
	v_addc_co_u32_e32 v5, vcc, v9, v5, vcc
	ds_write2_b64 v1, v[2:3], v[4:5] offset1:1
	ds_read2_b64 v[2:5], v1 offset0:180 offset1:181
	s_waitcnt lgkmcnt(2)
	v_add_co_u32_e32 v10, vcc, v10, v18
	ds_read2_b64 v[6:9], v1 offset0:4 offset1:5
	v_addc_co_u32_e32 v11, vcc, v11, v19, vcc
	v_add_co_u32_e32 v12, vcc, v12, v20
	v_addc_co_u32_e32 v13, vcc, v13, v21, vcc
	ds_write2_b64 v1, v[10:11], v[12:13] offset0:2 offset1:3
	ds_read2_b64 v[10:13], v1 offset0:6 offset1:7
	ds_read2_b64 v[18:21], v1 offset0:182 offset1:183
	s_waitcnt lgkmcnt(3)
	v_add_co_u32_e32 v2, vcc, v6, v2
	v_addc_co_u32_e32 v3, vcc, v7, v3, vcc
	v_add_co_u32_e32 v4, vcc, v8, v4
	v_addc_co_u32_e32 v5, vcc, v9, v5, vcc
	ds_write2_b64 v1, v[2:3], v[4:5] offset0:4 offset1:5
	ds_read2_b64 v[2:5], v1 offset0:184 offset1:185
	s_waitcnt lgkmcnt(2)
	v_add_co_u32_e32 v6, vcc, v10, v18
	v_addc_co_u32_e32 v7, vcc, v11, v19, vcc
	v_add_co_u32_e32 v8, vcc, v12, v20
	v_addc_co_u32_e32 v9, vcc, v13, v21, vcc
	ds_write2_b64 v1, v[6:7], v[8:9] offset0:6 offset1:7
	ds_read2_b64 v[6:9], v1 offset0:10 offset1:186
	s_waitcnt lgkmcnt(2)
	v_add_co_u32_e32 v2, vcc, v14, v2
	v_addc_co_u32_e32 v3, vcc, v15, v3, vcc
	v_add_co_u32_e32 v4, vcc, v16, v4
	v_addc_co_u32_e32 v5, vcc, v17, v5, vcc
	ds_write2_b64 v1, v[2:3], v[4:5] offset0:8 offset1:9
	s_waitcnt lgkmcnt(1)
	v_add_co_u32_e32 v2, vcc, v6, v8
	v_addc_co_u32_e32 v3, vcc, v7, v9, vcc
	ds_write_b64 v1, v[2:3] offset:80
.LBB153_51:
	s_or_b64 exec, exec, s[2:3]
	v_cmp_gt_u32_e32 vcc, 8, v0
	s_waitcnt lgkmcnt(0)
	s_barrier
	s_and_saveexec_b64 s[2:3], vcc
	s_cbranch_execz .LBB153_53
; %bb.52:
	ds_read2_b64 v[2:5], v1 offset0:88 offset1:89
	ds_read2_b64 v[6:9], v1 offset1:1
	ds_read2_b64 v[10:13], v1 offset0:2 offset1:3
	ds_read2_b64 v[14:17], v1 offset0:8 offset1:9
	ds_read2_b64 v[18:21], v1 offset0:90 offset1:91
	s_waitcnt lgkmcnt(3)
	v_add_co_u32_e32 v2, vcc, v6, v2
	v_addc_co_u32_e32 v3, vcc, v7, v3, vcc
	v_add_co_u32_e32 v4, vcc, v8, v4
	v_addc_co_u32_e32 v5, vcc, v9, v5, vcc
	ds_write2_b64 v1, v[2:3], v[4:5] offset1:1
	ds_read2_b64 v[2:5], v1 offset0:92 offset1:93
	s_waitcnt lgkmcnt(2)
	v_add_co_u32_e32 v10, vcc, v10, v18
	ds_read2_b64 v[6:9], v1 offset0:4 offset1:5
	v_addc_co_u32_e32 v11, vcc, v11, v19, vcc
	v_add_co_u32_e32 v12, vcc, v12, v20
	v_addc_co_u32_e32 v13, vcc, v13, v21, vcc
	ds_write2_b64 v1, v[10:11], v[12:13] offset0:2 offset1:3
	ds_read2_b64 v[10:13], v1 offset0:6 offset1:7
	ds_read2_b64 v[18:21], v1 offset0:94 offset1:95
	s_waitcnt lgkmcnt(3)
	v_add_co_u32_e32 v2, vcc, v6, v2
	v_addc_co_u32_e32 v3, vcc, v7, v3, vcc
	v_add_co_u32_e32 v4, vcc, v8, v4
	v_addc_co_u32_e32 v5, vcc, v9, v5, vcc
	ds_write2_b64 v1, v[2:3], v[4:5] offset0:4 offset1:5
	ds_read2_b64 v[2:5], v1 offset0:96 offset1:97
	s_waitcnt lgkmcnt(2)
	v_add_co_u32_e32 v6, vcc, v10, v18
	v_addc_co_u32_e32 v7, vcc, v11, v19, vcc
	v_add_co_u32_e32 v8, vcc, v12, v20
	v_addc_co_u32_e32 v9, vcc, v13, v21, vcc
	ds_write2_b64 v1, v[6:7], v[8:9] offset0:6 offset1:7
	ds_read2_b64 v[6:9], v1 offset0:10 offset1:98
	s_waitcnt lgkmcnt(2)
	v_add_co_u32_e32 v2, vcc, v14, v2
	v_addc_co_u32_e32 v3, vcc, v15, v3, vcc
	v_add_co_u32_e32 v4, vcc, v16, v4
	v_addc_co_u32_e32 v5, vcc, v17, v5, vcc
	ds_write2_b64 v1, v[2:3], v[4:5] offset0:8 offset1:9
	s_waitcnt lgkmcnt(1)
	v_add_co_u32_e32 v2, vcc, v6, v8
	v_addc_co_u32_e32 v3, vcc, v7, v9, vcc
	ds_write_b64 v1, v[2:3] offset:80
.LBB153_53:
	;; [unrolled: 53-line block ×4, first 2 shown]
	s_or_b64 exec, exec, s[2:3]
	v_cmp_eq_u32_e32 vcc, 0, v0
	s_waitcnt lgkmcnt(0)
	s_barrier
	s_and_saveexec_b64 s[2:3], vcc
	s_cbranch_execz .LBB153_59
; %bb.58:
	v_mov_b32_e32 v1, 0
	ds_read_b128 v[2:5], v1 offset:80
	ds_read_b128 v[6:9], v1
	ds_read_b128 v[10:13], v1 offset:16
	ds_read_b128 v[14:17], v1 offset:32
	;; [unrolled: 1-line block ×5, first 2 shown]
	s_waitcnt lgkmcnt(5)
	v_add_co_u32_e32 v4, vcc, v6, v4
	v_addc_co_u32_e32 v5, vcc, v7, v5, vcc
	ds_read_b128 v[30:33], v1 offset:112
	s_waitcnt lgkmcnt(2)
	v_add_co_u32_e32 v6, vcc, v8, v22
	v_addc_co_u32_e32 v7, vcc, v9, v23, vcc
	ds_write_b128 v1, v[4:7]
	v_add_co_u32_e32 v4, vcc, v10, v24
	v_addc_co_u32_e32 v5, vcc, v11, v25, vcc
	s_waitcnt lgkmcnt(1)
	v_add_co_u32_e32 v6, vcc, v12, v30
	v_addc_co_u32_e32 v7, vcc, v13, v31, vcc
	ds_write_b128 v1, v[4:7] offset:16
	ds_read_b128 v[4:7], v1 offset:128
	v_add_co_u32_e32 v8, vcc, v14, v32
	v_addc_co_u32_e32 v9, vcc, v15, v33, vcc
	ds_read_b128 v[12:15], v1 offset:144
	s_waitcnt lgkmcnt(1)
	v_add_co_u32_e32 v10, vcc, v16, v4
	v_addc_co_u32_e32 v11, vcc, v17, v5, vcc
	v_add_co_u32_e32 v4, vcc, v18, v6
	v_addc_co_u32_e32 v5, vcc, v19, v7, vcc
	s_waitcnt lgkmcnt(0)
	v_add_co_u32_e32 v6, vcc, v20, v12
	v_addc_co_u32_e32 v7, vcc, v21, v13, vcc
	ds_write_b128 v1, v[4:7] offset:48
	ds_read_b128 v[4:7], v1 offset:160
	ds_write_b128 v1, v[8:11] offset:32
	v_add_co_u32_e32 v8, vcc, v26, v14
	v_addc_co_u32_e32 v9, vcc, v27, v15, vcc
	s_waitcnt lgkmcnt(1)
	v_add_co_u32_e32 v10, vcc, v28, v4
	v_addc_co_u32_e32 v11, vcc, v29, v5, vcc
	v_add_co_u32_e32 v2, vcc, v2, v6
	v_addc_co_u32_e32 v3, vcc, v3, v7, vcc
	ds_write_b128 v1, v[8:11] offset:64
	ds_write_b64 v1, v[2:3] offset:80
.LBB153_59:
	s_or_b64 exec, exec, s[2:3]
	v_cmp_gt_u32_e32 vcc, 11, v0
	s_waitcnt lgkmcnt(0)
	s_barrier
	s_and_saveexec_b64 s[2:3], vcc
	s_cbranch_execz .LBB153_61
; %bb.60:
	v_mad_u64_u32 v[2:3], s[2:3], s6, 11, v[0:1]
	v_lshlrev_b32_e32 v0, 3, v0
	ds_read_b64 v[0:1], v0
	v_mov_b32_e32 v3, 0
	v_lshlrev_b64 v[2:3], 3, v[2:3]
	v_mov_b32_e32 v4, s1
	v_add_co_u32_e32 v2, vcc, s0, v2
	v_addc_co_u32_e32 v3, vcc, v4, v3, vcc
	s_waitcnt lgkmcnt(0)
	global_store_dwordx2 v[2:3], v[0:1], off
.LBB153_61:
	s_endpgm
	.section	.rodata,"a",@progbits
	.p2align	6, 0x0
	.amdhsa_kernel _ZN9rocsparseL26csrgemm_group_reduce_part2ILj256ELj11E21rocsparse_complex_numIdEllEEvT3_PKT2_PS3_Pij
		.amdhsa_group_segment_fixed_size 22528
		.amdhsa_private_segment_fixed_size 0
		.amdhsa_kernarg_size 296
		.amdhsa_user_sgpr_count 6
		.amdhsa_user_sgpr_private_segment_buffer 1
		.amdhsa_user_sgpr_dispatch_ptr 0
		.amdhsa_user_sgpr_queue_ptr 0
		.amdhsa_user_sgpr_kernarg_segment_ptr 1
		.amdhsa_user_sgpr_dispatch_id 0
		.amdhsa_user_sgpr_flat_scratch_init 0
		.amdhsa_user_sgpr_kernarg_preload_length 0
		.amdhsa_user_sgpr_kernarg_preload_offset 0
		.amdhsa_user_sgpr_private_segment_size 0
		.amdhsa_uses_dynamic_stack 0
		.amdhsa_system_sgpr_private_segment_wavefront_offset 0
		.amdhsa_system_sgpr_workgroup_id_x 1
		.amdhsa_system_sgpr_workgroup_id_y 0
		.amdhsa_system_sgpr_workgroup_id_z 0
		.amdhsa_system_sgpr_workgroup_info 0
		.amdhsa_system_vgpr_workitem_id 0
		.amdhsa_next_free_vgpr 34
		.amdhsa_next_free_sgpr 64
		.amdhsa_accum_offset 36
		.amdhsa_reserve_vcc 1
		.amdhsa_reserve_flat_scratch 0
		.amdhsa_float_round_mode_32 0
		.amdhsa_float_round_mode_16_64 0
		.amdhsa_float_denorm_mode_32 3
		.amdhsa_float_denorm_mode_16_64 3
		.amdhsa_dx10_clamp 1
		.amdhsa_ieee_mode 1
		.amdhsa_fp16_overflow 0
		.amdhsa_tg_split 0
		.amdhsa_exception_fp_ieee_invalid_op 0
		.amdhsa_exception_fp_denorm_src 0
		.amdhsa_exception_fp_ieee_div_zero 0
		.amdhsa_exception_fp_ieee_overflow 0
		.amdhsa_exception_fp_ieee_underflow 0
		.amdhsa_exception_fp_ieee_inexact 0
		.amdhsa_exception_int_div_zero 0
	.end_amdhsa_kernel
	.section	.text._ZN9rocsparseL26csrgemm_group_reduce_part2ILj256ELj11E21rocsparse_complex_numIdEllEEvT3_PKT2_PS3_Pij,"axG",@progbits,_ZN9rocsparseL26csrgemm_group_reduce_part2ILj256ELj11E21rocsparse_complex_numIdEllEEvT3_PKT2_PS3_Pij,comdat
.Lfunc_end153:
	.size	_ZN9rocsparseL26csrgemm_group_reduce_part2ILj256ELj11E21rocsparse_complex_numIdEllEEvT3_PKT2_PS3_Pij, .Lfunc_end153-_ZN9rocsparseL26csrgemm_group_reduce_part2ILj256ELj11E21rocsparse_complex_numIdEllEEvT3_PKT2_PS3_Pij
                                        ; -- End function
	.section	.AMDGPU.csdata,"",@progbits
; Kernel info:
; codeLenInByte = 3600
; NumSgprs: 68
; NumVgprs: 34
; NumAgprs: 0
; TotalNumVgprs: 34
; ScratchSize: 0
; MemoryBound: 0
; FloatMode: 240
; IeeeMode: 1
; LDSByteSize: 22528 bytes/workgroup (compile time only)
; SGPRBlocks: 8
; VGPRBlocks: 4
; NumSGPRsForWavesPerEU: 68
; NumVGPRsForWavesPerEU: 34
; AccumOffset: 36
; Occupancy: 2
; WaveLimiterHint : 0
; COMPUTE_PGM_RSRC2:SCRATCH_EN: 0
; COMPUTE_PGM_RSRC2:USER_SGPR: 6
; COMPUTE_PGM_RSRC2:TRAP_HANDLER: 0
; COMPUTE_PGM_RSRC2:TGID_X_EN: 1
; COMPUTE_PGM_RSRC2:TGID_Y_EN: 0
; COMPUTE_PGM_RSRC2:TGID_Z_EN: 0
; COMPUTE_PGM_RSRC2:TIDIG_COMP_CNT: 0
; COMPUTE_PGM_RSRC3_GFX90A:ACCUM_OFFSET: 8
; COMPUTE_PGM_RSRC3_GFX90A:TG_SPLIT: 0
	.section	.text._ZN9rocsparseL23csrgemm_fill_wf_per_rowILj256ELj8ELj16ELj137Ell21rocsparse_complex_numIdEEEvT4_S3_PKS3_S5_NS_24const_host_device_scalarIT5_EEPKT3_S5_PKS7_SB_S5_SD_S8_SB_S5_SD_SB_PS3_PS7_21rocsparse_index_base_SG_SG_SG_bbb,"axG",@progbits,_ZN9rocsparseL23csrgemm_fill_wf_per_rowILj256ELj8ELj16ELj137Ell21rocsparse_complex_numIdEEEvT4_S3_PKS3_S5_NS_24const_host_device_scalarIT5_EEPKT3_S5_PKS7_SB_S5_SD_S8_SB_S5_SD_SB_PS3_PS7_21rocsparse_index_base_SG_SG_SG_bbb,comdat
	.globl	_ZN9rocsparseL23csrgemm_fill_wf_per_rowILj256ELj8ELj16ELj137Ell21rocsparse_complex_numIdEEEvT4_S3_PKS3_S5_NS_24const_host_device_scalarIT5_EEPKT3_S5_PKS7_SB_S5_SD_S8_SB_S5_SD_SB_PS3_PS7_21rocsparse_index_base_SG_SG_SG_bbb ; -- Begin function _ZN9rocsparseL23csrgemm_fill_wf_per_rowILj256ELj8ELj16ELj137Ell21rocsparse_complex_numIdEEEvT4_S3_PKS3_S5_NS_24const_host_device_scalarIT5_EEPKT3_S5_PKS7_SB_S5_SD_S8_SB_S5_SD_SB_PS3_PS7_21rocsparse_index_base_SG_SG_SG_bbb
	.p2align	8
	.type	_ZN9rocsparseL23csrgemm_fill_wf_per_rowILj256ELj8ELj16ELj137Ell21rocsparse_complex_numIdEEEvT4_S3_PKS3_S5_NS_24const_host_device_scalarIT5_EEPKT3_S5_PKS7_SB_S5_SD_S8_SB_S5_SD_SB_PS3_PS7_21rocsparse_index_base_SG_SG_SG_bbb,@function
_ZN9rocsparseL23csrgemm_fill_wf_per_rowILj256ELj8ELj16ELj137Ell21rocsparse_complex_numIdEEEvT4_S3_PKS3_S5_NS_24const_host_device_scalarIT5_EEPKT3_S5_PKS7_SB_S5_SD_S8_SB_S5_SD_SB_PS3_PS7_21rocsparse_index_base_SG_SG_SG_bbb: ; @_ZN9rocsparseL23csrgemm_fill_wf_per_rowILj256ELj8ELj16ELj137Ell21rocsparse_complex_numIdEEEvT4_S3_PKS3_S5_NS_24const_host_device_scalarIT5_EEPKT3_S5_PKS7_SB_S5_SD_S8_SB_S5_SD_SB_PS3_PS7_21rocsparse_index_base_SG_SG_SG_bbb
; %bb.0:
	s_add_u32 flat_scratch_lo, s6, s9
	s_addc_u32 flat_scratch_hi, s7, 0
	s_load_dwordx4 s[12:15], s[4:5], 0x20
	s_load_dwordx4 s[48:51], s[4:5], 0x60
	s_add_u32 s0, s0, s9
	s_load_dword s9, s[4:5], 0xb0
	s_load_dwordx4 s[28:31], s[4:5], 0xa0
	s_addc_u32 s1, s1, 0
	s_waitcnt lgkmcnt(0)
	v_mov_b32_e32 v1, s13
	buffer_store_dword v1, off, s[0:3], 0 offset:4
	s_bitcmp1_b32 s9, 0
	s_cselect_b64 s[52:53], -1, 0
	s_bitcmp1_b32 s9, 16
	v_mov_b32_e32 v1, s12
	s_cselect_b64 s[6:7], -1, 0
	buffer_store_dword v1, off, s[0:3], 0
	v_mov_b32_e32 v1, s49
	buffer_store_dword v1, off, s[0:3], 0 offset:12
	v_mov_b32_e32 v1, s48
	s_xor_b64 s[10:11], s[6:7], -1
	buffer_store_dword v1, off, s[0:3], 0 offset:8
	v_pk_mov_b32 v[4:5], 0, 0
	v_cndmask_b32_e64 v1, 0, 1, s[10:11]
	s_bitcmp0_b32 s9, 0
	v_cmp_ne_u32_e64 s[10:11], 1, v1
	v_pk_mov_b32 v[10:11], v[4:5], v[4:5] op_sel:[0,1]
	v_pk_mov_b32 v[12:13], v[4:5], v[4:5] op_sel:[0,1]
	s_cbranch_scc1 .LBB154_3
; %bb.1:
	s_mov_b64 s[16:17], src_private_base
	s_and_b64 s[18:19], s[6:7], exec
	s_cselect_b32 s16, s17, s13
	v_mov_b32_e32 v1, 0
	v_mov_b32_e32 v2, s12
	v_cndmask_b32_e64 v2, v2, v1, s[6:7]
	v_mov_b32_e32 v3, s16
	flat_load_dwordx2 v[10:11], v[2:3]
	s_and_b64 vcc, exec, s[10:11]
	v_pk_mov_b32 v[12:13], s[14:15], s[14:15] op_sel:[0,1]
	s_cbranch_vccnz .LBB154_3
; %bb.2:
	v_pk_mov_b32 v[2:3], s[12:13], s[12:13] op_sel:[0,1]
	flat_load_dwordx2 v[12:13], v[2:3] offset:8
.LBB154_3:
	s_load_dwordx4 s[36:39], s[4:5], 0x90
	s_load_dwordx8 s[12:19], s[4:5], 0x70
	s_load_dwordx4 s[40:43], s[4:5], 0x50
	s_load_dwordx4 s[44:47], s[4:5], 0x10
	s_load_dwordx8 s[20:27], s[4:5], 0x30
	s_bitcmp1_b32 s9, 8
	s_cselect_b64 s[34:35], -1, 0
	s_bfe_u32 s9, s9, 0x10008
	s_mov_b64 s[54:55], 0
	s_cmp_eq_u32 s9, 0
	v_pk_mov_b32 v[6:7], v[4:5], v[4:5] op_sel:[0,1]
	s_cbranch_scc1 .LBB154_6
; %bb.4:
	s_mov_b64 s[56:57], src_private_base
	s_and_b64 s[58:59], s[6:7], exec
	s_cselect_b32 s9, s57, s49
	v_mov_b32_e32 v1, 8
	v_mov_b32_e32 v2, s48
	v_cndmask_b32_e64 v2, v2, v1, s[6:7]
	v_mov_b32_e32 v3, s9
	flat_load_dwordx2 v[6:7], v[2:3]
	s_and_b64 vcc, exec, s[10:11]
	v_pk_mov_b32 v[4:5], s[50:51], s[50:51] op_sel:[0,1]
	s_cbranch_vccnz .LBB154_6
; %bb.5:
	v_pk_mov_b32 v[2:3], s[48:49], s[48:49] op_sel:[0,1]
	flat_load_dwordx2 v[4:5], v[2:3] offset:8
.LBB154_6:
	s_load_dwordx4 s[4:7], s[4:5], 0x0
	v_and_b32_e32 v36, 7, v0
	v_lshrrev_b32_e32 v14, 3, v0
	v_lshlrev_b32_e32 v0, 4, v36
	v_lshl_or_b32 v32, v14, 8, v0
	v_lshlrev_b32_e32 v0, 7, v14
	v_lshlrev_b32_e32 v1, 3, v36
	s_movk_i32 s9, 0x2000
	v_or_b32_e32 v29, -8, v36
	v_or3_b32 v33, v0, v1, s9
	v_mov_b32_e32 v0, 0
	s_waitcnt lgkmcnt(0)
	v_pk_mov_b32 v[8:9], s[6:7], s[6:7] op_sel:[0,1]
	v_mov_b32_e32 v1, v0
	v_mov_b32_e32 v2, v0
	;; [unrolled: 1-line block ×6, first 2 shown]
.LBB154_7:                              ; =>This Inner Loop Header: Depth=1
	v_add_co_u32_e32 v17, vcc, 8, v17
	s_xor_b64 s[10:11], vcc, -1
	s_and_b64 s[10:11], exec, s[10:11]
	ds_write_b64 v15, v[8:9]
	ds_write_b128 v16, v[0:3]
	v_add_u32_e32 v16, 0x80, v16
	s_or_b64 s[54:55], s[10:11], s[54:55]
	v_add_u32_e32 v15, 64, v15
	s_andn2_b64 exec, exec, s[54:55]
	s_cbranch_execnz .LBB154_7
; %bb.8:
	s_or_b64 exec, exec, s[54:55]
	s_lshl_b32 s8, s8, 5
	s_and_b32 s8, s8, 0x1fffffe0
	v_or_b32_e32 v0, s8, v14
	v_mov_b32_e32 v1, 0
	v_cmp_gt_i64_e32 vcc, s[4:5], v[0:1]
	s_waitcnt lgkmcnt(0)
	s_and_saveexec_b64 s[4:5], vcc
	s_cbranch_execz .LBB154_52
; %bb.9:
	s_cmp_eq_u64 s[46:47], 0
	s_cbranch_scc1 .LBB154_11
; %bb.10:
	s_load_dwordx2 s[4:5], s[44:45], 0x0
	v_lshlrev_b32_e32 v0, 3, v0
	s_waitcnt lgkmcnt(0)
	s_lshl_b64 s[4:5], s[4:5], 3
	s_add_u32 s4, s46, s4
	s_addc_u32 s5, s47, s5
	global_load_dwordx2 v[0:1], v0, s[4:5]
.LBB154_11:
	v_mov_b32_e32 v2, 0x2000
	v_lshl_or_b32 v34, v14, 7, v2
	v_lshlrev_b32_e32 v35, 8, v14
	s_andn2_b64 vcc, exec, s[52:53]
	s_waitcnt vmcnt(0)
	v_lshlrev_b64 v[8:9], 3, v[0:1]
	s_cbranch_vccnz .LBB154_31
; %bb.12:
	v_mov_b32_e32 v1, s21
	v_add_co_u32_e32 v0, vcc, s20, v8
	v_addc_co_u32_e32 v1, vcc, v1, v9, vcc
	global_load_dwordx4 v[0:3], v[0:1], off
	v_subrev_co_u32_e32 v16, vcc, s28, v36
	v_subb_co_u32_e64 v17, s[4:5], 0, 0, vcc
	s_mov_b32 s10, 0
	s_waitcnt vmcnt(0)
	v_subrev_co_u32_e32 v14, vcc, s28, v2
	v_subbrev_co_u32_e32 v15, vcc, 0, v3, vcc
	v_add_co_u32_e32 v16, vcc, v0, v16
	v_addc_co_u32_e32 v17, vcc, v1, v17, vcc
	v_cmp_lt_i64_e32 vcc, v[16:17], v[14:15]
	s_and_saveexec_b64 s[4:5], vcc
	s_cbranch_execz .LBB154_30
; %bb.13:
	s_mov_b32 s33, s28
	s_mov_b32 s54, s29
	;; [unrolled: 1-line block ×3, first 2 shown]
	s_mov_b64 s[8:9], 0
	v_mov_b32_e32 v37, s23
	v_mov_b32_e32 v38, s10
	;; [unrolled: 1-line block ×3, first 2 shown]
	s_branch .LBB154_15
.LBB154_14:                             ;   in Loop: Header=BB154_15 Depth=1
	s_or_b64 exec, exec, s[10:11]
	v_add_co_u32_e32 v16, vcc, 8, v16
	v_addc_co_u32_e32 v17, vcc, 0, v17, vcc
	v_cmp_ge_i64_e32 vcc, v[16:17], v[14:15]
	s_or_b64 s[8:9], vcc, s[8:9]
	s_andn2_b64 exec, exec, s[8:9]
	s_cbranch_execz .LBB154_30
.LBB154_15:                             ; =>This Loop Header: Depth=1
                                        ;     Child Loop BB154_18 Depth 2
                                        ;       Child Loop BB154_20 Depth 3
	v_lshlrev_b64 v[0:1], 3, v[16:17]
	v_add_co_u32_e32 v0, vcc, s22, v0
	v_addc_co_u32_e32 v1, vcc, v37, v1, vcc
	global_load_dwordx2 v[0:1], v[0:1], off
	s_waitcnt vmcnt(0)
	v_subrev_co_u32_e32 v0, vcc, s33, v0
	v_subb_co_u32_e32 v1, vcc, v1, v38, vcc
	v_lshlrev_b64 v[0:1], 3, v[0:1]
	v_add_co_u32_e32 v0, vcc, s26, v0
	v_addc_co_u32_e32 v1, vcc, v39, v1, vcc
	global_load_dwordx4 v[0:3], v[0:1], off
	s_waitcnt vmcnt(0)
	v_cmp_lt_i64_e32 vcc, v[0:1], v[2:3]
	s_and_saveexec_b64 s[10:11], vcc
	s_cbranch_execz .LBB154_14
; %bb.16:                               ;   in Loop: Header=BB154_15 Depth=1
	v_lshlrev_b64 v[18:19], 4, v[16:17]
	v_mov_b32_e32 v20, s25
	v_add_co_u32_e32 v18, vcc, s24, v18
	v_addc_co_u32_e32 v19, vcc, v20, v19, vcc
	global_load_dwordx4 v[22:25], v[18:19], off
	v_mov_b32_e32 v18, s55
	v_subrev_co_u32_e32 v2, vcc, s54, v2
	v_subb_co_u32_e32 v3, vcc, v3, v18, vcc
	v_subrev_co_u32_e32 v0, vcc, s54, v0
	v_subb_co_u32_e32 v1, vcc, v1, v18, vcc
	s_mov_b64 s[20:21], 0
	s_waitcnt vmcnt(0)
	v_mul_f64 v[18:19], v[24:25], -v[12:13]
	v_mul_f64 v[20:21], v[10:11], v[24:25]
	v_fmac_f64_e32 v[18:19], v[10:11], v[22:23]
	v_fmac_f64_e32 v[20:21], v[12:13], v[22:23]
	s_branch .LBB154_18
.LBB154_17:                             ;   in Loop: Header=BB154_18 Depth=2
	s_or_b64 exec, exec, s[28:29]
	v_add_co_u32_e32 v0, vcc, 1, v0
	v_addc_co_u32_e32 v1, vcc, 0, v1, vcc
	v_cmp_ge_i64_e32 vcc, v[0:1], v[2:3]
	s_or_b64 s[20:21], vcc, s[20:21]
	s_andn2_b64 exec, exec, s[20:21]
	s_cbranch_execz .LBB154_14
.LBB154_18:                             ;   Parent Loop BB154_15 Depth=1
                                        ; =>  This Loop Header: Depth=2
                                        ;       Child Loop BB154_20 Depth 3
	v_lshlrev_b64 v[22:23], 3, v[0:1]
	v_mov_b32_e32 v24, s41
	v_add_co_u32_e32 v22, vcc, s40, v22
	v_addc_co_u32_e32 v23, vcc, v24, v23, vcc
	v_lshlrev_b64 v[24:25], 4, v[0:1]
	v_mov_b32_e32 v26, s43
	v_add_co_u32_e32 v24, vcc, s42, v24
	global_load_dwordx2 v[22:23], v[22:23], off
	v_addc_co_u32_e32 v25, vcc, v26, v25, vcc
	global_load_dwordx4 v[40:43], v[24:25], off
	v_mov_b32_e32 v24, s55
	s_mov_b64 s[28:29], 0
	s_waitcnt vmcnt(1)
	v_subrev_co_u32_e32 v22, vcc, s54, v22
	v_subb_co_u32_e32 v23, vcc, v23, v24, vcc
	s_waitcnt vmcnt(0)
	v_mul_f64 v[24:25], v[42:43], -v[20:21]
	v_mul_f64 v[26:27], v[18:19], v[42:43]
	v_lshl_add_u32 v28, v22, 3, v22
	v_fmac_f64_e32 v[24:25], v[18:19], v[40:41]
	v_fmac_f64_e32 v[26:27], v[20:21], v[40:41]
	v_and_b32_e32 v28, 15, v28
	s_branch .LBB154_20
.LBB154_19:                             ;   in Loop: Header=BB154_20 Depth=3
	s_or_b64 exec, exec, s[44:45]
	s_xor_b64 s[44:45], s[46:47], -1
	s_and_b64 s[44:45], exec, s[44:45]
	s_or_b64 s[28:29], s[44:45], s[28:29]
	s_andn2_b64 exec, exec, s[28:29]
	s_cbranch_execz .LBB154_17
.LBB154_20:                             ;   Parent Loop BB154_15 Depth=1
                                        ;     Parent Loop BB154_18 Depth=2
                                        ; =>    This Inner Loop Header: Depth=3
	v_lshl_add_u32 v40, v28, 3, v34
	ds_read_b64 v[30:31], v40
                                        ; implicit-def: $sgpr46_sgpr47
	s_waitcnt lgkmcnt(0)
	v_cmp_ne_u64_e32 vcc, v[30:31], v[22:23]
	s_and_saveexec_b64 s[44:45], vcc
	s_xor_b64 s[44:45], exec, s[44:45]
	s_cbranch_execz .LBB154_28
; %bb.21:                               ;   in Loop: Header=BB154_20 Depth=3
	v_cmp_ne_u64_e32 vcc, s[6:7], v[30:31]
                                        ; implicit-def: $sgpr46_sgpr47
	s_and_saveexec_b64 s[48:49], vcc
	s_xor_b64 s[48:49], exec, s[48:49]
; %bb.22:                               ;   in Loop: Header=BB154_20 Depth=3
	v_add_u32_e32 v28, 1, v28
	v_and_b32_e32 v28, 15, v28
	s_mov_b64 s[46:47], -1
                                        ; implicit-def: $vgpr40
; %bb.23:                               ;   in Loop: Header=BB154_20 Depth=3
	s_andn2_saveexec_b64 s[48:49], s[48:49]
	s_cbranch_execz .LBB154_27
; %bb.24:                               ;   in Loop: Header=BB154_20 Depth=3
	v_pk_mov_b32 v[30:31], s[6:7], s[6:7] op_sel:[0,1]
	ds_cmpst_rtn_b64 v[30:31], v40, v[30:31], v[22:23]
	s_mov_b64 s[50:51], -1
	s_waitcnt lgkmcnt(0)
	v_cmp_eq_u64_e32 vcc, s[6:7], v[30:31]
	s_and_saveexec_b64 s[52:53], vcc
	s_cbranch_execz .LBB154_26
; %bb.25:                               ;   in Loop: Header=BB154_20 Depth=3
	v_lshl_add_u32 v30, v28, 4, v35
	ds_add_f64 v30, v[24:25]
	ds_add_f64 v30, v[26:27] offset:8
	s_xor_b64 s[50:51], exec, -1
.LBB154_26:                             ;   in Loop: Header=BB154_20 Depth=3
	s_or_b64 exec, exec, s[52:53]
	s_andn2_b64 s[46:47], s[46:47], exec
	s_and_b64 s[50:51], s[50:51], exec
	s_or_b64 s[46:47], s[46:47], s[50:51]
.LBB154_27:                             ;   in Loop: Header=BB154_20 Depth=3
	s_or_b64 exec, exec, s[48:49]
	s_and_b64 s[46:47], s[46:47], exec
.LBB154_28:                             ;   in Loop: Header=BB154_20 Depth=3
	s_andn2_saveexec_b64 s[44:45], s[44:45]
	s_cbranch_execz .LBB154_19
; %bb.29:                               ;   in Loop: Header=BB154_20 Depth=3
	v_lshl_add_u32 v30, v28, 4, v35
	ds_add_f64 v30, v[24:25]
	ds_add_f64 v30, v[26:27] offset:8
	s_andn2_b64 s[46:47], s[46:47], exec
	s_branch .LBB154_19
.LBB154_30:
	s_or_b64 exec, exec, s[4:5]
.LBB154_31:
	s_andn2_b64 vcc, exec, s[34:35]
	s_cbranch_vccnz .LBB154_48
; %bb.32:
	v_mov_b32_e32 v1, s13
	v_add_co_u32_e32 v0, vcc, s12, v8
	v_addc_co_u32_e32 v1, vcc, v1, v9, vcc
	global_load_dwordx4 v[10:13], v[0:1], off
	v_subrev_co_u32_e32 v2, vcc, s31, v36
	v_subb_co_u32_e64 v3, s[4:5], 0, 0, vcc
	s_mov_b32 s10, 0
	s_waitcnt vmcnt(0)
	v_subrev_co_u32_e32 v0, vcc, s31, v12
	v_subbrev_co_u32_e32 v1, vcc, 0, v13, vcc
	v_add_co_u32_e32 v2, vcc, v10, v2
	v_addc_co_u32_e32 v3, vcc, v11, v3, vcc
	v_cmp_lt_i64_e32 vcc, v[2:3], v[0:1]
	s_and_saveexec_b64 s[4:5], vcc
	s_cbranch_execz .LBB154_47
; %bb.33:
	s_mov_b32 s28, s31
	s_mov_b64 s[8:9], 0
	v_mov_b32_e32 v17, s15
	v_mov_b32_e32 v20, s10
	;; [unrolled: 1-line block ×3, first 2 shown]
	s_branch .LBB154_35
.LBB154_34:                             ;   in Loop: Header=BB154_35 Depth=1
	s_or_b64 exec, exec, s[10:11]
	v_add_co_u32_e32 v2, vcc, 8, v2
	v_addc_co_u32_e32 v3, vcc, 0, v3, vcc
	v_cmp_ge_i64_e32 vcc, v[2:3], v[0:1]
	s_or_b64 s[8:9], vcc, s[8:9]
	s_andn2_b64 exec, exec, s[8:9]
	s_cbranch_execz .LBB154_47
.LBB154_35:                             ; =>This Loop Header: Depth=1
                                        ;     Child Loop BB154_37 Depth 2
	v_lshlrev_b64 v[10:11], 3, v[2:3]
	v_add_co_u32_e32 v10, vcc, s14, v10
	v_addc_co_u32_e32 v11, vcc, v17, v11, vcc
	v_lshlrev_b64 v[12:13], 4, v[2:3]
	v_add_co_u32_e32 v12, vcc, s16, v12
	global_load_dwordx2 v[10:11], v[10:11], off
	v_addc_co_u32_e32 v13, vcc, v21, v13, vcc
	global_load_dwordx4 v[22:25], v[12:13], off
	s_mov_b64 s[10:11], 0
	s_waitcnt vmcnt(1)
	v_subrev_co_u32_e32 v10, vcc, s28, v10
	v_lshl_add_u32 v16, v10, 3, v10
	s_waitcnt vmcnt(0)
	v_mul_f64 v[12:13], v[24:25], -v[4:5]
	v_mul_f64 v[14:15], v[6:7], v[24:25]
	v_subb_co_u32_e32 v11, vcc, v11, v20, vcc
	v_fmac_f64_e32 v[12:13], v[6:7], v[22:23]
	v_fmac_f64_e32 v[14:15], v[4:5], v[22:23]
	v_and_b32_e32 v16, 15, v16
	s_branch .LBB154_37
.LBB154_36:                             ;   in Loop: Header=BB154_37 Depth=2
	s_or_b64 exec, exec, s[12:13]
	s_xor_b64 s[12:13], s[20:21], -1
	s_and_b64 s[12:13], exec, s[12:13]
	s_or_b64 s[10:11], s[12:13], s[10:11]
	s_andn2_b64 exec, exec, s[10:11]
	s_cbranch_execz .LBB154_34
.LBB154_37:                             ;   Parent Loop BB154_35 Depth=1
                                        ; =>  This Inner Loop Header: Depth=2
	v_lshl_add_u32 v22, v16, 3, v34
	ds_read_b64 v[18:19], v22
                                        ; implicit-def: $sgpr20_sgpr21
	s_waitcnt lgkmcnt(0)
	v_cmp_ne_u64_e32 vcc, v[18:19], v[10:11]
	s_and_saveexec_b64 s[12:13], vcc
	s_xor_b64 s[12:13], exec, s[12:13]
	s_cbranch_execz .LBB154_45
; %bb.38:                               ;   in Loop: Header=BB154_37 Depth=2
	v_cmp_ne_u64_e32 vcc, s[6:7], v[18:19]
                                        ; implicit-def: $sgpr20_sgpr21
	s_and_saveexec_b64 s[22:23], vcc
	s_xor_b64 s[22:23], exec, s[22:23]
; %bb.39:                               ;   in Loop: Header=BB154_37 Depth=2
	v_add_u32_e32 v16, 1, v16
	v_and_b32_e32 v16, 15, v16
	s_mov_b64 s[20:21], -1
                                        ; implicit-def: $vgpr22
; %bb.40:                               ;   in Loop: Header=BB154_37 Depth=2
	s_andn2_saveexec_b64 s[22:23], s[22:23]
	s_cbranch_execz .LBB154_44
; %bb.41:                               ;   in Loop: Header=BB154_37 Depth=2
	v_pk_mov_b32 v[18:19], s[6:7], s[6:7] op_sel:[0,1]
	ds_cmpst_rtn_b64 v[18:19], v22, v[18:19], v[10:11]
	s_mov_b64 s[24:25], -1
	s_waitcnt lgkmcnt(0)
	v_cmp_eq_u64_e32 vcc, s[6:7], v[18:19]
	s_and_saveexec_b64 s[26:27], vcc
	s_cbranch_execz .LBB154_43
; %bb.42:                               ;   in Loop: Header=BB154_37 Depth=2
	v_lshl_add_u32 v18, v16, 4, v35
	ds_add_f64 v18, v[12:13]
	ds_add_f64 v18, v[14:15] offset:8
	s_xor_b64 s[24:25], exec, -1
.LBB154_43:                             ;   in Loop: Header=BB154_37 Depth=2
	s_or_b64 exec, exec, s[26:27]
	s_andn2_b64 s[20:21], s[20:21], exec
	s_and_b64 s[24:25], s[24:25], exec
	s_or_b64 s[20:21], s[20:21], s[24:25]
.LBB154_44:                             ;   in Loop: Header=BB154_37 Depth=2
	s_or_b64 exec, exec, s[22:23]
	s_and_b64 s[20:21], s[20:21], exec
.LBB154_45:                             ;   in Loop: Header=BB154_37 Depth=2
	s_andn2_saveexec_b64 s[12:13], s[12:13]
	s_cbranch_execz .LBB154_36
; %bb.46:                               ;   in Loop: Header=BB154_37 Depth=2
	v_lshl_add_u32 v18, v16, 4, v35
	ds_add_f64 v18, v[12:13]
	ds_add_f64 v18, v[14:15] offset:8
	s_andn2_b64 s[20:21], s[20:21], exec
	s_branch .LBB154_36
.LBB154_47:
	s_or_b64 exec, exec, s[4:5]
.LBB154_48:
	v_mov_b32_e32 v1, s19
	v_add_co_u32_e32 v0, vcc, s18, v8
	v_addc_co_u32_e32 v1, vcc, v1, v9, vcc
	s_waitcnt lgkmcnt(0)
	global_load_dwordx2 v[0:1], v[0:1], off
	s_mov_b32 s10, 0
	s_mov_b64 s[4:5], 0
	s_waitcnt vmcnt(0)
	v_subrev_co_u32_e32 v2, vcc, s30, v0
	v_subbrev_co_u32_e32 v3, vcc, 0, v1, vcc
	s_branch .LBB154_50
.LBB154_49:                             ;   in Loop: Header=BB154_50 Depth=1
	s_or_b64 exec, exec, s[8:9]
	v_add_co_u32_e32 v29, vcc, 8, v29
	s_xor_b64 s[8:9], vcc, -1
	s_and_b64 s[8:9], exec, s[8:9]
	v_add_u32_e32 v32, 0x80, v32
	s_or_b64 s[4:5], s[8:9], s[4:5]
	v_add_u32_e32 v33, 64, v33
	s_andn2_b64 exec, exec, s[4:5]
	s_cbranch_execz .LBB154_52
.LBB154_50:                             ; =>This Inner Loop Header: Depth=1
	ds_read_b64 v[0:1], v33
	s_waitcnt lgkmcnt(0)
	v_cmp_gt_i64_e32 vcc, s[6:7], v[0:1]
	s_and_saveexec_b64 s[8:9], vcc
	s_cbranch_execz .LBB154_49
; %bb.51:                               ;   in Loop: Header=BB154_50 Depth=1
	ds_read_b128 v[4:7], v34
	ds_read_b128 v[8:11], v34 offset:16
	ds_read_b128 v[12:15], v34 offset:32
	;; [unrolled: 1-line block ×3, first 2 shown]
	s_waitcnt lgkmcnt(3)
	v_cmp_gt_i64_e32 vcc, v[0:1], v[4:5]
	v_cndmask_b32_e64 v4, 0, 1, vcc
	v_add_co_u32_e32 v4, vcc, v2, v4
	v_addc_co_u32_e32 v5, vcc, 0, v3, vcc
	v_cmp_gt_i64_e32 vcc, v[0:1], v[6:7]
	v_cndmask_b32_e64 v6, 0, 1, vcc
	v_add_co_u32_e32 v4, vcc, v4, v6
	v_addc_co_u32_e32 v5, vcc, 0, v5, vcc
	s_waitcnt lgkmcnt(2)
	v_cmp_gt_i64_e32 vcc, v[0:1], v[8:9]
	v_cndmask_b32_e64 v6, 0, 1, vcc
	v_add_co_u32_e32 v4, vcc, v4, v6
	v_addc_co_u32_e32 v5, vcc, 0, v5, vcc
	v_cmp_gt_i64_e32 vcc, v[0:1], v[10:11]
	v_cndmask_b32_e64 v6, 0, 1, vcc
	v_add_co_u32_e32 v4, vcc, v4, v6
	v_addc_co_u32_e32 v5, vcc, 0, v5, vcc
	;; [unrolled: 9-line block ×3, first 2 shown]
	s_waitcnt lgkmcnt(0)
	v_cmp_gt_i64_e32 vcc, v[0:1], v[16:17]
	v_cndmask_b32_e64 v6, 0, 1, vcc
	v_add_co_u32_e32 v8, vcc, v4, v6
	v_addc_co_u32_e32 v9, vcc, 0, v5, vcc
	ds_read_b128 v[4:7], v34 offset:64
	v_cmp_gt_i64_e32 vcc, v[0:1], v[18:19]
	v_cndmask_b32_e64 v10, 0, 1, vcc
	v_add_co_u32_e32 v12, vcc, v8, v10
	v_addc_co_u32_e32 v13, vcc, 0, v9, vcc
	ds_read_b128 v[8:11], v34 offset:80
	s_waitcnt lgkmcnt(1)
	v_cmp_gt_i64_e32 vcc, v[0:1], v[4:5]
	v_cndmask_b32_e64 v4, 0, 1, vcc
	v_add_co_u32_e32 v4, vcc, v12, v4
	v_addc_co_u32_e32 v5, vcc, 0, v13, vcc
	v_cmp_gt_i64_e32 vcc, v[0:1], v[6:7]
	v_cndmask_b32_e64 v6, 0, 1, vcc
	v_add_co_u32_e32 v4, vcc, v4, v6
	v_addc_co_u32_e32 v5, vcc, 0, v5, vcc
	s_waitcnt lgkmcnt(0)
	v_cmp_gt_i64_e32 vcc, v[0:1], v[8:9]
	v_cndmask_b32_e64 v6, 0, 1, vcc
	v_add_co_u32_e32 v8, vcc, v4, v6
	v_addc_co_u32_e32 v9, vcc, 0, v5, vcc
	ds_read_b128 v[4:7], v34 offset:96
	v_cmp_gt_i64_e32 vcc, v[0:1], v[10:11]
	v_cndmask_b32_e64 v10, 0, 1, vcc
	v_add_co_u32_e32 v12, vcc, v8, v10
	v_addc_co_u32_e32 v13, vcc, 0, v9, vcc
	ds_read_b128 v[8:11], v34 offset:112
	s_waitcnt lgkmcnt(1)
	v_cmp_gt_i64_e32 vcc, v[0:1], v[4:5]
	v_cndmask_b32_e64 v4, 0, 1, vcc
	v_add_co_u32_e32 v4, vcc, v12, v4
	v_addc_co_u32_e32 v5, vcc, 0, v13, vcc
	v_cmp_gt_i64_e32 vcc, v[0:1], v[6:7]
	v_cndmask_b32_e64 v6, 0, 1, vcc
	v_add_co_u32_e32 v4, vcc, v4, v6
	v_addc_co_u32_e32 v5, vcc, 0, v5, vcc
	s_waitcnt lgkmcnt(0)
	v_cmp_gt_i64_e32 vcc, v[0:1], v[8:9]
	v_cndmask_b32_e64 v6, 0, 1, vcc
	v_add_co_u32_e32 v4, vcc, v4, v6
	v_addc_co_u32_e32 v5, vcc, 0, v5, vcc
	v_cmp_gt_i64_e32 vcc, v[0:1], v[10:11]
	v_cndmask_b32_e64 v6, 0, 1, vcc
	v_add_co_u32_e32 v4, vcc, v4, v6
	v_addc_co_u32_e32 v5, vcc, 0, v5, vcc
	v_mov_b32_e32 v6, s10
	v_add_co_u32_e32 v0, vcc, s30, v0
	v_addc_co_u32_e32 v1, vcc, v1, v6, vcc
	v_lshlrev_b64 v[6:7], 3, v[4:5]
	v_mov_b32_e32 v8, s37
	v_add_co_u32_e32 v6, vcc, s36, v6
	v_addc_co_u32_e32 v7, vcc, v8, v7, vcc
	global_store_dwordx2 v[6:7], v[0:1], off
	v_lshlrev_b64 v[0:1], 4, v[4:5]
	ds_read2_b64 v[4:7], v32 offset1:1
	v_mov_b32_e32 v8, s39
	v_add_co_u32_e32 v0, vcc, s38, v0
	v_addc_co_u32_e32 v1, vcc, v8, v1, vcc
	s_waitcnt lgkmcnt(0)
	global_store_dwordx4 v[0:1], v[4:7], off
	s_branch .LBB154_49
.LBB154_52:
	s_endpgm
	.section	.rodata,"a",@progbits
	.p2align	6, 0x0
	.amdhsa_kernel _ZN9rocsparseL23csrgemm_fill_wf_per_rowILj256ELj8ELj16ELj137Ell21rocsparse_complex_numIdEEEvT4_S3_PKS3_S5_NS_24const_host_device_scalarIT5_EEPKT3_S5_PKS7_SB_S5_SD_S8_SB_S5_SD_SB_PS3_PS7_21rocsparse_index_base_SG_SG_SG_bbb
		.amdhsa_group_segment_fixed_size 12288
		.amdhsa_private_segment_fixed_size 24
		.amdhsa_kernarg_size 180
		.amdhsa_user_sgpr_count 8
		.amdhsa_user_sgpr_private_segment_buffer 1
		.amdhsa_user_sgpr_dispatch_ptr 0
		.amdhsa_user_sgpr_queue_ptr 0
		.amdhsa_user_sgpr_kernarg_segment_ptr 1
		.amdhsa_user_sgpr_dispatch_id 0
		.amdhsa_user_sgpr_flat_scratch_init 1
		.amdhsa_user_sgpr_kernarg_preload_length 0
		.amdhsa_user_sgpr_kernarg_preload_offset 0
		.amdhsa_user_sgpr_private_segment_size 0
		.amdhsa_uses_dynamic_stack 0
		.amdhsa_system_sgpr_private_segment_wavefront_offset 1
		.amdhsa_system_sgpr_workgroup_id_x 1
		.amdhsa_system_sgpr_workgroup_id_y 0
		.amdhsa_system_sgpr_workgroup_id_z 0
		.amdhsa_system_sgpr_workgroup_info 0
		.amdhsa_system_vgpr_workitem_id 0
		.amdhsa_next_free_vgpr 44
		.amdhsa_next_free_sgpr 60
		.amdhsa_accum_offset 44
		.amdhsa_reserve_vcc 1
		.amdhsa_reserve_flat_scratch 1
		.amdhsa_float_round_mode_32 0
		.amdhsa_float_round_mode_16_64 0
		.amdhsa_float_denorm_mode_32 3
		.amdhsa_float_denorm_mode_16_64 3
		.amdhsa_dx10_clamp 1
		.amdhsa_ieee_mode 1
		.amdhsa_fp16_overflow 0
		.amdhsa_tg_split 0
		.amdhsa_exception_fp_ieee_invalid_op 0
		.amdhsa_exception_fp_denorm_src 0
		.amdhsa_exception_fp_ieee_div_zero 0
		.amdhsa_exception_fp_ieee_overflow 0
		.amdhsa_exception_fp_ieee_underflow 0
		.amdhsa_exception_fp_ieee_inexact 0
		.amdhsa_exception_int_div_zero 0
	.end_amdhsa_kernel
	.section	.text._ZN9rocsparseL23csrgemm_fill_wf_per_rowILj256ELj8ELj16ELj137Ell21rocsparse_complex_numIdEEEvT4_S3_PKS3_S5_NS_24const_host_device_scalarIT5_EEPKT3_S5_PKS7_SB_S5_SD_S8_SB_S5_SD_SB_PS3_PS7_21rocsparse_index_base_SG_SG_SG_bbb,"axG",@progbits,_ZN9rocsparseL23csrgemm_fill_wf_per_rowILj256ELj8ELj16ELj137Ell21rocsparse_complex_numIdEEEvT4_S3_PKS3_S5_NS_24const_host_device_scalarIT5_EEPKT3_S5_PKS7_SB_S5_SD_S8_SB_S5_SD_SB_PS3_PS7_21rocsparse_index_base_SG_SG_SG_bbb,comdat
.Lfunc_end154:
	.size	_ZN9rocsparseL23csrgemm_fill_wf_per_rowILj256ELj8ELj16ELj137Ell21rocsparse_complex_numIdEEEvT4_S3_PKS3_S5_NS_24const_host_device_scalarIT5_EEPKT3_S5_PKS7_SB_S5_SD_S8_SB_S5_SD_SB_PS3_PS7_21rocsparse_index_base_SG_SG_SG_bbb, .Lfunc_end154-_ZN9rocsparseL23csrgemm_fill_wf_per_rowILj256ELj8ELj16ELj137Ell21rocsparse_complex_numIdEEEvT4_S3_PKS3_S5_NS_24const_host_device_scalarIT5_EEPKT3_S5_PKS7_SB_S5_SD_S8_SB_S5_SD_SB_PS3_PS7_21rocsparse_index_base_SG_SG_SG_bbb
                                        ; -- End function
	.section	.AMDGPU.csdata,"",@progbits
; Kernel info:
; codeLenInByte = 2392
; NumSgprs: 66
; NumVgprs: 44
; NumAgprs: 0
; TotalNumVgprs: 44
; ScratchSize: 24
; MemoryBound: 0
; FloatMode: 240
; IeeeMode: 1
; LDSByteSize: 12288 bytes/workgroup (compile time only)
; SGPRBlocks: 8
; VGPRBlocks: 5
; NumSGPRsForWavesPerEU: 66
; NumVGPRsForWavesPerEU: 44
; AccumOffset: 44
; Occupancy: 5
; WaveLimiterHint : 1
; COMPUTE_PGM_RSRC2:SCRATCH_EN: 1
; COMPUTE_PGM_RSRC2:USER_SGPR: 8
; COMPUTE_PGM_RSRC2:TRAP_HANDLER: 0
; COMPUTE_PGM_RSRC2:TGID_X_EN: 1
; COMPUTE_PGM_RSRC2:TGID_Y_EN: 0
; COMPUTE_PGM_RSRC2:TGID_Z_EN: 0
; COMPUTE_PGM_RSRC2:TIDIG_COMP_CNT: 0
; COMPUTE_PGM_RSRC3_GFX90A:ACCUM_OFFSET: 10
; COMPUTE_PGM_RSRC3_GFX90A:TG_SPLIT: 0
	.section	.text._ZN9rocsparseL23csrgemm_fill_wf_per_rowILj256ELj16ELj32ELj137Ell21rocsparse_complex_numIdEEEvT4_S3_PKS3_S5_NS_24const_host_device_scalarIT5_EEPKT3_S5_PKS7_SB_S5_SD_S8_SB_S5_SD_SB_PS3_PS7_21rocsparse_index_base_SG_SG_SG_bbb,"axG",@progbits,_ZN9rocsparseL23csrgemm_fill_wf_per_rowILj256ELj16ELj32ELj137Ell21rocsparse_complex_numIdEEEvT4_S3_PKS3_S5_NS_24const_host_device_scalarIT5_EEPKT3_S5_PKS7_SB_S5_SD_S8_SB_S5_SD_SB_PS3_PS7_21rocsparse_index_base_SG_SG_SG_bbb,comdat
	.globl	_ZN9rocsparseL23csrgemm_fill_wf_per_rowILj256ELj16ELj32ELj137Ell21rocsparse_complex_numIdEEEvT4_S3_PKS3_S5_NS_24const_host_device_scalarIT5_EEPKT3_S5_PKS7_SB_S5_SD_S8_SB_S5_SD_SB_PS3_PS7_21rocsparse_index_base_SG_SG_SG_bbb ; -- Begin function _ZN9rocsparseL23csrgemm_fill_wf_per_rowILj256ELj16ELj32ELj137Ell21rocsparse_complex_numIdEEEvT4_S3_PKS3_S5_NS_24const_host_device_scalarIT5_EEPKT3_S5_PKS7_SB_S5_SD_S8_SB_S5_SD_SB_PS3_PS7_21rocsparse_index_base_SG_SG_SG_bbb
	.p2align	8
	.type	_ZN9rocsparseL23csrgemm_fill_wf_per_rowILj256ELj16ELj32ELj137Ell21rocsparse_complex_numIdEEEvT4_S3_PKS3_S5_NS_24const_host_device_scalarIT5_EEPKT3_S5_PKS7_SB_S5_SD_S8_SB_S5_SD_SB_PS3_PS7_21rocsparse_index_base_SG_SG_SG_bbb,@function
_ZN9rocsparseL23csrgemm_fill_wf_per_rowILj256ELj16ELj32ELj137Ell21rocsparse_complex_numIdEEEvT4_S3_PKS3_S5_NS_24const_host_device_scalarIT5_EEPKT3_S5_PKS7_SB_S5_SD_S8_SB_S5_SD_SB_PS3_PS7_21rocsparse_index_base_SG_SG_SG_bbb: ; @_ZN9rocsparseL23csrgemm_fill_wf_per_rowILj256ELj16ELj32ELj137Ell21rocsparse_complex_numIdEEEvT4_S3_PKS3_S5_NS_24const_host_device_scalarIT5_EEPKT3_S5_PKS7_SB_S5_SD_S8_SB_S5_SD_SB_PS3_PS7_21rocsparse_index_base_SG_SG_SG_bbb
; %bb.0:
	s_add_u32 flat_scratch_lo, s6, s9
	s_addc_u32 flat_scratch_hi, s7, 0
	s_load_dwordx4 s[12:15], s[4:5], 0x20
	s_load_dwordx4 s[48:51], s[4:5], 0x60
	s_add_u32 s0, s0, s9
	s_load_dword s9, s[4:5], 0xb0
	s_load_dwordx4 s[28:31], s[4:5], 0xa0
	s_addc_u32 s1, s1, 0
	s_waitcnt lgkmcnt(0)
	v_mov_b32_e32 v1, s13
	buffer_store_dword v1, off, s[0:3], 0 offset:4
	s_bitcmp1_b32 s9, 0
	s_cselect_b64 s[52:53], -1, 0
	s_bitcmp1_b32 s9, 16
	v_mov_b32_e32 v1, s12
	s_cselect_b64 s[6:7], -1, 0
	buffer_store_dword v1, off, s[0:3], 0
	v_mov_b32_e32 v1, s49
	buffer_store_dword v1, off, s[0:3], 0 offset:12
	v_mov_b32_e32 v1, s48
	s_xor_b64 s[10:11], s[6:7], -1
	buffer_store_dword v1, off, s[0:3], 0 offset:8
	v_pk_mov_b32 v[4:5], 0, 0
	v_cndmask_b32_e64 v1, 0, 1, s[10:11]
	s_bitcmp0_b32 s9, 0
	v_cmp_ne_u32_e64 s[10:11], 1, v1
	v_pk_mov_b32 v[10:11], v[4:5], v[4:5] op_sel:[0,1]
	v_pk_mov_b32 v[12:13], v[4:5], v[4:5] op_sel:[0,1]
	s_cbranch_scc1 .LBB155_3
; %bb.1:
	s_mov_b64 s[16:17], src_private_base
	s_and_b64 s[18:19], s[6:7], exec
	s_cselect_b32 s16, s17, s13
	v_mov_b32_e32 v1, 0
	v_mov_b32_e32 v2, s12
	v_cndmask_b32_e64 v2, v2, v1, s[6:7]
	v_mov_b32_e32 v3, s16
	flat_load_dwordx2 v[10:11], v[2:3]
	s_and_b64 vcc, exec, s[10:11]
	v_pk_mov_b32 v[12:13], s[14:15], s[14:15] op_sel:[0,1]
	s_cbranch_vccnz .LBB155_3
; %bb.2:
	v_pk_mov_b32 v[2:3], s[12:13], s[12:13] op_sel:[0,1]
	flat_load_dwordx2 v[12:13], v[2:3] offset:8
.LBB155_3:
	s_load_dwordx4 s[36:39], s[4:5], 0x90
	s_load_dwordx8 s[12:19], s[4:5], 0x70
	s_load_dwordx4 s[40:43], s[4:5], 0x50
	s_load_dwordx4 s[44:47], s[4:5], 0x10
	s_load_dwordx8 s[20:27], s[4:5], 0x30
	s_bitcmp1_b32 s9, 8
	s_cselect_b64 s[34:35], -1, 0
	s_bfe_u32 s9, s9, 0x10008
	s_mov_b64 s[54:55], 0
	s_cmp_eq_u32 s9, 0
	v_pk_mov_b32 v[6:7], v[4:5], v[4:5] op_sel:[0,1]
	s_cbranch_scc1 .LBB155_6
; %bb.4:
	s_mov_b64 s[56:57], src_private_base
	s_and_b64 s[58:59], s[6:7], exec
	s_cselect_b32 s9, s57, s49
	v_mov_b32_e32 v1, 8
	v_mov_b32_e32 v2, s48
	v_cndmask_b32_e64 v2, v2, v1, s[6:7]
	v_mov_b32_e32 v3, s9
	flat_load_dwordx2 v[6:7], v[2:3]
	s_and_b64 vcc, exec, s[10:11]
	v_pk_mov_b32 v[4:5], s[50:51], s[50:51] op_sel:[0,1]
	s_cbranch_vccnz .LBB155_6
; %bb.5:
	v_pk_mov_b32 v[2:3], s[48:49], s[48:49] op_sel:[0,1]
	flat_load_dwordx2 v[4:5], v[2:3] offset:8
.LBB155_6:
	s_load_dwordx4 s[4:7], s[4:5], 0x0
	v_and_b32_e32 v36, 15, v0
	v_lshrrev_b32_e32 v14, 4, v0
	v_lshlrev_b32_e32 v0, 4, v36
	v_lshl_or_b32 v32, v14, 9, v0
	v_lshlrev_b32_e32 v0, 8, v14
	v_lshlrev_b32_e32 v1, 3, v36
	s_movk_i32 s9, 0x2000
	v_or_b32_e32 v29, -16, v36
	v_or3_b32 v33, v0, v1, s9
	v_mov_b32_e32 v0, 0
	s_waitcnt lgkmcnt(0)
	v_pk_mov_b32 v[8:9], s[6:7], s[6:7] op_sel:[0,1]
	v_mov_b32_e32 v1, v0
	v_mov_b32_e32 v2, v0
	v_mov_b32_e32 v3, v0
	v_mov_b32_e32 v15, v33
	v_mov_b32_e32 v16, v32
	v_mov_b32_e32 v17, v29
.LBB155_7:                              ; =>This Inner Loop Header: Depth=1
	v_add_co_u32_e32 v17, vcc, 16, v17
	s_xor_b64 s[10:11], vcc, -1
	s_and_b64 s[10:11], exec, s[10:11]
	ds_write_b64 v15, v[8:9]
	ds_write_b128 v16, v[0:3]
	v_add_u32_e32 v16, 0x100, v16
	s_or_b64 s[54:55], s[10:11], s[54:55]
	v_add_u32_e32 v15, 0x80, v15
	s_andn2_b64 exec, exec, s[54:55]
	s_cbranch_execnz .LBB155_7
; %bb.8:
	s_or_b64 exec, exec, s[54:55]
	s_lshl_b32 s8, s8, 4
	s_and_b32 s8, s8, 0xffffff0
	v_or_b32_e32 v0, s8, v14
	v_mov_b32_e32 v1, 0
	v_cmp_gt_i64_e32 vcc, s[4:5], v[0:1]
	s_waitcnt lgkmcnt(0)
	s_and_saveexec_b64 s[4:5], vcc
	s_cbranch_execz .LBB155_52
; %bb.9:
	s_cmp_eq_u64 s[46:47], 0
	s_cbranch_scc1 .LBB155_11
; %bb.10:
	s_load_dwordx2 s[4:5], s[44:45], 0x0
	v_lshlrev_b32_e32 v0, 3, v0
	s_waitcnt lgkmcnt(0)
	s_lshl_b64 s[4:5], s[4:5], 3
	s_add_u32 s4, s46, s4
	s_addc_u32 s5, s47, s5
	global_load_dwordx2 v[0:1], v0, s[4:5]
.LBB155_11:
	v_mov_b32_e32 v2, 0x2000
	v_lshl_or_b32 v34, v14, 8, v2
	v_lshlrev_b32_e32 v35, 9, v14
	s_andn2_b64 vcc, exec, s[52:53]
	s_waitcnt vmcnt(0)
	v_lshlrev_b64 v[8:9], 3, v[0:1]
	s_cbranch_vccnz .LBB155_31
; %bb.12:
	v_mov_b32_e32 v1, s21
	v_add_co_u32_e32 v0, vcc, s20, v8
	v_addc_co_u32_e32 v1, vcc, v1, v9, vcc
	global_load_dwordx4 v[0:3], v[0:1], off
	v_subrev_co_u32_e32 v16, vcc, s28, v36
	v_subb_co_u32_e64 v17, s[4:5], 0, 0, vcc
	s_mov_b32 s10, 0
	s_waitcnt vmcnt(0)
	v_subrev_co_u32_e32 v14, vcc, s28, v2
	v_subbrev_co_u32_e32 v15, vcc, 0, v3, vcc
	v_add_co_u32_e32 v16, vcc, v0, v16
	v_addc_co_u32_e32 v17, vcc, v1, v17, vcc
	v_cmp_lt_i64_e32 vcc, v[16:17], v[14:15]
	s_and_saveexec_b64 s[4:5], vcc
	s_cbranch_execz .LBB155_30
; %bb.13:
	s_mov_b32 s33, s28
	s_mov_b32 s54, s29
	s_mov_b32 s55, s10
	s_mov_b64 s[8:9], 0
	v_mov_b32_e32 v37, s23
	v_mov_b32_e32 v38, s10
	;; [unrolled: 1-line block ×3, first 2 shown]
	s_branch .LBB155_15
.LBB155_14:                             ;   in Loop: Header=BB155_15 Depth=1
	s_or_b64 exec, exec, s[10:11]
	v_add_co_u32_e32 v16, vcc, 16, v16
	v_addc_co_u32_e32 v17, vcc, 0, v17, vcc
	v_cmp_ge_i64_e32 vcc, v[16:17], v[14:15]
	s_or_b64 s[8:9], vcc, s[8:9]
	s_andn2_b64 exec, exec, s[8:9]
	s_cbranch_execz .LBB155_30
.LBB155_15:                             ; =>This Loop Header: Depth=1
                                        ;     Child Loop BB155_18 Depth 2
                                        ;       Child Loop BB155_20 Depth 3
	v_lshlrev_b64 v[0:1], 3, v[16:17]
	v_add_co_u32_e32 v0, vcc, s22, v0
	v_addc_co_u32_e32 v1, vcc, v37, v1, vcc
	global_load_dwordx2 v[0:1], v[0:1], off
	s_waitcnt vmcnt(0)
	v_subrev_co_u32_e32 v0, vcc, s33, v0
	v_subb_co_u32_e32 v1, vcc, v1, v38, vcc
	v_lshlrev_b64 v[0:1], 3, v[0:1]
	v_add_co_u32_e32 v0, vcc, s26, v0
	v_addc_co_u32_e32 v1, vcc, v39, v1, vcc
	global_load_dwordx4 v[0:3], v[0:1], off
	s_waitcnt vmcnt(0)
	v_cmp_lt_i64_e32 vcc, v[0:1], v[2:3]
	s_and_saveexec_b64 s[10:11], vcc
	s_cbranch_execz .LBB155_14
; %bb.16:                               ;   in Loop: Header=BB155_15 Depth=1
	v_lshlrev_b64 v[18:19], 4, v[16:17]
	v_mov_b32_e32 v20, s25
	v_add_co_u32_e32 v18, vcc, s24, v18
	v_addc_co_u32_e32 v19, vcc, v20, v19, vcc
	global_load_dwordx4 v[22:25], v[18:19], off
	v_mov_b32_e32 v18, s55
	v_subrev_co_u32_e32 v2, vcc, s54, v2
	v_subb_co_u32_e32 v3, vcc, v3, v18, vcc
	v_subrev_co_u32_e32 v0, vcc, s54, v0
	v_subb_co_u32_e32 v1, vcc, v1, v18, vcc
	s_mov_b64 s[20:21], 0
	s_waitcnt vmcnt(0)
	v_mul_f64 v[18:19], v[24:25], -v[12:13]
	v_mul_f64 v[20:21], v[10:11], v[24:25]
	v_fmac_f64_e32 v[18:19], v[10:11], v[22:23]
	v_fmac_f64_e32 v[20:21], v[12:13], v[22:23]
	s_branch .LBB155_18
.LBB155_17:                             ;   in Loop: Header=BB155_18 Depth=2
	s_or_b64 exec, exec, s[28:29]
	v_add_co_u32_e32 v0, vcc, 1, v0
	v_addc_co_u32_e32 v1, vcc, 0, v1, vcc
	v_cmp_ge_i64_e32 vcc, v[0:1], v[2:3]
	s_or_b64 s[20:21], vcc, s[20:21]
	s_andn2_b64 exec, exec, s[20:21]
	s_cbranch_execz .LBB155_14
.LBB155_18:                             ;   Parent Loop BB155_15 Depth=1
                                        ; =>  This Loop Header: Depth=2
                                        ;       Child Loop BB155_20 Depth 3
	v_lshlrev_b64 v[22:23], 3, v[0:1]
	v_mov_b32_e32 v24, s41
	v_add_co_u32_e32 v22, vcc, s40, v22
	v_addc_co_u32_e32 v23, vcc, v24, v23, vcc
	v_lshlrev_b64 v[24:25], 4, v[0:1]
	v_mov_b32_e32 v26, s43
	v_add_co_u32_e32 v24, vcc, s42, v24
	global_load_dwordx2 v[22:23], v[22:23], off
	v_addc_co_u32_e32 v25, vcc, v26, v25, vcc
	global_load_dwordx4 v[40:43], v[24:25], off
	v_mov_b32_e32 v24, s55
	s_mov_b64 s[28:29], 0
	s_waitcnt vmcnt(1)
	v_subrev_co_u32_e32 v22, vcc, s54, v22
	v_subb_co_u32_e32 v23, vcc, v23, v24, vcc
	s_waitcnt vmcnt(0)
	v_mul_f64 v[24:25], v[42:43], -v[20:21]
	v_mul_f64 v[26:27], v[18:19], v[42:43]
	v_lshl_add_u32 v28, v22, 3, v22
	v_fmac_f64_e32 v[24:25], v[18:19], v[40:41]
	v_fmac_f64_e32 v[26:27], v[20:21], v[40:41]
	v_and_b32_e32 v28, 31, v28
	s_branch .LBB155_20
.LBB155_19:                             ;   in Loop: Header=BB155_20 Depth=3
	s_or_b64 exec, exec, s[44:45]
	s_xor_b64 s[44:45], s[46:47], -1
	s_and_b64 s[44:45], exec, s[44:45]
	s_or_b64 s[28:29], s[44:45], s[28:29]
	s_andn2_b64 exec, exec, s[28:29]
	s_cbranch_execz .LBB155_17
.LBB155_20:                             ;   Parent Loop BB155_15 Depth=1
                                        ;     Parent Loop BB155_18 Depth=2
                                        ; =>    This Inner Loop Header: Depth=3
	v_lshl_add_u32 v40, v28, 3, v34
	ds_read_b64 v[30:31], v40
                                        ; implicit-def: $sgpr46_sgpr47
	s_waitcnt lgkmcnt(0)
	v_cmp_ne_u64_e32 vcc, v[30:31], v[22:23]
	s_and_saveexec_b64 s[44:45], vcc
	s_xor_b64 s[44:45], exec, s[44:45]
	s_cbranch_execz .LBB155_28
; %bb.21:                               ;   in Loop: Header=BB155_20 Depth=3
	v_cmp_ne_u64_e32 vcc, s[6:7], v[30:31]
                                        ; implicit-def: $sgpr46_sgpr47
	s_and_saveexec_b64 s[48:49], vcc
	s_xor_b64 s[48:49], exec, s[48:49]
; %bb.22:                               ;   in Loop: Header=BB155_20 Depth=3
	v_add_u32_e32 v28, 1, v28
	v_and_b32_e32 v28, 31, v28
	s_mov_b64 s[46:47], -1
                                        ; implicit-def: $vgpr40
; %bb.23:                               ;   in Loop: Header=BB155_20 Depth=3
	s_andn2_saveexec_b64 s[48:49], s[48:49]
	s_cbranch_execz .LBB155_27
; %bb.24:                               ;   in Loop: Header=BB155_20 Depth=3
	v_pk_mov_b32 v[30:31], s[6:7], s[6:7] op_sel:[0,1]
	ds_cmpst_rtn_b64 v[30:31], v40, v[30:31], v[22:23]
	s_mov_b64 s[50:51], -1
	s_waitcnt lgkmcnt(0)
	v_cmp_eq_u64_e32 vcc, s[6:7], v[30:31]
	s_and_saveexec_b64 s[52:53], vcc
	s_cbranch_execz .LBB155_26
; %bb.25:                               ;   in Loop: Header=BB155_20 Depth=3
	v_lshl_add_u32 v30, v28, 4, v35
	ds_add_f64 v30, v[24:25]
	ds_add_f64 v30, v[26:27] offset:8
	s_xor_b64 s[50:51], exec, -1
.LBB155_26:                             ;   in Loop: Header=BB155_20 Depth=3
	s_or_b64 exec, exec, s[52:53]
	s_andn2_b64 s[46:47], s[46:47], exec
	s_and_b64 s[50:51], s[50:51], exec
	s_or_b64 s[46:47], s[46:47], s[50:51]
.LBB155_27:                             ;   in Loop: Header=BB155_20 Depth=3
	s_or_b64 exec, exec, s[48:49]
	s_and_b64 s[46:47], s[46:47], exec
.LBB155_28:                             ;   in Loop: Header=BB155_20 Depth=3
	s_andn2_saveexec_b64 s[44:45], s[44:45]
	s_cbranch_execz .LBB155_19
; %bb.29:                               ;   in Loop: Header=BB155_20 Depth=3
	v_lshl_add_u32 v30, v28, 4, v35
	ds_add_f64 v30, v[24:25]
	ds_add_f64 v30, v[26:27] offset:8
	s_andn2_b64 s[46:47], s[46:47], exec
	s_branch .LBB155_19
.LBB155_30:
	s_or_b64 exec, exec, s[4:5]
.LBB155_31:
	s_andn2_b64 vcc, exec, s[34:35]
	s_cbranch_vccnz .LBB155_48
; %bb.32:
	v_mov_b32_e32 v1, s13
	v_add_co_u32_e32 v0, vcc, s12, v8
	v_addc_co_u32_e32 v1, vcc, v1, v9, vcc
	global_load_dwordx4 v[10:13], v[0:1], off
	v_subrev_co_u32_e32 v2, vcc, s31, v36
	v_subb_co_u32_e64 v3, s[4:5], 0, 0, vcc
	s_mov_b32 s10, 0
	s_waitcnt vmcnt(0)
	v_subrev_co_u32_e32 v0, vcc, s31, v12
	v_subbrev_co_u32_e32 v1, vcc, 0, v13, vcc
	v_add_co_u32_e32 v2, vcc, v10, v2
	v_addc_co_u32_e32 v3, vcc, v11, v3, vcc
	v_cmp_lt_i64_e32 vcc, v[2:3], v[0:1]
	s_and_saveexec_b64 s[4:5], vcc
	s_cbranch_execz .LBB155_47
; %bb.33:
	s_mov_b32 s28, s31
	s_mov_b64 s[8:9], 0
	v_mov_b32_e32 v17, s15
	v_mov_b32_e32 v20, s10
	;; [unrolled: 1-line block ×3, first 2 shown]
	s_branch .LBB155_35
.LBB155_34:                             ;   in Loop: Header=BB155_35 Depth=1
	s_or_b64 exec, exec, s[10:11]
	v_add_co_u32_e32 v2, vcc, 16, v2
	v_addc_co_u32_e32 v3, vcc, 0, v3, vcc
	v_cmp_ge_i64_e32 vcc, v[2:3], v[0:1]
	s_or_b64 s[8:9], vcc, s[8:9]
	s_andn2_b64 exec, exec, s[8:9]
	s_cbranch_execz .LBB155_47
.LBB155_35:                             ; =>This Loop Header: Depth=1
                                        ;     Child Loop BB155_37 Depth 2
	v_lshlrev_b64 v[10:11], 3, v[2:3]
	v_add_co_u32_e32 v10, vcc, s14, v10
	v_addc_co_u32_e32 v11, vcc, v17, v11, vcc
	v_lshlrev_b64 v[12:13], 4, v[2:3]
	v_add_co_u32_e32 v12, vcc, s16, v12
	global_load_dwordx2 v[10:11], v[10:11], off
	v_addc_co_u32_e32 v13, vcc, v21, v13, vcc
	global_load_dwordx4 v[22:25], v[12:13], off
	s_mov_b64 s[10:11], 0
	s_waitcnt vmcnt(1)
	v_subrev_co_u32_e32 v10, vcc, s28, v10
	v_lshl_add_u32 v16, v10, 3, v10
	s_waitcnt vmcnt(0)
	v_mul_f64 v[12:13], v[24:25], -v[4:5]
	v_mul_f64 v[14:15], v[6:7], v[24:25]
	v_subb_co_u32_e32 v11, vcc, v11, v20, vcc
	v_fmac_f64_e32 v[12:13], v[6:7], v[22:23]
	v_fmac_f64_e32 v[14:15], v[4:5], v[22:23]
	v_and_b32_e32 v16, 31, v16
	s_branch .LBB155_37
.LBB155_36:                             ;   in Loop: Header=BB155_37 Depth=2
	s_or_b64 exec, exec, s[12:13]
	s_xor_b64 s[12:13], s[20:21], -1
	s_and_b64 s[12:13], exec, s[12:13]
	s_or_b64 s[10:11], s[12:13], s[10:11]
	s_andn2_b64 exec, exec, s[10:11]
	s_cbranch_execz .LBB155_34
.LBB155_37:                             ;   Parent Loop BB155_35 Depth=1
                                        ; =>  This Inner Loop Header: Depth=2
	v_lshl_add_u32 v22, v16, 3, v34
	ds_read_b64 v[18:19], v22
                                        ; implicit-def: $sgpr20_sgpr21
	s_waitcnt lgkmcnt(0)
	v_cmp_ne_u64_e32 vcc, v[18:19], v[10:11]
	s_and_saveexec_b64 s[12:13], vcc
	s_xor_b64 s[12:13], exec, s[12:13]
	s_cbranch_execz .LBB155_45
; %bb.38:                               ;   in Loop: Header=BB155_37 Depth=2
	v_cmp_ne_u64_e32 vcc, s[6:7], v[18:19]
                                        ; implicit-def: $sgpr20_sgpr21
	s_and_saveexec_b64 s[22:23], vcc
	s_xor_b64 s[22:23], exec, s[22:23]
; %bb.39:                               ;   in Loop: Header=BB155_37 Depth=2
	v_add_u32_e32 v16, 1, v16
	v_and_b32_e32 v16, 31, v16
	s_mov_b64 s[20:21], -1
                                        ; implicit-def: $vgpr22
; %bb.40:                               ;   in Loop: Header=BB155_37 Depth=2
	s_andn2_saveexec_b64 s[22:23], s[22:23]
	s_cbranch_execz .LBB155_44
; %bb.41:                               ;   in Loop: Header=BB155_37 Depth=2
	v_pk_mov_b32 v[18:19], s[6:7], s[6:7] op_sel:[0,1]
	ds_cmpst_rtn_b64 v[18:19], v22, v[18:19], v[10:11]
	s_mov_b64 s[24:25], -1
	s_waitcnt lgkmcnt(0)
	v_cmp_eq_u64_e32 vcc, s[6:7], v[18:19]
	s_and_saveexec_b64 s[26:27], vcc
	s_cbranch_execz .LBB155_43
; %bb.42:                               ;   in Loop: Header=BB155_37 Depth=2
	v_lshl_add_u32 v18, v16, 4, v35
	ds_add_f64 v18, v[12:13]
	ds_add_f64 v18, v[14:15] offset:8
	s_xor_b64 s[24:25], exec, -1
.LBB155_43:                             ;   in Loop: Header=BB155_37 Depth=2
	s_or_b64 exec, exec, s[26:27]
	s_andn2_b64 s[20:21], s[20:21], exec
	s_and_b64 s[24:25], s[24:25], exec
	s_or_b64 s[20:21], s[20:21], s[24:25]
.LBB155_44:                             ;   in Loop: Header=BB155_37 Depth=2
	s_or_b64 exec, exec, s[22:23]
	s_and_b64 s[20:21], s[20:21], exec
.LBB155_45:                             ;   in Loop: Header=BB155_37 Depth=2
	s_andn2_saveexec_b64 s[12:13], s[12:13]
	s_cbranch_execz .LBB155_36
; %bb.46:                               ;   in Loop: Header=BB155_37 Depth=2
	v_lshl_add_u32 v18, v16, 4, v35
	ds_add_f64 v18, v[12:13]
	ds_add_f64 v18, v[14:15] offset:8
	s_andn2_b64 s[20:21], s[20:21], exec
	s_branch .LBB155_36
.LBB155_47:
	s_or_b64 exec, exec, s[4:5]
.LBB155_48:
	v_mov_b32_e32 v1, s19
	v_add_co_u32_e32 v0, vcc, s18, v8
	v_addc_co_u32_e32 v1, vcc, v1, v9, vcc
	s_waitcnt lgkmcnt(0)
	global_load_dwordx2 v[0:1], v[0:1], off
	s_mov_b32 s10, 0
	s_mov_b64 s[4:5], 0
	s_waitcnt vmcnt(0)
	v_subrev_co_u32_e32 v2, vcc, s30, v0
	v_subbrev_co_u32_e32 v3, vcc, 0, v1, vcc
	s_branch .LBB155_50
.LBB155_49:                             ;   in Loop: Header=BB155_50 Depth=1
	s_or_b64 exec, exec, s[8:9]
	v_add_co_u32_e32 v29, vcc, 16, v29
	s_xor_b64 s[8:9], vcc, -1
	s_and_b64 s[8:9], exec, s[8:9]
	v_add_u32_e32 v32, 0x100, v32
	s_or_b64 s[4:5], s[8:9], s[4:5]
	v_add_u32_e32 v33, 0x80, v33
	s_andn2_b64 exec, exec, s[4:5]
	s_cbranch_execz .LBB155_52
.LBB155_50:                             ; =>This Inner Loop Header: Depth=1
	ds_read_b64 v[0:1], v33
	s_waitcnt lgkmcnt(0)
	v_cmp_gt_i64_e32 vcc, s[6:7], v[0:1]
	s_and_saveexec_b64 s[8:9], vcc
	s_cbranch_execz .LBB155_49
; %bb.51:                               ;   in Loop: Header=BB155_50 Depth=1
	ds_read_b128 v[4:7], v34
	ds_read_b128 v[8:11], v34 offset:16
	ds_read_b128 v[12:15], v34 offset:32
	;; [unrolled: 1-line block ×3, first 2 shown]
	s_waitcnt lgkmcnt(3)
	v_cmp_gt_i64_e32 vcc, v[0:1], v[4:5]
	v_cndmask_b32_e64 v4, 0, 1, vcc
	v_add_co_u32_e32 v4, vcc, v2, v4
	v_addc_co_u32_e32 v5, vcc, 0, v3, vcc
	v_cmp_gt_i64_e32 vcc, v[0:1], v[6:7]
	v_cndmask_b32_e64 v6, 0, 1, vcc
	v_add_co_u32_e32 v4, vcc, v4, v6
	v_addc_co_u32_e32 v5, vcc, 0, v5, vcc
	s_waitcnt lgkmcnt(2)
	v_cmp_gt_i64_e32 vcc, v[0:1], v[8:9]
	v_cndmask_b32_e64 v6, 0, 1, vcc
	v_add_co_u32_e32 v4, vcc, v4, v6
	v_addc_co_u32_e32 v5, vcc, 0, v5, vcc
	v_cmp_gt_i64_e32 vcc, v[0:1], v[10:11]
	v_cndmask_b32_e64 v6, 0, 1, vcc
	v_add_co_u32_e32 v4, vcc, v4, v6
	v_addc_co_u32_e32 v5, vcc, 0, v5, vcc
	;; [unrolled: 9-line block ×3, first 2 shown]
	s_waitcnt lgkmcnt(0)
	v_cmp_gt_i64_e32 vcc, v[0:1], v[16:17]
	v_cndmask_b32_e64 v6, 0, 1, vcc
	v_add_co_u32_e32 v8, vcc, v4, v6
	v_addc_co_u32_e32 v9, vcc, 0, v5, vcc
	ds_read_b128 v[4:7], v34 offset:64
	v_cmp_gt_i64_e32 vcc, v[0:1], v[18:19]
	v_cndmask_b32_e64 v10, 0, 1, vcc
	v_add_co_u32_e32 v12, vcc, v8, v10
	v_addc_co_u32_e32 v13, vcc, 0, v9, vcc
	ds_read_b128 v[8:11], v34 offset:80
	s_waitcnt lgkmcnt(1)
	v_cmp_gt_i64_e32 vcc, v[0:1], v[4:5]
	v_cndmask_b32_e64 v4, 0, 1, vcc
	v_add_co_u32_e32 v4, vcc, v12, v4
	v_addc_co_u32_e32 v5, vcc, 0, v13, vcc
	v_cmp_gt_i64_e32 vcc, v[0:1], v[6:7]
	v_cndmask_b32_e64 v6, 0, 1, vcc
	v_add_co_u32_e32 v4, vcc, v4, v6
	v_addc_co_u32_e32 v5, vcc, 0, v5, vcc
	s_waitcnt lgkmcnt(0)
	v_cmp_gt_i64_e32 vcc, v[0:1], v[8:9]
	v_cndmask_b32_e64 v6, 0, 1, vcc
	v_add_co_u32_e32 v8, vcc, v4, v6
	v_addc_co_u32_e32 v9, vcc, 0, v5, vcc
	ds_read_b128 v[4:7], v34 offset:96
	v_cmp_gt_i64_e32 vcc, v[0:1], v[10:11]
	v_cndmask_b32_e64 v10, 0, 1, vcc
	v_add_co_u32_e32 v12, vcc, v8, v10
	v_addc_co_u32_e32 v13, vcc, 0, v9, vcc
	ds_read_b128 v[8:11], v34 offset:112
	s_waitcnt lgkmcnt(1)
	v_cmp_gt_i64_e32 vcc, v[0:1], v[4:5]
	v_cndmask_b32_e64 v4, 0, 1, vcc
	v_add_co_u32_e32 v4, vcc, v12, v4
	v_addc_co_u32_e32 v5, vcc, 0, v13, vcc
	v_cmp_gt_i64_e32 vcc, v[0:1], v[6:7]
	v_cndmask_b32_e64 v6, 0, 1, vcc
	v_add_co_u32_e32 v4, vcc, v4, v6
	v_addc_co_u32_e32 v5, vcc, 0, v5, vcc
	;; [unrolled: 20-line block ×6, first 2 shown]
	s_waitcnt lgkmcnt(0)
	v_cmp_gt_i64_e32 vcc, v[0:1], v[8:9]
	v_cndmask_b32_e64 v6, 0, 1, vcc
	v_add_co_u32_e32 v4, vcc, v4, v6
	v_addc_co_u32_e32 v5, vcc, 0, v5, vcc
	v_cmp_gt_i64_e32 vcc, v[0:1], v[10:11]
	v_cndmask_b32_e64 v6, 0, 1, vcc
	v_add_co_u32_e32 v4, vcc, v4, v6
	v_addc_co_u32_e32 v5, vcc, 0, v5, vcc
	v_mov_b32_e32 v6, s10
	v_add_co_u32_e32 v0, vcc, s30, v0
	v_addc_co_u32_e32 v1, vcc, v1, v6, vcc
	v_lshlrev_b64 v[6:7], 3, v[4:5]
	v_mov_b32_e32 v8, s37
	v_add_co_u32_e32 v6, vcc, s36, v6
	v_addc_co_u32_e32 v7, vcc, v8, v7, vcc
	global_store_dwordx2 v[6:7], v[0:1], off
	v_lshlrev_b64 v[0:1], 4, v[4:5]
	ds_read2_b64 v[4:7], v32 offset1:1
	v_mov_b32_e32 v8, s39
	v_add_co_u32_e32 v0, vcc, s38, v0
	v_addc_co_u32_e32 v1, vcc, v8, v1, vcc
	s_waitcnt lgkmcnt(0)
	global_store_dwordx4 v[0:1], v[4:7], off
	s_branch .LBB155_49
.LBB155_52:
	s_endpgm
	.section	.rodata,"a",@progbits
	.p2align	6, 0x0
	.amdhsa_kernel _ZN9rocsparseL23csrgemm_fill_wf_per_rowILj256ELj16ELj32ELj137Ell21rocsparse_complex_numIdEEEvT4_S3_PKS3_S5_NS_24const_host_device_scalarIT5_EEPKT3_S5_PKS7_SB_S5_SD_S8_SB_S5_SD_SB_PS3_PS7_21rocsparse_index_base_SG_SG_SG_bbb
		.amdhsa_group_segment_fixed_size 12288
		.amdhsa_private_segment_fixed_size 24
		.amdhsa_kernarg_size 180
		.amdhsa_user_sgpr_count 8
		.amdhsa_user_sgpr_private_segment_buffer 1
		.amdhsa_user_sgpr_dispatch_ptr 0
		.amdhsa_user_sgpr_queue_ptr 0
		.amdhsa_user_sgpr_kernarg_segment_ptr 1
		.amdhsa_user_sgpr_dispatch_id 0
		.amdhsa_user_sgpr_flat_scratch_init 1
		.amdhsa_user_sgpr_kernarg_preload_length 0
		.amdhsa_user_sgpr_kernarg_preload_offset 0
		.amdhsa_user_sgpr_private_segment_size 0
		.amdhsa_uses_dynamic_stack 0
		.amdhsa_system_sgpr_private_segment_wavefront_offset 1
		.amdhsa_system_sgpr_workgroup_id_x 1
		.amdhsa_system_sgpr_workgroup_id_y 0
		.amdhsa_system_sgpr_workgroup_id_z 0
		.amdhsa_system_sgpr_workgroup_info 0
		.amdhsa_system_vgpr_workitem_id 0
		.amdhsa_next_free_vgpr 44
		.amdhsa_next_free_sgpr 60
		.amdhsa_accum_offset 44
		.amdhsa_reserve_vcc 1
		.amdhsa_reserve_flat_scratch 1
		.amdhsa_float_round_mode_32 0
		.amdhsa_float_round_mode_16_64 0
		.amdhsa_float_denorm_mode_32 3
		.amdhsa_float_denorm_mode_16_64 3
		.amdhsa_dx10_clamp 1
		.amdhsa_ieee_mode 1
		.amdhsa_fp16_overflow 0
		.amdhsa_tg_split 0
		.amdhsa_exception_fp_ieee_invalid_op 0
		.amdhsa_exception_fp_denorm_src 0
		.amdhsa_exception_fp_ieee_div_zero 0
		.amdhsa_exception_fp_ieee_overflow 0
		.amdhsa_exception_fp_ieee_underflow 0
		.amdhsa_exception_fp_ieee_inexact 0
		.amdhsa_exception_int_div_zero 0
	.end_amdhsa_kernel
	.section	.text._ZN9rocsparseL23csrgemm_fill_wf_per_rowILj256ELj16ELj32ELj137Ell21rocsparse_complex_numIdEEEvT4_S3_PKS3_S5_NS_24const_host_device_scalarIT5_EEPKT3_S5_PKS7_SB_S5_SD_S8_SB_S5_SD_SB_PS3_PS7_21rocsparse_index_base_SG_SG_SG_bbb,"axG",@progbits,_ZN9rocsparseL23csrgemm_fill_wf_per_rowILj256ELj16ELj32ELj137Ell21rocsparse_complex_numIdEEEvT4_S3_PKS3_S5_NS_24const_host_device_scalarIT5_EEPKT3_S5_PKS7_SB_S5_SD_S8_SB_S5_SD_SB_PS3_PS7_21rocsparse_index_base_SG_SG_SG_bbb,comdat
.Lfunc_end155:
	.size	_ZN9rocsparseL23csrgemm_fill_wf_per_rowILj256ELj16ELj32ELj137Ell21rocsparse_complex_numIdEEEvT4_S3_PKS3_S5_NS_24const_host_device_scalarIT5_EEPKT3_S5_PKS7_SB_S5_SD_S8_SB_S5_SD_SB_PS3_PS7_21rocsparse_index_base_SG_SG_SG_bbb, .Lfunc_end155-_ZN9rocsparseL23csrgemm_fill_wf_per_rowILj256ELj16ELj32ELj137Ell21rocsparse_complex_numIdEEEvT4_S3_PKS3_S5_NS_24const_host_device_scalarIT5_EEPKT3_S5_PKS7_SB_S5_SD_S8_SB_S5_SD_SB_PS3_PS7_21rocsparse_index_base_SG_SG_SG_bbb
                                        ; -- End function
	.section	.AMDGPU.csdata,"",@progbits
; Kernel info:
; codeLenInByte = 2816
; NumSgprs: 66
; NumVgprs: 44
; NumAgprs: 0
; TotalNumVgprs: 44
; ScratchSize: 24
; MemoryBound: 0
; FloatMode: 240
; IeeeMode: 1
; LDSByteSize: 12288 bytes/workgroup (compile time only)
; SGPRBlocks: 8
; VGPRBlocks: 5
; NumSGPRsForWavesPerEU: 66
; NumVGPRsForWavesPerEU: 44
; AccumOffset: 44
; Occupancy: 5
; WaveLimiterHint : 1
; COMPUTE_PGM_RSRC2:SCRATCH_EN: 1
; COMPUTE_PGM_RSRC2:USER_SGPR: 8
; COMPUTE_PGM_RSRC2:TRAP_HANDLER: 0
; COMPUTE_PGM_RSRC2:TGID_X_EN: 1
; COMPUTE_PGM_RSRC2:TGID_Y_EN: 0
; COMPUTE_PGM_RSRC2:TGID_Z_EN: 0
; COMPUTE_PGM_RSRC2:TIDIG_COMP_CNT: 0
; COMPUTE_PGM_RSRC3_GFX90A:ACCUM_OFFSET: 10
; COMPUTE_PGM_RSRC3_GFX90A:TG_SPLIT: 0
	.section	.text._ZN9rocsparseL26csrgemm_fill_block_per_rowILj128ELj16ELj256ELj137ELj32Ell21rocsparse_complex_numIdEEEvT5_PKS3_S5_NS_24const_host_device_scalarIT6_EEPKT4_S5_PKS7_SB_S5_SD_S8_SB_S5_SD_SB_PS3_PS7_21rocsparse_index_base_SG_SG_SG_bbb,"axG",@progbits,_ZN9rocsparseL26csrgemm_fill_block_per_rowILj128ELj16ELj256ELj137ELj32Ell21rocsparse_complex_numIdEEEvT5_PKS3_S5_NS_24const_host_device_scalarIT6_EEPKT4_S5_PKS7_SB_S5_SD_S8_SB_S5_SD_SB_PS3_PS7_21rocsparse_index_base_SG_SG_SG_bbb,comdat
	.globl	_ZN9rocsparseL26csrgemm_fill_block_per_rowILj128ELj16ELj256ELj137ELj32Ell21rocsparse_complex_numIdEEEvT5_PKS3_S5_NS_24const_host_device_scalarIT6_EEPKT4_S5_PKS7_SB_S5_SD_S8_SB_S5_SD_SB_PS3_PS7_21rocsparse_index_base_SG_SG_SG_bbb ; -- Begin function _ZN9rocsparseL26csrgemm_fill_block_per_rowILj128ELj16ELj256ELj137ELj32Ell21rocsparse_complex_numIdEEEvT5_PKS3_S5_NS_24const_host_device_scalarIT6_EEPKT4_S5_PKS7_SB_S5_SD_S8_SB_S5_SD_SB_PS3_PS7_21rocsparse_index_base_SG_SG_SG_bbb
	.p2align	8
	.type	_ZN9rocsparseL26csrgemm_fill_block_per_rowILj128ELj16ELj256ELj137ELj32Ell21rocsparse_complex_numIdEEEvT5_PKS3_S5_NS_24const_host_device_scalarIT6_EEPKT4_S5_PKS7_SB_S5_SD_S8_SB_S5_SD_SB_PS3_PS7_21rocsparse_index_base_SG_SG_SG_bbb,@function
_ZN9rocsparseL26csrgemm_fill_block_per_rowILj128ELj16ELj256ELj137ELj32Ell21rocsparse_complex_numIdEEEvT5_PKS3_S5_NS_24const_host_device_scalarIT6_EEPKT4_S5_PKS7_SB_S5_SD_S8_SB_S5_SD_SB_PS3_PS7_21rocsparse_index_base_SG_SG_SG_bbb: ; @_ZN9rocsparseL26csrgemm_fill_block_per_rowILj128ELj16ELj256ELj137ELj32Ell21rocsparse_complex_numIdEEEvT5_PKS3_S5_NS_24const_host_device_scalarIT6_EEPKT4_S5_PKS7_SB_S5_SD_S8_SB_S5_SD_SB_PS3_PS7_21rocsparse_index_base_SG_SG_SG_bbb
; %bb.0:
	s_add_u32 flat_scratch_lo, s6, s9
	s_addc_u32 flat_scratch_hi, s7, 0
	s_add_u32 s0, s0, s9
	s_load_dword s9, s[4:5], 0xa8
	s_load_dwordx4 s[16:19], s[4:5], 0x18
	s_load_dwordx4 s[12:15], s[4:5], 0x58
	s_addc_u32 s1, s1, 0
	v_pk_mov_b32 v[2:3], 0, 0
	s_waitcnt lgkmcnt(0)
	s_bitcmp1_b32 s9, 0
	v_mov_b32_e32 v1, s17
	s_cselect_b64 s[50:51], -1, 0
	s_bitcmp1_b32 s9, 16
	buffer_store_dword v1, off, s[0:3], 0 offset:20
	v_mov_b32_e32 v1, s16
	s_cselect_b64 s[6:7], -1, 0
	buffer_store_dword v1, off, s[0:3], 0 offset:16
	v_mov_b32_e32 v1, s13
	buffer_store_dword v1, off, s[0:3], 0 offset:28
	v_mov_b32_e32 v1, s12
	s_xor_b64 s[10:11], s[6:7], -1
	buffer_store_dword v1, off, s[0:3], 0 offset:24
	v_cndmask_b32_e64 v1, 0, 1, s[10:11]
	s_bitcmp0_b32 s9, 0
	v_cmp_ne_u32_e64 s[10:11], 1, v1
	v_pk_mov_b32 v[6:7], v[2:3], v[2:3] op_sel:[0,1]
	v_pk_mov_b32 v[8:9], v[2:3], v[2:3] op_sel:[0,1]
	s_cbranch_scc1 .LBB156_3
; %bb.1:
	s_mov_b64 s[20:21], src_private_base
	s_and_b64 s[22:23], s[6:7], exec
	s_cselect_b32 s20, s21, s17
	v_mov_b32_e32 v1, 16
	v_mov_b32_e32 v4, s16
	v_cndmask_b32_e64 v4, v4, v1, s[6:7]
	v_mov_b32_e32 v5, s20
	flat_load_dwordx2 v[6:7], v[4:5]
	s_and_b64 vcc, exec, s[10:11]
	v_pk_mov_b32 v[8:9], s[18:19], s[18:19] op_sel:[0,1]
	s_cbranch_vccnz .LBB156_3
; %bb.2:
	v_pk_mov_b32 v[4:5], s[16:17], s[16:17] op_sel:[0,1]
	flat_load_dwordx2 v[8:9], v[4:5] offset:8
.LBB156_3:
	s_load_dwordx4 s[28:31], s[4:5], 0x98
	s_bitcmp1_b32 s9, 8
	s_cselect_b64 s[48:49], -1, 0
	s_bfe_u32 s9, s9, 0x10008
	s_cmp_eq_u32 s9, 0
	v_pk_mov_b32 v[4:5], v[2:3], v[2:3] op_sel:[0,1]
	s_cbranch_scc1 .LBB156_6
; %bb.4:
	s_mov_b64 s[16:17], src_private_base
	s_and_b64 s[18:19], s[6:7], exec
	s_cselect_b32 s9, s17, s13
	v_mov_b32_e32 v1, 24
	v_mov_b32_e32 v2, s12
	v_cndmask_b32_e64 v2, v2, v1, s[6:7]
	v_mov_b32_e32 v3, s9
	flat_load_dwordx2 v[4:5], v[2:3]
	s_and_b64 vcc, exec, s[10:11]
	v_pk_mov_b32 v[2:3], s[14:15], s[14:15] op_sel:[0,1]
	s_cbranch_vccnz .LBB156_6
; %bb.5:
	v_pk_mov_b32 v[2:3], s[12:13], s[12:13] op_sel:[0,1]
	flat_load_dwordx2 v[2:3], v[2:3] offset:8
.LBB156_6:
	s_load_dwordx4 s[36:39], s[4:5], 0x88
	s_load_dwordx8 s[12:19], s[4:5], 0x68
	s_load_dwordx4 s[44:47], s[4:5], 0x48
	s_load_dwordx4 s[40:43], s[4:5], 0x0
	s_load_dwordx2 s[6:7], s[4:5], 0x10
	s_load_dwordx8 s[20:27], s[4:5], 0x28
	s_movk_i32 s4, 0x100
	v_cmp_gt_u32_e64 s[4:5], s4, v0
	v_lshl_add_u32 v27, v0, 4, 0
	v_lshl_add_u32 v1, v0, 3, 0
	s_and_saveexec_b64 s[10:11], s[4:5]
	s_cbranch_execz .LBB156_9
; %bb.7:
	s_mov_b32 s52, 0
	s_mov_b32 s53, s52
	;; [unrolled: 1-line block ×4, first 2 shown]
	v_add_u32_e32 v16, 0x800, v27
	v_or_b32_e32 v17, 0xffffff80, v0
	v_lshl_add_u32 v18, v0, 3, 0
	s_mov_b64 s[34:35], 0
	s_waitcnt lgkmcnt(0)
	v_pk_mov_b32 v[10:11], s[40:41], s[40:41] op_sel:[0,1]
	v_pk_mov_b32 v[12:13], s[52:53], s[52:53] op_sel:[0,1]
	;; [unrolled: 1-line block ×3, first 2 shown]
.LBB156_8:                              ; =>This Inner Loop Header: Depth=1
	v_add_co_u32_e32 v17, vcc, 0x80, v17
	s_xor_b64 s[52:53], vcc, -1
	s_and_b64 s[52:53], exec, s[52:53]
	ds_write_b64 v18, v[10:11]
	ds_write2_b64 v16, v[12:13], v[14:15] offset1:1
	v_add_u32_e32 v16, 0x800, v16
	s_or_b64 s[34:35], s[52:53], s[34:35]
	v_add_u32_e32 v18, 0x400, v18
	s_andn2_b64 exec, exec, s[34:35]
	s_cbranch_execnz .LBB156_8
.LBB156_9:
	s_or_b64 exec, exec, s[10:11]
	s_waitcnt lgkmcnt(0)
	s_barrier
	s_load_dwordx2 s[10:11], s[42:43], 0x0
	s_mov_b32 s9, 0
	s_waitcnt lgkmcnt(0)
	s_lshl_b64 s[10:11], s[10:11], 3
	s_add_u32 s10, s6, s10
	s_addc_u32 s11, s7, s11
	s_lshl_b64 s[6:7], s[8:9], 3
	s_add_u32 s6, s10, s6
	s_addc_u32 s7, s11, s7
	s_load_dwordx2 s[34:35], s[6:7], 0x0
	s_and_b64 vcc, exec, s[50:51]
	s_cbranch_vccz .LBB156_29
; %bb.10:
	s_waitcnt lgkmcnt(0)
	s_lshl_b64 s[6:7], s[34:35], 3
	s_add_u32 s6, s20, s6
	s_addc_u32 s7, s21, s7
	s_load_dwordx4 s[52:55], s[6:7], 0x0
	v_lshrrev_b32_e32 v10, 4, v0
	v_subrev_co_u32_e32 v10, vcc, s28, v10
	v_subb_co_u32_e64 v11, s[10:11], 0, 0, vcc
	s_waitcnt lgkmcnt(0)
	s_sub_u32 s6, s54, s28
	v_mov_b32_e32 v12, s53
	v_add_co_u32_e32 v10, vcc, s52, v10
	s_subb_u32 s7, s55, 0
	v_addc_co_u32_e32 v11, vcc, v12, v11, vcc
	v_cmp_gt_i64_e32 vcc, s[6:7], v[10:11]
	s_and_saveexec_b64 s[10:11], vcc
	s_cbranch_execz .LBB156_28
; %bb.11:
	v_and_b32_e32 v12, 15, v0
	v_subrev_co_u32_e32 v30, vcc, s29, v12
	s_mov_b32 s8, 0
	v_subb_co_u32_e64 v31, s[20:21], 0, 0, vcc
	s_mov_b32 s33, s28
	s_mov_b32 s60, s29
	s_mov_b64 s[20:21], 0
	v_mov_b32_e32 v32, s23
	v_mov_b32_e32 v33, s9
	;; [unrolled: 1-line block ×4, first 2 shown]
	s_movk_i32 s23, 0x89
	s_branch .LBB156_13
.LBB156_12:                             ;   in Loop: Header=BB156_13 Depth=1
	s_or_b64 exec, exec, s[8:9]
	v_add_co_u32_e32 v10, vcc, 8, v10
	v_addc_co_u32_e32 v11, vcc, 0, v11, vcc
	v_cmp_le_i64_e32 vcc, s[6:7], v[10:11]
	s_or_b64 s[20:21], vcc, s[20:21]
	s_andn2_b64 exec, exec, s[20:21]
	s_cbranch_execz .LBB156_28
.LBB156_13:                             ; =>This Loop Header: Depth=1
                                        ;     Child Loop BB156_16 Depth 2
                                        ;       Child Loop BB156_18 Depth 3
	v_lshlrev_b64 v[12:13], 3, v[10:11]
	v_add_co_u32_e32 v12, vcc, s22, v12
	v_addc_co_u32_e32 v13, vcc, v32, v13, vcc
	global_load_dwordx2 v[12:13], v[12:13], off
	s_waitcnt vmcnt(0)
	v_subrev_co_u32_e32 v12, vcc, s33, v12
	v_subb_co_u32_e32 v13, vcc, v13, v33, vcc
	v_lshlrev_b64 v[12:13], 3, v[12:13]
	v_add_co_u32_e32 v12, vcc, s26, v12
	v_addc_co_u32_e32 v13, vcc, v34, v13, vcc
	global_load_dwordx4 v[14:17], v[12:13], off
	s_waitcnt vmcnt(0)
	v_subrev_co_u32_e32 v12, vcc, s60, v16
	v_subb_co_u32_e32 v13, vcc, v17, v35, vcc
	v_add_co_u32_e32 v14, vcc, v14, v30
	v_addc_co_u32_e32 v15, vcc, v15, v31, vcc
	v_cmp_lt_i64_e32 vcc, v[14:15], v[12:13]
	s_and_saveexec_b64 s[8:9], vcc
	s_cbranch_execz .LBB156_12
; %bb.14:                               ;   in Loop: Header=BB156_13 Depth=1
	v_lshlrev_b64 v[16:17], 4, v[10:11]
	v_mov_b32_e32 v18, s25
	v_add_co_u32_e32 v16, vcc, s24, v16
	v_addc_co_u32_e32 v17, vcc, v18, v17, vcc
	global_load_dwordx4 v[20:23], v[16:17], off
	s_mov_b64 s[28:29], 0
	s_waitcnt vmcnt(0)
	v_mul_f64 v[16:17], v[22:23], -v[8:9]
	v_mul_f64 v[18:19], v[6:7], v[22:23]
	v_fmac_f64_e32 v[16:17], v[6:7], v[20:21]
	v_fmac_f64_e32 v[18:19], v[8:9], v[20:21]
	s_branch .LBB156_16
.LBB156_15:                             ;   in Loop: Header=BB156_16 Depth=2
	s_or_b64 exec, exec, s[42:43]
	v_add_co_u32_e32 v14, vcc, 16, v14
	v_addc_co_u32_e32 v15, vcc, 0, v15, vcc
	v_cmp_ge_i64_e32 vcc, v[14:15], v[12:13]
	s_or_b64 s[28:29], vcc, s[28:29]
	s_andn2_b64 exec, exec, s[28:29]
	s_cbranch_execz .LBB156_12
.LBB156_16:                             ;   Parent Loop BB156_13 Depth=1
                                        ; =>  This Loop Header: Depth=2
                                        ;       Child Loop BB156_18 Depth 3
	v_lshlrev_b64 v[20:21], 3, v[14:15]
	v_mov_b32_e32 v22, s45
	v_add_co_u32_e32 v20, vcc, s44, v20
	v_addc_co_u32_e32 v21, vcc, v22, v21, vcc
	v_lshlrev_b64 v[22:23], 4, v[14:15]
	v_mov_b32_e32 v24, s47
	v_add_co_u32_e32 v22, vcc, s46, v22
	global_load_dwordx2 v[20:21], v[20:21], off
	v_addc_co_u32_e32 v23, vcc, v24, v23, vcc
	global_load_dwordx4 v[36:39], v[22:23], off
	s_mov_b64 s[42:43], 0
	s_waitcnt vmcnt(1)
	v_subrev_co_u32_e32 v20, vcc, s60, v20
	v_mul_lo_u32 v26, v20, s23
	s_waitcnt vmcnt(0)
	v_mul_f64 v[22:23], v[38:39], -v[18:19]
	v_mul_f64 v[24:25], v[16:17], v[38:39]
	v_subb_co_u32_e32 v21, vcc, v21, v35, vcc
	v_fmac_f64_e32 v[22:23], v[16:17], v[36:37]
	v_fmac_f64_e32 v[24:25], v[18:19], v[36:37]
	v_and_b32_e32 v26, 0xff, v26
	s_branch .LBB156_18
.LBB156_17:                             ;   in Loop: Header=BB156_18 Depth=3
	s_or_b64 exec, exec, s[50:51]
	s_xor_b64 s[50:51], s[52:53], -1
	s_and_b64 s[50:51], exec, s[50:51]
	s_or_b64 s[42:43], s[50:51], s[42:43]
	s_andn2_b64 exec, exec, s[42:43]
	s_cbranch_execz .LBB156_15
.LBB156_18:                             ;   Parent Loop BB156_13 Depth=1
                                        ;     Parent Loop BB156_16 Depth=2
                                        ; =>    This Inner Loop Header: Depth=3
	v_lshl_add_u32 v36, v26, 3, 0
	ds_read_b64 v[28:29], v36
                                        ; implicit-def: $sgpr52_sgpr53
	s_waitcnt lgkmcnt(0)
	v_cmp_ne_u64_e32 vcc, v[28:29], v[20:21]
	s_and_saveexec_b64 s[50:51], vcc
	s_xor_b64 s[50:51], exec, s[50:51]
	s_cbranch_execz .LBB156_26
; %bb.19:                               ;   in Loop: Header=BB156_18 Depth=3
	v_cmp_ne_u64_e32 vcc, s[40:41], v[28:29]
                                        ; implicit-def: $sgpr52_sgpr53
	s_and_saveexec_b64 s[54:55], vcc
	s_xor_b64 s[54:55], exec, s[54:55]
; %bb.20:                               ;   in Loop: Header=BB156_18 Depth=3
	v_add_u32_e32 v26, 1, v26
	v_and_b32_e32 v26, 0xff, v26
	s_mov_b64 s[52:53], -1
                                        ; implicit-def: $vgpr36
; %bb.21:                               ;   in Loop: Header=BB156_18 Depth=3
	s_andn2_saveexec_b64 s[54:55], s[54:55]
	s_cbranch_execz .LBB156_25
; %bb.22:                               ;   in Loop: Header=BB156_18 Depth=3
	v_pk_mov_b32 v[28:29], s[40:41], s[40:41] op_sel:[0,1]
	ds_cmpst_rtn_b64 v[28:29], v36, v[28:29], v[20:21]
	s_mov_b64 s[56:57], -1
	s_waitcnt lgkmcnt(0)
	v_cmp_eq_u64_e32 vcc, s[40:41], v[28:29]
	s_and_saveexec_b64 s[58:59], vcc
	s_cbranch_execz .LBB156_24
; %bb.23:                               ;   in Loop: Header=BB156_18 Depth=3
	v_lshl_add_u32 v28, v26, 3, v36
	ds_add_f64 v28, v[22:23] offset:2048
	ds_add_f64 v28, v[24:25] offset:2056
	s_xor_b64 s[56:57], exec, -1
.LBB156_24:                             ;   in Loop: Header=BB156_18 Depth=3
	s_or_b64 exec, exec, s[58:59]
	s_andn2_b64 s[52:53], s[52:53], exec
	s_and_b64 s[56:57], s[56:57], exec
	s_or_b64 s[52:53], s[52:53], s[56:57]
.LBB156_25:                             ;   in Loop: Header=BB156_18 Depth=3
	s_or_b64 exec, exec, s[54:55]
	s_and_b64 s[52:53], s[52:53], exec
                                        ; implicit-def: $vgpr36
.LBB156_26:                             ;   in Loop: Header=BB156_18 Depth=3
	s_andn2_saveexec_b64 s[50:51], s[50:51]
	s_cbranch_execz .LBB156_17
; %bb.27:                               ;   in Loop: Header=BB156_18 Depth=3
	v_lshl_add_u32 v28, v26, 3, v36
	ds_add_f64 v28, v[22:23] offset:2048
	ds_add_f64 v28, v[24:25] offset:2056
	s_andn2_b64 s[52:53], s[52:53], exec
	s_branch .LBB156_17
.LBB156_28:
	s_or_b64 exec, exec, s[10:11]
.LBB156_29:
	s_andn2_b64 vcc, exec, s[48:49]
	s_cbranch_vccnz .LBB156_46
; %bb.30:
	s_waitcnt lgkmcnt(0)
	s_lshl_b64 s[6:7], s[34:35], 3
	s_add_u32 s6, s12, s6
	s_addc_u32 s7, s13, s7
	s_load_dwordx4 s[8:11], s[6:7], 0x0
	s_waitcnt vmcnt(0)
	v_subrev_co_u32_e32 v6, vcc, s31, v0
	s_mov_b32 s12, 0
	s_waitcnt lgkmcnt(0)
	s_sub_u32 s6, s10, s31
	s_subb_u32 s7, s11, 0
	v_subb_co_u32_e64 v7, s[10:11], 0, 0, vcc
	v_mov_b32_e32 v8, s9
	v_add_co_u32_e32 v6, vcc, s8, v6
	v_addc_co_u32_e32 v7, vcc, v8, v7, vcc
	v_cmp_gt_i64_e32 vcc, s[6:7], v[6:7]
	s_and_saveexec_b64 s[8:9], vcc
	s_cbranch_execz .LBB156_45
; %bb.31:
	s_mov_b32 s33, s31
	s_mov_b64 s[10:11], 0
	v_mov_b32_e32 v15, s15
	v_mov_b32_e32 v18, s12
	;; [unrolled: 1-line block ×3, first 2 shown]
	s_movk_i32 s15, 0x89
	s_branch .LBB156_33
.LBB156_32:                             ;   in Loop: Header=BB156_33 Depth=1
	s_or_b64 exec, exec, s[12:13]
	v_add_co_u32_e32 v6, vcc, 0x80, v6
	v_addc_co_u32_e32 v7, vcc, 0, v7, vcc
	v_cmp_le_i64_e32 vcc, s[6:7], v[6:7]
	s_or_b64 s[10:11], vcc, s[10:11]
	s_andn2_b64 exec, exec, s[10:11]
	s_cbranch_execz .LBB156_45
.LBB156_33:                             ; =>This Loop Header: Depth=1
                                        ;     Child Loop BB156_35 Depth 2
	v_lshlrev_b64 v[8:9], 3, v[6:7]
	v_add_co_u32_e32 v8, vcc, s14, v8
	v_addc_co_u32_e32 v9, vcc, v15, v9, vcc
	v_lshlrev_b64 v[10:11], 4, v[6:7]
	v_add_co_u32_e32 v10, vcc, s16, v10
	global_load_dwordx2 v[8:9], v[8:9], off
	v_addc_co_u32_e32 v11, vcc, v19, v11, vcc
	global_load_dwordx4 v[20:23], v[10:11], off
	s_mov_b64 s[12:13], 0
	s_waitcnt vmcnt(1)
	v_subrev_co_u32_e32 v8, vcc, s33, v8
	v_mul_lo_u32 v14, v8, s15
	s_waitcnt vmcnt(0)
	v_mul_f64 v[10:11], v[22:23], -v[2:3]
	v_mul_f64 v[12:13], v[4:5], v[22:23]
	v_subb_co_u32_e32 v9, vcc, v9, v18, vcc
	v_fmac_f64_e32 v[10:11], v[4:5], v[20:21]
	v_fmac_f64_e32 v[12:13], v[2:3], v[20:21]
	v_and_b32_e32 v14, 0xff, v14
	s_branch .LBB156_35
.LBB156_34:                             ;   in Loop: Header=BB156_35 Depth=2
	s_or_b64 exec, exec, s[20:21]
	s_xor_b64 s[20:21], s[22:23], -1
	s_and_b64 s[20:21], exec, s[20:21]
	s_or_b64 s[12:13], s[20:21], s[12:13]
	s_andn2_b64 exec, exec, s[12:13]
	s_cbranch_execz .LBB156_32
.LBB156_35:                             ;   Parent Loop BB156_33 Depth=1
                                        ; =>  This Inner Loop Header: Depth=2
	v_lshl_add_u32 v20, v14, 3, 0
	ds_read_b64 v[16:17], v20
                                        ; implicit-def: $sgpr22_sgpr23
	s_waitcnt lgkmcnt(0)
	v_cmp_ne_u64_e32 vcc, v[16:17], v[8:9]
	s_and_saveexec_b64 s[20:21], vcc
	s_xor_b64 s[20:21], exec, s[20:21]
	s_cbranch_execz .LBB156_43
; %bb.36:                               ;   in Loop: Header=BB156_35 Depth=2
	v_cmp_ne_u64_e32 vcc, s[40:41], v[16:17]
                                        ; implicit-def: $sgpr22_sgpr23
	s_and_saveexec_b64 s[24:25], vcc
	s_xor_b64 s[24:25], exec, s[24:25]
; %bb.37:                               ;   in Loop: Header=BB156_35 Depth=2
	v_add_u32_e32 v14, 1, v14
	v_and_b32_e32 v14, 0xff, v14
	s_mov_b64 s[22:23], -1
                                        ; implicit-def: $vgpr20
; %bb.38:                               ;   in Loop: Header=BB156_35 Depth=2
	s_andn2_saveexec_b64 s[24:25], s[24:25]
	s_cbranch_execz .LBB156_42
; %bb.39:                               ;   in Loop: Header=BB156_35 Depth=2
	v_pk_mov_b32 v[16:17], s[40:41], s[40:41] op_sel:[0,1]
	ds_cmpst_rtn_b64 v[16:17], v20, v[16:17], v[8:9]
	s_mov_b64 s[26:27], -1
	s_waitcnt lgkmcnt(0)
	v_cmp_eq_u64_e32 vcc, s[40:41], v[16:17]
	s_and_saveexec_b64 s[28:29], vcc
	s_cbranch_execz .LBB156_41
; %bb.40:                               ;   in Loop: Header=BB156_35 Depth=2
	v_lshl_add_u32 v16, v14, 3, v20
	ds_add_f64 v16, v[10:11] offset:2048
	ds_add_f64 v16, v[12:13] offset:2056
	s_xor_b64 s[26:27], exec, -1
.LBB156_41:                             ;   in Loop: Header=BB156_35 Depth=2
	s_or_b64 exec, exec, s[28:29]
	s_andn2_b64 s[22:23], s[22:23], exec
	s_and_b64 s[26:27], s[26:27], exec
	s_or_b64 s[22:23], s[22:23], s[26:27]
.LBB156_42:                             ;   in Loop: Header=BB156_35 Depth=2
	s_or_b64 exec, exec, s[24:25]
	s_and_b64 s[22:23], s[22:23], exec
                                        ; implicit-def: $vgpr20
.LBB156_43:                             ;   in Loop: Header=BB156_35 Depth=2
	s_andn2_saveexec_b64 s[20:21], s[20:21]
	s_cbranch_execz .LBB156_34
; %bb.44:                               ;   in Loop: Header=BB156_35 Depth=2
	v_lshl_add_u32 v16, v14, 3, v20
	ds_add_f64 v16, v[10:11] offset:2048
	ds_add_f64 v16, v[12:13] offset:2056
	s_andn2_b64 s[22:23], s[22:23], exec
	s_branch .LBB156_34
.LBB156_45:
	s_or_b64 exec, exec, s[8:9]
.LBB156_46:
	s_waitcnt lgkmcnt(0)
	s_barrier
	s_and_saveexec_b64 s[12:13], s[4:5]
	s_cbranch_execz .LBB156_59
; %bb.47:
	s_waitcnt vmcnt(0)
	v_mbcnt_lo_u32_b32 v2, -1, 0
	v_mbcnt_hi_u32_b32 v2, -1, v2
	v_sub_u32_e32 v2, 63, v2
	v_lshrrev_b64 v[4:5], v2, -1
	v_lshrrev_b32_e32 v2, 2, v0
	v_and_b32_e32 v2, 24, v2
	s_movk_i32 s4, 0x7f
	s_movk_i32 s10, 0x5f
	v_mov_b32_e32 v3, 0
	v_add_u32_e32 v12, 0, v2
	v_cmp_eq_u32_e64 s[4:5], s4, v0
	v_cmp_lt_u32_e64 s[6:7], 31, v0
	v_cmp_lt_u32_e64 s[8:9], 63, v0
	;; [unrolled: 1-line block ×3, first 2 shown]
	v_add_u32_e32 v13, 0x800, v27
	v_or_b32_e32 v14, 0xffffff80, v0
	s_mov_b64 s[14:15], 0
	v_pk_mov_b32 v[6:7], 0, 0
	s_branch .LBB156_49
.LBB156_48:                             ;   in Loop: Header=BB156_49 Depth=1
	s_or_b64 exec, exec, s[16:17]
	s_waitcnt lgkmcnt(0)
	s_barrier
	ds_read_b64 v[8:9], v3 offset:6168
	v_add_u32_e32 v13, 0x800, v13
	v_add_u32_e32 v1, 0x400, v1
	s_waitcnt lgkmcnt(0)
	v_add_co_u32_e32 v6, vcc, v8, v6
	v_addc_co_u32_e32 v7, vcc, v9, v7, vcc
	v_add_co_u32_e32 v14, vcc, 0x80, v14
	s_xor_b64 s[16:17], vcc, -1
	s_and_b64 s[16:17], exec, s[16:17]
	s_or_b64 s[14:15], s[16:17], s[14:15]
	s_andn2_b64 exec, exec, s[14:15]
	s_cbranch_execz .LBB156_59
.LBB156_49:                             ; =>This Inner Loop Header: Depth=1
	ds_read2_b64 v[16:19], v13 offset1:1
	ds_read_b64 v[10:11], v1
	s_waitcnt lgkmcnt(1)
	buffer_store_dword v19, off, s[0:3], 0 offset:12
	buffer_store_dword v18, off, s[0:3], 0 offset:8
	;; [unrolled: 1-line block ×3, first 2 shown]
	buffer_store_dword v16, off, s[0:3], 0
	s_waitcnt lgkmcnt(0)
	v_cmp_gt_i64_e32 vcc, s[40:41], v[10:11]
	v_and_b32_e32 v9, vcc_lo, v4
	s_bcnt1_i32_b64 s16, vcc
	v_and_b32_e32 v8, vcc_hi, v5
	v_bcnt_u32_b32 v9, v9, 0
	v_mov_b32_e32 v2, s16
	v_bcnt_u32_b32 v8, v8, v9
	s_barrier
	ds_write_b64 v12, v[2:3] offset:6144
	s_waitcnt lgkmcnt(0)
	s_barrier
	s_and_saveexec_b64 s[16:17], s[6:7]
	s_cbranch_execnz .LBB156_54
; %bb.50:                               ;   in Loop: Header=BB156_49 Depth=1
	s_or_b64 exec, exec, s[16:17]
	s_and_saveexec_b64 s[16:17], s[8:9]
	s_cbranch_execnz .LBB156_55
.LBB156_51:                             ;   in Loop: Header=BB156_49 Depth=1
	s_or_b64 exec, exec, s[16:17]
	s_and_saveexec_b64 s[16:17], s[10:11]
	s_cbranch_execnz .LBB156_56
.LBB156_52:                             ;   in Loop: Header=BB156_49 Depth=1
	s_or_b64 exec, exec, s[16:17]
	v_ashrrev_i32_e32 v9, 31, v8
	s_and_saveexec_b64 s[16:17], vcc
	s_cbranch_execnz .LBB156_57
.LBB156_53:                             ;   in Loop: Header=BB156_49 Depth=1
	s_or_b64 exec, exec, s[16:17]
	s_and_saveexec_b64 s[16:17], s[4:5]
	s_cbranch_execz .LBB156_48
	s_branch .LBB156_58
.LBB156_54:                             ;   in Loop: Header=BB156_49 Depth=1
	ds_read_b32 v2, v3 offset:6144
	s_waitcnt lgkmcnt(0)
	v_add_u32_e32 v8, v2, v8
	s_or_b64 exec, exec, s[16:17]
	s_and_saveexec_b64 s[16:17], s[8:9]
	s_cbranch_execz .LBB156_51
.LBB156_55:                             ;   in Loop: Header=BB156_49 Depth=1
	ds_read_b32 v2, v3 offset:6152
	s_waitcnt lgkmcnt(0)
	v_add_u32_e32 v8, v8, v2
	s_or_b64 exec, exec, s[16:17]
	s_and_saveexec_b64 s[16:17], s[10:11]
	s_cbranch_execz .LBB156_52
.LBB156_56:                             ;   in Loop: Header=BB156_49 Depth=1
	ds_read_b32 v2, v3 offset:6160
	s_waitcnt lgkmcnt(0)
	v_add_u32_e32 v8, v8, v2
	s_or_b64 exec, exec, s[16:17]
	v_ashrrev_i32_e32 v9, 31, v8
	s_and_saveexec_b64 s[16:17], vcc
	s_cbranch_execz .LBB156_53
.LBB156_57:                             ;   in Loop: Header=BB156_49 Depth=1
	buffer_load_dword v16, off, s[0:3], 0
	buffer_load_dword v17, off, s[0:3], 0 offset:4
	buffer_load_dword v18, off, s[0:3], 0 offset:8
	;; [unrolled: 1-line block ×3, first 2 shown]
	v_add3_u32 v2, v6, -1, v8
	v_lshl_add_u32 v15, v2, 3, 0
	v_lshl_add_u32 v2, v2, 4, 0
	v_add_u32_e32 v2, 0x800, v2
	ds_write_b64 v15, v[10:11]
	s_waitcnt vmcnt(0)
	ds_write2_b64 v2, v[16:17], v[18:19] offset1:1
	s_or_b64 exec, exec, s[16:17]
	s_and_saveexec_b64 s[16:17], s[4:5]
	s_cbranch_execz .LBB156_48
.LBB156_58:                             ;   in Loop: Header=BB156_49 Depth=1
	ds_write_b64 v3, v[8:9] offset:6168
	s_branch .LBB156_48
.LBB156_59:
	s_or_b64 exec, exec, s[12:13]
	s_lshl_b64 s[4:5], s[34:35], 3
	s_add_u32 s4, s18, s4
	s_addc_u32 s5, s19, s5
	s_load_dwordx4 s[4:7], s[4:5], 0x0
	v_mov_b32_e32 v1, 0
	s_waitcnt lgkmcnt(0)
	s_sub_u32 s8, s6, s4
	s_subb_u32 s9, s7, s5
	v_cmp_gt_i64_e32 vcc, s[8:9], v[0:1]
	s_and_saveexec_b64 s[10:11], vcc
	s_cbranch_execz .LBB156_69
; %bb.60:
	s_sub_u32 s10, s4, s30
	s_subb_u32 s11, s5, 0
	s_and_b32 s12, s8, 7
	s_sub_u32 s4, s4, s6
	s_mov_b32 s20, 0
	s_subb_u32 s5, s5, s7
	s_mov_b32 s13, s20
	s_and_b32 s6, s8, -8
	v_cmp_lt_u64_e64 s[4:5], s[4:5], -7
	s_cmp_lg_u64 s[12:13], 0
	s_waitcnt vmcnt(0)
	v_cndmask_b32_e64 v2, 0, 1, s[4:5]
	s_mov_b32 s7, s9
	s_mov_b64 s[14:15], 0
	s_cselect_b64 s[16:17], -1, 0
	v_cmp_ne_u32_e64 s[4:5], 1, v2
	s_movk_i32 s21, 0x800
	s_branch .LBB156_62
.LBB156_61:                             ;   in Loop: Header=BB156_62 Depth=1
	v_lshlrev_b32_e32 v7, 3, v0
	v_add3_u32 v8, v6, v7, s21
	v_mov_b32_e32 v6, s20
	s_waitcnt lgkmcnt(0)
	v_add_co_u32_e32 v2, vcc, s30, v2
	v_addc_co_u32_e32 v3, vcc, v3, v6, vcc
	v_lshlrev_b64 v[6:7], 3, v[4:5]
	v_mov_b32_e32 v9, s37
	v_add_co_u32_e32 v6, vcc, s36, v6
	v_addc_co_u32_e32 v7, vcc, v9, v7, vcc
	global_store_dwordx2 v[6:7], v[2:3], off
	v_lshlrev_b64 v[2:3], 4, v[4:5]
	v_mov_b32_e32 v4, s39
	v_add_co_u32_e32 v6, vcc, s38, v2
	v_addc_co_u32_e32 v7, vcc, v4, v3, vcc
	ds_read2_b64 v[2:5], v8 offset1:1
	v_add_co_u32_e32 v0, vcc, 0x80, v0
	v_addc_co_u32_e32 v1, vcc, 0, v1, vcc
	v_cmp_le_i64_e32 vcc, s[8:9], v[0:1]
	s_or_b64 s[14:15], vcc, s[14:15]
	s_waitcnt lgkmcnt(0)
	global_store_dwordx4 v[6:7], v[2:5], off
	s_andn2_b64 exec, exec, s[14:15]
	s_cbranch_execz .LBB156_69
.LBB156_62:                             ; =>This Loop Header: Depth=1
                                        ;     Child Loop BB156_64 Depth 2
                                        ;     Child Loop BB156_68 Depth 2
	v_lshl_add_u32 v6, v0, 3, 0
	ds_read_b64 v[2:3], v6
	s_and_b64 vcc, exec, s[4:5]
	v_pk_mov_b32 v[4:5], s[10:11], s[10:11] op_sel:[0,1]
	s_mov_b64 s[18:19], 0
	s_cbranch_vccnz .LBB156_66
; %bb.63:                               ;   in Loop: Header=BB156_62 Depth=1
	s_mov_b32 s22, 0
	v_pk_mov_b32 v[4:5], s[10:11], s[10:11] op_sel:[0,1]
.LBB156_64:                             ;   Parent Loop BB156_62 Depth=1
                                        ; =>  This Inner Loop Header: Depth=2
	v_mov_b32_e32 v7, s22
	ds_read2_b64 v[8:11], v7 offset1:1
	ds_read2_b64 v[12:15], v7 offset0:2 offset1:3
	ds_read2_b64 v[16:19], v7 offset0:4 offset1:5
	;; [unrolled: 1-line block ×3, first 2 shown]
	s_add_u32 s18, s18, 8
	s_waitcnt lgkmcnt(3)
	v_cmp_gt_i64_e32 vcc, v[2:3], v[8:9]
	v_cndmask_b32_e64 v7, 0, 1, vcc
	v_cmp_gt_i64_e32 vcc, v[2:3], v[10:11]
	v_cndmask_b32_e64 v8, 0, 1, vcc
	s_waitcnt lgkmcnt(2)
	v_cmp_gt_i64_e32 vcc, v[2:3], v[12:13]
	v_cndmask_b32_e64 v9, 0, 1, vcc
	v_cmp_gt_i64_e32 vcc, v[2:3], v[14:15]
	v_cndmask_b32_e64 v10, 0, 1, vcc
	s_waitcnt lgkmcnt(1)
	v_cmp_gt_i64_e32 vcc, v[2:3], v[16:17]
	v_cndmask_b32_e64 v11, 0, 1, vcc
	v_cmp_gt_i64_e32 vcc, v[2:3], v[18:19]
	v_cndmask_b32_e64 v12, 0, 1, vcc
	s_waitcnt lgkmcnt(0)
	v_cmp_gt_i64_e32 vcc, v[2:3], v[20:21]
	v_cndmask_b32_e64 v13, 0, 1, vcc
	v_cmp_gt_i64_e32 vcc, v[2:3], v[22:23]
	v_cndmask_b32_e64 v14, 0, 1, vcc
	v_add_co_u32_e32 v4, vcc, v4, v7
	v_addc_co_u32_e32 v5, vcc, 0, v5, vcc
	v_add_co_u32_e32 v4, vcc, v4, v8
	v_addc_co_u32_e32 v5, vcc, 0, v5, vcc
	;; [unrolled: 2-line block ×7, first 2 shown]
	s_addc_u32 s19, s19, 0
	s_add_i32 s22, s22, 64
	v_add_co_u32_e32 v4, vcc, v4, v14
	s_cmp_eq_u64 s[6:7], s[18:19]
	v_addc_co_u32_e32 v5, vcc, 0, v5, vcc
	s_cbranch_scc0 .LBB156_64
; %bb.65:                               ;   in Loop: Header=BB156_62 Depth=1
	s_mov_b64 s[18:19], s[6:7]
.LBB156_66:                             ;   in Loop: Header=BB156_62 Depth=1
	s_andn2_b64 vcc, exec, s[16:17]
	s_cbranch_vccnz .LBB156_61
; %bb.67:                               ;   in Loop: Header=BB156_62 Depth=1
	s_lshl_b32 s18, s18, 3
	s_add_i32 s22, s18, 0
	s_mov_b64 s[18:19], s[12:13]
.LBB156_68:                             ;   Parent Loop BB156_62 Depth=1
                                        ; =>  This Inner Loop Header: Depth=2
	v_mov_b32_e32 v7, s22
	ds_read_b64 v[8:9], v7
	s_add_i32 s22, s22, 8
	s_add_u32 s18, s18, -1
	s_addc_u32 s19, s19, -1
	s_cmp_lg_u64 s[18:19], 0
	s_waitcnt lgkmcnt(0)
	v_cmp_gt_i64_e32 vcc, v[2:3], v[8:9]
	v_cndmask_b32_e64 v7, 0, 1, vcc
	v_add_co_u32_e32 v4, vcc, v4, v7
	v_addc_co_u32_e32 v5, vcc, 0, v5, vcc
	s_cbranch_scc1 .LBB156_68
	s_branch .LBB156_61
.LBB156_69:
	s_endpgm
	.section	.rodata,"a",@progbits
	.p2align	6, 0x0
	.amdhsa_kernel _ZN9rocsparseL26csrgemm_fill_block_per_rowILj128ELj16ELj256ELj137ELj32Ell21rocsparse_complex_numIdEEEvT5_PKS3_S5_NS_24const_host_device_scalarIT6_EEPKT4_S5_PKS7_SB_S5_SD_S8_SB_S5_SD_SB_PS3_PS7_21rocsparse_index_base_SG_SG_SG_bbb
		.amdhsa_group_segment_fixed_size 0
		.amdhsa_private_segment_fixed_size 40
		.amdhsa_kernarg_size 172
		.amdhsa_user_sgpr_count 8
		.amdhsa_user_sgpr_private_segment_buffer 1
		.amdhsa_user_sgpr_dispatch_ptr 0
		.amdhsa_user_sgpr_queue_ptr 0
		.amdhsa_user_sgpr_kernarg_segment_ptr 1
		.amdhsa_user_sgpr_dispatch_id 0
		.amdhsa_user_sgpr_flat_scratch_init 1
		.amdhsa_user_sgpr_kernarg_preload_length 0
		.amdhsa_user_sgpr_kernarg_preload_offset 0
		.amdhsa_user_sgpr_private_segment_size 0
		.amdhsa_uses_dynamic_stack 0
		.amdhsa_system_sgpr_private_segment_wavefront_offset 1
		.amdhsa_system_sgpr_workgroup_id_x 1
		.amdhsa_system_sgpr_workgroup_id_y 0
		.amdhsa_system_sgpr_workgroup_id_z 0
		.amdhsa_system_sgpr_workgroup_info 0
		.amdhsa_system_vgpr_workitem_id 0
		.amdhsa_next_free_vgpr 40
		.amdhsa_next_free_sgpr 61
		.amdhsa_accum_offset 40
		.amdhsa_reserve_vcc 1
		.amdhsa_reserve_flat_scratch 1
		.amdhsa_float_round_mode_32 0
		.amdhsa_float_round_mode_16_64 0
		.amdhsa_float_denorm_mode_32 3
		.amdhsa_float_denorm_mode_16_64 3
		.amdhsa_dx10_clamp 1
		.amdhsa_ieee_mode 1
		.amdhsa_fp16_overflow 0
		.amdhsa_tg_split 0
		.amdhsa_exception_fp_ieee_invalid_op 0
		.amdhsa_exception_fp_denorm_src 0
		.amdhsa_exception_fp_ieee_div_zero 0
		.amdhsa_exception_fp_ieee_overflow 0
		.amdhsa_exception_fp_ieee_underflow 0
		.amdhsa_exception_fp_ieee_inexact 0
		.amdhsa_exception_int_div_zero 0
	.end_amdhsa_kernel
	.section	.text._ZN9rocsparseL26csrgemm_fill_block_per_rowILj128ELj16ELj256ELj137ELj32Ell21rocsparse_complex_numIdEEEvT5_PKS3_S5_NS_24const_host_device_scalarIT6_EEPKT4_S5_PKS7_SB_S5_SD_S8_SB_S5_SD_SB_PS3_PS7_21rocsparse_index_base_SG_SG_SG_bbb,"axG",@progbits,_ZN9rocsparseL26csrgemm_fill_block_per_rowILj128ELj16ELj256ELj137ELj32Ell21rocsparse_complex_numIdEEEvT5_PKS3_S5_NS_24const_host_device_scalarIT6_EEPKT4_S5_PKS7_SB_S5_SD_S8_SB_S5_SD_SB_PS3_PS7_21rocsparse_index_base_SG_SG_SG_bbb,comdat
.Lfunc_end156:
	.size	_ZN9rocsparseL26csrgemm_fill_block_per_rowILj128ELj16ELj256ELj137ELj32Ell21rocsparse_complex_numIdEEEvT5_PKS3_S5_NS_24const_host_device_scalarIT6_EEPKT4_S5_PKS7_SB_S5_SD_S8_SB_S5_SD_SB_PS3_PS7_21rocsparse_index_base_SG_SG_SG_bbb, .Lfunc_end156-_ZN9rocsparseL26csrgemm_fill_block_per_rowILj128ELj16ELj256ELj137ELj32Ell21rocsparse_complex_numIdEEEvT5_PKS3_S5_NS_24const_host_device_scalarIT6_EEPKT4_S5_PKS7_SB_S5_SD_S8_SB_S5_SD_SB_PS3_PS7_21rocsparse_index_base_SG_SG_SG_bbb
                                        ; -- End function
	.section	.AMDGPU.csdata,"",@progbits
; Kernel info:
; codeLenInByte = 3020
; NumSgprs: 67
; NumVgprs: 40
; NumAgprs: 0
; TotalNumVgprs: 40
; ScratchSize: 40
; MemoryBound: 0
; FloatMode: 240
; IeeeMode: 1
; LDSByteSize: 0 bytes/workgroup (compile time only)
; SGPRBlocks: 8
; VGPRBlocks: 4
; NumSGPRsForWavesPerEU: 67
; NumVGPRsForWavesPerEU: 40
; AccumOffset: 40
; Occupancy: 8
; WaveLimiterHint : 1
; COMPUTE_PGM_RSRC2:SCRATCH_EN: 1
; COMPUTE_PGM_RSRC2:USER_SGPR: 8
; COMPUTE_PGM_RSRC2:TRAP_HANDLER: 0
; COMPUTE_PGM_RSRC2:TGID_X_EN: 1
; COMPUTE_PGM_RSRC2:TGID_Y_EN: 0
; COMPUTE_PGM_RSRC2:TGID_Z_EN: 0
; COMPUTE_PGM_RSRC2:TIDIG_COMP_CNT: 0
; COMPUTE_PGM_RSRC3_GFX90A:ACCUM_OFFSET: 9
; COMPUTE_PGM_RSRC3_GFX90A:TG_SPLIT: 0
	.section	.text._ZN9rocsparseL26csrgemm_fill_block_per_rowILj128ELj16ELj256ELj137ELj64Ell21rocsparse_complex_numIdEEEvT5_PKS3_S5_NS_24const_host_device_scalarIT6_EEPKT4_S5_PKS7_SB_S5_SD_S8_SB_S5_SD_SB_PS3_PS7_21rocsparse_index_base_SG_SG_SG_bbb,"axG",@progbits,_ZN9rocsparseL26csrgemm_fill_block_per_rowILj128ELj16ELj256ELj137ELj64Ell21rocsparse_complex_numIdEEEvT5_PKS3_S5_NS_24const_host_device_scalarIT6_EEPKT4_S5_PKS7_SB_S5_SD_S8_SB_S5_SD_SB_PS3_PS7_21rocsparse_index_base_SG_SG_SG_bbb,comdat
	.globl	_ZN9rocsparseL26csrgemm_fill_block_per_rowILj128ELj16ELj256ELj137ELj64Ell21rocsparse_complex_numIdEEEvT5_PKS3_S5_NS_24const_host_device_scalarIT6_EEPKT4_S5_PKS7_SB_S5_SD_S8_SB_S5_SD_SB_PS3_PS7_21rocsparse_index_base_SG_SG_SG_bbb ; -- Begin function _ZN9rocsparseL26csrgemm_fill_block_per_rowILj128ELj16ELj256ELj137ELj64Ell21rocsparse_complex_numIdEEEvT5_PKS3_S5_NS_24const_host_device_scalarIT6_EEPKT4_S5_PKS7_SB_S5_SD_S8_SB_S5_SD_SB_PS3_PS7_21rocsparse_index_base_SG_SG_SG_bbb
	.p2align	8
	.type	_ZN9rocsparseL26csrgemm_fill_block_per_rowILj128ELj16ELj256ELj137ELj64Ell21rocsparse_complex_numIdEEEvT5_PKS3_S5_NS_24const_host_device_scalarIT6_EEPKT4_S5_PKS7_SB_S5_SD_S8_SB_S5_SD_SB_PS3_PS7_21rocsparse_index_base_SG_SG_SG_bbb,@function
_ZN9rocsparseL26csrgemm_fill_block_per_rowILj128ELj16ELj256ELj137ELj64Ell21rocsparse_complex_numIdEEEvT5_PKS3_S5_NS_24const_host_device_scalarIT6_EEPKT4_S5_PKS7_SB_S5_SD_S8_SB_S5_SD_SB_PS3_PS7_21rocsparse_index_base_SG_SG_SG_bbb: ; @_ZN9rocsparseL26csrgemm_fill_block_per_rowILj128ELj16ELj256ELj137ELj64Ell21rocsparse_complex_numIdEEEvT5_PKS3_S5_NS_24const_host_device_scalarIT6_EEPKT4_S5_PKS7_SB_S5_SD_S8_SB_S5_SD_SB_PS3_PS7_21rocsparse_index_base_SG_SG_SG_bbb
; %bb.0:
	s_add_u32 flat_scratch_lo, s6, s9
	s_addc_u32 flat_scratch_hi, s7, 0
	s_add_u32 s0, s0, s9
	s_load_dword s9, s[4:5], 0xa8
	s_load_dwordx4 s[16:19], s[4:5], 0x18
	s_load_dwordx4 s[12:15], s[4:5], 0x58
	s_addc_u32 s1, s1, 0
	v_pk_mov_b32 v[2:3], 0, 0
	s_waitcnt lgkmcnt(0)
	s_bitcmp1_b32 s9, 0
	v_mov_b32_e32 v1, s17
	s_cselect_b64 s[48:49], -1, 0
	s_bitcmp1_b32 s9, 16
	buffer_store_dword v1, off, s[0:3], 0 offset:20
	v_mov_b32_e32 v1, s16
	s_cselect_b64 s[6:7], -1, 0
	buffer_store_dword v1, off, s[0:3], 0 offset:16
	v_mov_b32_e32 v1, s13
	buffer_store_dword v1, off, s[0:3], 0 offset:28
	v_mov_b32_e32 v1, s12
	s_xor_b64 s[10:11], s[6:7], -1
	buffer_store_dword v1, off, s[0:3], 0 offset:24
	v_cndmask_b32_e64 v1, 0, 1, s[10:11]
	s_bitcmp0_b32 s9, 0
	v_cmp_ne_u32_e64 s[10:11], 1, v1
	v_pk_mov_b32 v[6:7], v[2:3], v[2:3] op_sel:[0,1]
	v_pk_mov_b32 v[8:9], v[2:3], v[2:3] op_sel:[0,1]
	s_cbranch_scc1 .LBB157_3
; %bb.1:
	s_mov_b64 s[20:21], src_private_base
	s_and_b64 s[22:23], s[6:7], exec
	s_cselect_b32 s20, s21, s17
	v_mov_b32_e32 v1, 16
	v_mov_b32_e32 v4, s16
	v_cndmask_b32_e64 v4, v4, v1, s[6:7]
	v_mov_b32_e32 v5, s20
	flat_load_dwordx2 v[6:7], v[4:5]
	s_and_b64 vcc, exec, s[10:11]
	v_pk_mov_b32 v[8:9], s[18:19], s[18:19] op_sel:[0,1]
	s_cbranch_vccnz .LBB157_3
; %bb.2:
	v_pk_mov_b32 v[4:5], s[16:17], s[16:17] op_sel:[0,1]
	flat_load_dwordx2 v[8:9], v[4:5] offset:8
.LBB157_3:
	s_load_dwordx4 s[28:31], s[4:5], 0x98
	s_bitcmp1_b32 s9, 8
	s_cselect_b64 s[34:35], -1, 0
	s_bfe_u32 s9, s9, 0x10008
	s_cmp_eq_u32 s9, 0
	v_pk_mov_b32 v[4:5], v[2:3], v[2:3] op_sel:[0,1]
	s_cbranch_scc1 .LBB157_6
; %bb.4:
	s_mov_b64 s[16:17], src_private_base
	s_and_b64 s[18:19], s[6:7], exec
	s_cselect_b32 s9, s17, s13
	v_mov_b32_e32 v1, 24
	v_mov_b32_e32 v2, s12
	v_cndmask_b32_e64 v2, v2, v1, s[6:7]
	v_mov_b32_e32 v3, s9
	flat_load_dwordx2 v[4:5], v[2:3]
	s_and_b64 vcc, exec, s[10:11]
	v_pk_mov_b32 v[2:3], s[14:15], s[14:15] op_sel:[0,1]
	s_cbranch_vccnz .LBB157_6
; %bb.5:
	v_pk_mov_b32 v[2:3], s[12:13], s[12:13] op_sel:[0,1]
	flat_load_dwordx2 v[2:3], v[2:3] offset:8
.LBB157_6:
	s_load_dwordx4 s[36:39], s[4:5], 0x88
	s_load_dwordx8 s[12:19], s[4:5], 0x68
	s_load_dwordx4 s[44:47], s[4:5], 0x48
	s_load_dwordx4 s[40:43], s[4:5], 0x0
	s_load_dwordx2 s[6:7], s[4:5], 0x10
	s_load_dwordx8 s[20:27], s[4:5], 0x28
	s_movk_i32 s4, 0x100
	v_cmp_gt_u32_e64 s[4:5], s4, v0
	v_lshl_add_u32 v27, v0, 4, 0
	v_lshl_add_u32 v1, v0, 3, 0
	s_and_saveexec_b64 s[10:11], s[4:5]
	s_cbranch_execz .LBB157_9
; %bb.7:
	s_mov_b32 s52, 0
	s_mov_b32 s53, s52
	;; [unrolled: 1-line block ×4, first 2 shown]
	v_add_u32_e32 v16, 0x800, v27
	v_or_b32_e32 v17, 0xffffff80, v0
	v_lshl_add_u32 v18, v0, 3, 0
	s_mov_b64 s[50:51], 0
	s_waitcnt lgkmcnt(0)
	v_pk_mov_b32 v[10:11], s[40:41], s[40:41] op_sel:[0,1]
	v_pk_mov_b32 v[12:13], s[52:53], s[52:53] op_sel:[0,1]
	;; [unrolled: 1-line block ×3, first 2 shown]
.LBB157_8:                              ; =>This Inner Loop Header: Depth=1
	v_add_co_u32_e32 v17, vcc, 0x80, v17
	s_xor_b64 s[52:53], vcc, -1
	s_and_b64 s[52:53], exec, s[52:53]
	ds_write_b64 v18, v[10:11]
	ds_write2_b64 v16, v[12:13], v[14:15] offset1:1
	v_add_u32_e32 v16, 0x800, v16
	s_or_b64 s[50:51], s[52:53], s[50:51]
	v_add_u32_e32 v18, 0x400, v18
	s_andn2_b64 exec, exec, s[50:51]
	s_cbranch_execnz .LBB157_8
.LBB157_9:
	s_or_b64 exec, exec, s[10:11]
	s_waitcnt lgkmcnt(0)
	s_barrier
	s_load_dwordx2 s[10:11], s[42:43], 0x0
	s_mov_b32 s9, 0
	s_waitcnt lgkmcnt(0)
	s_lshl_b64 s[10:11], s[10:11], 3
	s_add_u32 s10, s6, s10
	s_addc_u32 s11, s7, s11
	s_lshl_b64 s[6:7], s[8:9], 3
	s_add_u32 s6, s10, s6
	s_addc_u32 s7, s11, s7
	s_load_dwordx2 s[10:11], s[6:7], 0x0
	s_and_b64 vcc, exec, s[48:49]
	s_cbranch_vccz .LBB157_29
; %bb.10:
	s_waitcnt lgkmcnt(0)
	s_lshl_b64 s[6:7], s[10:11], 3
	s_add_u32 s6, s20, s6
	s_addc_u32 s7, s21, s7
	s_load_dwordx4 s[48:51], s[6:7], 0x0
	v_lshrrev_b32_e32 v10, 4, v0
	v_subrev_co_u32_e32 v10, vcc, s28, v10
	v_subb_co_u32_e64 v11, s[20:21], 0, 0, vcc
	s_waitcnt lgkmcnt(0)
	s_sub_u32 s6, s50, s28
	v_mov_b32_e32 v12, s49
	v_add_co_u32_e32 v10, vcc, s48, v10
	s_subb_u32 s7, s51, 0
	v_addc_co_u32_e32 v11, vcc, v12, v11, vcc
	v_cmp_gt_i64_e32 vcc, s[6:7], v[10:11]
	s_and_saveexec_b64 s[20:21], vcc
	s_cbranch_execz .LBB157_28
; %bb.11:
	v_and_b32_e32 v12, 15, v0
	v_subrev_co_u32_e32 v30, vcc, s29, v12
	s_mov_b32 s33, s28
	s_mov_b32 s8, 0
	s_mov_b32 s60, s29
	v_subb_co_u32_e64 v31, s[28:29], 0, 0, vcc
	s_mov_b64 s[28:29], 0
	v_mov_b32_e32 v32, s23
	v_mov_b32_e32 v33, s9
	;; [unrolled: 1-line block ×4, first 2 shown]
	s_movk_i32 s23, 0x89
	s_branch .LBB157_13
.LBB157_12:                             ;   in Loop: Header=BB157_13 Depth=1
	s_or_b64 exec, exec, s[8:9]
	v_add_co_u32_e32 v10, vcc, 8, v10
	v_addc_co_u32_e32 v11, vcc, 0, v11, vcc
	v_cmp_le_i64_e32 vcc, s[6:7], v[10:11]
	s_or_b64 s[28:29], vcc, s[28:29]
	s_andn2_b64 exec, exec, s[28:29]
	s_cbranch_execz .LBB157_28
.LBB157_13:                             ; =>This Loop Header: Depth=1
                                        ;     Child Loop BB157_16 Depth 2
                                        ;       Child Loop BB157_18 Depth 3
	v_lshlrev_b64 v[12:13], 3, v[10:11]
	v_add_co_u32_e32 v12, vcc, s22, v12
	v_addc_co_u32_e32 v13, vcc, v32, v13, vcc
	global_load_dwordx2 v[12:13], v[12:13], off
	s_waitcnt vmcnt(0)
	v_subrev_co_u32_e32 v12, vcc, s33, v12
	v_subb_co_u32_e32 v13, vcc, v13, v33, vcc
	v_lshlrev_b64 v[12:13], 3, v[12:13]
	v_add_co_u32_e32 v12, vcc, s26, v12
	v_addc_co_u32_e32 v13, vcc, v34, v13, vcc
	global_load_dwordx4 v[14:17], v[12:13], off
	s_waitcnt vmcnt(0)
	v_subrev_co_u32_e32 v12, vcc, s60, v16
	v_subb_co_u32_e32 v13, vcc, v17, v35, vcc
	v_add_co_u32_e32 v14, vcc, v14, v30
	v_addc_co_u32_e32 v15, vcc, v15, v31, vcc
	v_cmp_lt_i64_e32 vcc, v[14:15], v[12:13]
	s_and_saveexec_b64 s[8:9], vcc
	s_cbranch_execz .LBB157_12
; %bb.14:                               ;   in Loop: Header=BB157_13 Depth=1
	v_lshlrev_b64 v[16:17], 4, v[10:11]
	v_mov_b32_e32 v18, s25
	v_add_co_u32_e32 v16, vcc, s24, v16
	v_addc_co_u32_e32 v17, vcc, v18, v17, vcc
	global_load_dwordx4 v[20:23], v[16:17], off
	s_mov_b64 s[42:43], 0
	s_waitcnt vmcnt(0)
	v_mul_f64 v[16:17], v[22:23], -v[8:9]
	v_mul_f64 v[18:19], v[6:7], v[22:23]
	v_fmac_f64_e32 v[16:17], v[6:7], v[20:21]
	v_fmac_f64_e32 v[18:19], v[8:9], v[20:21]
	s_branch .LBB157_16
.LBB157_15:                             ;   in Loop: Header=BB157_16 Depth=2
	s_or_b64 exec, exec, s[48:49]
	v_add_co_u32_e32 v14, vcc, 16, v14
	v_addc_co_u32_e32 v15, vcc, 0, v15, vcc
	v_cmp_ge_i64_e32 vcc, v[14:15], v[12:13]
	s_or_b64 s[42:43], vcc, s[42:43]
	s_andn2_b64 exec, exec, s[42:43]
	s_cbranch_execz .LBB157_12
.LBB157_16:                             ;   Parent Loop BB157_13 Depth=1
                                        ; =>  This Loop Header: Depth=2
                                        ;       Child Loop BB157_18 Depth 3
	v_lshlrev_b64 v[20:21], 3, v[14:15]
	v_mov_b32_e32 v22, s45
	v_add_co_u32_e32 v20, vcc, s44, v20
	v_addc_co_u32_e32 v21, vcc, v22, v21, vcc
	v_lshlrev_b64 v[22:23], 4, v[14:15]
	v_mov_b32_e32 v24, s47
	v_add_co_u32_e32 v22, vcc, s46, v22
	global_load_dwordx2 v[20:21], v[20:21], off
	v_addc_co_u32_e32 v23, vcc, v24, v23, vcc
	global_load_dwordx4 v[36:39], v[22:23], off
	s_mov_b64 s[48:49], 0
	s_waitcnt vmcnt(1)
	v_subrev_co_u32_e32 v20, vcc, s60, v20
	v_mul_lo_u32 v26, v20, s23
	s_waitcnt vmcnt(0)
	v_mul_f64 v[22:23], v[38:39], -v[18:19]
	v_mul_f64 v[24:25], v[16:17], v[38:39]
	v_subb_co_u32_e32 v21, vcc, v21, v35, vcc
	v_fmac_f64_e32 v[22:23], v[16:17], v[36:37]
	v_fmac_f64_e32 v[24:25], v[18:19], v[36:37]
	v_and_b32_e32 v26, 0xff, v26
	s_branch .LBB157_18
.LBB157_17:                             ;   in Loop: Header=BB157_18 Depth=3
	s_or_b64 exec, exec, s[50:51]
	s_xor_b64 s[50:51], s[52:53], -1
	s_and_b64 s[50:51], exec, s[50:51]
	s_or_b64 s[48:49], s[50:51], s[48:49]
	s_andn2_b64 exec, exec, s[48:49]
	s_cbranch_execz .LBB157_15
.LBB157_18:                             ;   Parent Loop BB157_13 Depth=1
                                        ;     Parent Loop BB157_16 Depth=2
                                        ; =>    This Inner Loop Header: Depth=3
	v_lshl_add_u32 v36, v26, 3, 0
	ds_read_b64 v[28:29], v36
                                        ; implicit-def: $sgpr52_sgpr53
	s_waitcnt lgkmcnt(0)
	v_cmp_ne_u64_e32 vcc, v[28:29], v[20:21]
	s_and_saveexec_b64 s[50:51], vcc
	s_xor_b64 s[50:51], exec, s[50:51]
	s_cbranch_execz .LBB157_26
; %bb.19:                               ;   in Loop: Header=BB157_18 Depth=3
	v_cmp_ne_u64_e32 vcc, s[40:41], v[28:29]
                                        ; implicit-def: $sgpr52_sgpr53
	s_and_saveexec_b64 s[54:55], vcc
	s_xor_b64 s[54:55], exec, s[54:55]
; %bb.20:                               ;   in Loop: Header=BB157_18 Depth=3
	v_add_u32_e32 v26, 1, v26
	v_and_b32_e32 v26, 0xff, v26
	s_mov_b64 s[52:53], -1
                                        ; implicit-def: $vgpr36
; %bb.21:                               ;   in Loop: Header=BB157_18 Depth=3
	s_andn2_saveexec_b64 s[54:55], s[54:55]
	s_cbranch_execz .LBB157_25
; %bb.22:                               ;   in Loop: Header=BB157_18 Depth=3
	v_pk_mov_b32 v[28:29], s[40:41], s[40:41] op_sel:[0,1]
	ds_cmpst_rtn_b64 v[28:29], v36, v[28:29], v[20:21]
	s_mov_b64 s[56:57], -1
	s_waitcnt lgkmcnt(0)
	v_cmp_eq_u64_e32 vcc, s[40:41], v[28:29]
	s_and_saveexec_b64 s[58:59], vcc
	s_cbranch_execz .LBB157_24
; %bb.23:                               ;   in Loop: Header=BB157_18 Depth=3
	v_lshl_add_u32 v28, v26, 3, v36
	ds_add_f64 v28, v[22:23] offset:2048
	ds_add_f64 v28, v[24:25] offset:2056
	s_xor_b64 s[56:57], exec, -1
.LBB157_24:                             ;   in Loop: Header=BB157_18 Depth=3
	s_or_b64 exec, exec, s[58:59]
	s_andn2_b64 s[52:53], s[52:53], exec
	s_and_b64 s[56:57], s[56:57], exec
	s_or_b64 s[52:53], s[52:53], s[56:57]
.LBB157_25:                             ;   in Loop: Header=BB157_18 Depth=3
	s_or_b64 exec, exec, s[54:55]
	s_and_b64 s[52:53], s[52:53], exec
                                        ; implicit-def: $vgpr36
.LBB157_26:                             ;   in Loop: Header=BB157_18 Depth=3
	s_andn2_saveexec_b64 s[50:51], s[50:51]
	s_cbranch_execz .LBB157_17
; %bb.27:                               ;   in Loop: Header=BB157_18 Depth=3
	v_lshl_add_u32 v28, v26, 3, v36
	ds_add_f64 v28, v[22:23] offset:2048
	ds_add_f64 v28, v[24:25] offset:2056
	s_andn2_b64 s[52:53], s[52:53], exec
	s_branch .LBB157_17
.LBB157_28:
	s_or_b64 exec, exec, s[20:21]
.LBB157_29:
	s_andn2_b64 vcc, exec, s[34:35]
	s_cbranch_vccnz .LBB157_46
; %bb.30:
	s_waitcnt lgkmcnt(0)
	s_lshl_b64 s[6:7], s[10:11], 3
	s_add_u32 s6, s12, s6
	s_addc_u32 s7, s13, s7
	s_load_dwordx4 s[24:27], s[6:7], 0x0
	s_waitcnt vmcnt(0)
	v_subrev_co_u32_e32 v6, vcc, s31, v0
	v_subb_co_u32_e64 v7, s[8:9], 0, 0, vcc
	s_waitcnt lgkmcnt(0)
	s_sub_u32 s6, s26, s31
	v_mov_b32_e32 v8, s25
	v_add_co_u32_e32 v6, vcc, s24, v6
	s_subb_u32 s7, s27, 0
	v_addc_co_u32_e32 v7, vcc, v8, v7, vcc
	s_mov_b32 s20, 0
	v_cmp_gt_i64_e32 vcc, s[6:7], v[6:7]
	s_and_saveexec_b64 s[8:9], vcc
	s_cbranch_execz .LBB157_45
; %bb.31:
	s_mov_b32 s33, s31
	s_mov_b64 s[12:13], 0
	v_mov_b32_e32 v15, s15
	v_mov_b32_e32 v18, s20
	v_mov_b32_e32 v19, s17
	s_movk_i32 s15, 0x89
	s_branch .LBB157_33
.LBB157_32:                             ;   in Loop: Header=BB157_33 Depth=1
	s_or_b64 exec, exec, s[20:21]
	v_add_co_u32_e32 v6, vcc, 0x80, v6
	v_addc_co_u32_e32 v7, vcc, 0, v7, vcc
	v_cmp_le_i64_e32 vcc, s[6:7], v[6:7]
	s_or_b64 s[12:13], vcc, s[12:13]
	s_andn2_b64 exec, exec, s[12:13]
	s_cbranch_execz .LBB157_45
.LBB157_33:                             ; =>This Loop Header: Depth=1
                                        ;     Child Loop BB157_35 Depth 2
	v_lshlrev_b64 v[8:9], 3, v[6:7]
	v_add_co_u32_e32 v8, vcc, s14, v8
	v_addc_co_u32_e32 v9, vcc, v15, v9, vcc
	v_lshlrev_b64 v[10:11], 4, v[6:7]
	v_add_co_u32_e32 v10, vcc, s16, v10
	global_load_dwordx2 v[8:9], v[8:9], off
	v_addc_co_u32_e32 v11, vcc, v19, v11, vcc
	global_load_dwordx4 v[20:23], v[10:11], off
	s_mov_b64 s[20:21], 0
	s_waitcnt vmcnt(1)
	v_subrev_co_u32_e32 v8, vcc, s33, v8
	v_mul_lo_u32 v14, v8, s15
	s_waitcnt vmcnt(0)
	v_mul_f64 v[10:11], v[22:23], -v[2:3]
	v_mul_f64 v[12:13], v[4:5], v[22:23]
	v_subb_co_u32_e32 v9, vcc, v9, v18, vcc
	v_fmac_f64_e32 v[10:11], v[4:5], v[20:21]
	v_fmac_f64_e32 v[12:13], v[2:3], v[20:21]
	v_and_b32_e32 v14, 0xff, v14
	s_branch .LBB157_35
.LBB157_34:                             ;   in Loop: Header=BB157_35 Depth=2
	s_or_b64 exec, exec, s[22:23]
	s_xor_b64 s[22:23], s[24:25], -1
	s_and_b64 s[22:23], exec, s[22:23]
	s_or_b64 s[20:21], s[22:23], s[20:21]
	s_andn2_b64 exec, exec, s[20:21]
	s_cbranch_execz .LBB157_32
.LBB157_35:                             ;   Parent Loop BB157_33 Depth=1
                                        ; =>  This Inner Loop Header: Depth=2
	v_lshl_add_u32 v20, v14, 3, 0
	ds_read_b64 v[16:17], v20
                                        ; implicit-def: $sgpr24_sgpr25
	s_waitcnt lgkmcnt(0)
	v_cmp_ne_u64_e32 vcc, v[16:17], v[8:9]
	s_and_saveexec_b64 s[22:23], vcc
	s_xor_b64 s[22:23], exec, s[22:23]
	s_cbranch_execz .LBB157_43
; %bb.36:                               ;   in Loop: Header=BB157_35 Depth=2
	v_cmp_ne_u64_e32 vcc, s[40:41], v[16:17]
                                        ; implicit-def: $sgpr24_sgpr25
	s_and_saveexec_b64 s[26:27], vcc
	s_xor_b64 s[26:27], exec, s[26:27]
; %bb.37:                               ;   in Loop: Header=BB157_35 Depth=2
	v_add_u32_e32 v14, 1, v14
	v_and_b32_e32 v14, 0xff, v14
	s_mov_b64 s[24:25], -1
                                        ; implicit-def: $vgpr20
; %bb.38:                               ;   in Loop: Header=BB157_35 Depth=2
	s_andn2_saveexec_b64 s[26:27], s[26:27]
	s_cbranch_execz .LBB157_42
; %bb.39:                               ;   in Loop: Header=BB157_35 Depth=2
	v_pk_mov_b32 v[16:17], s[40:41], s[40:41] op_sel:[0,1]
	ds_cmpst_rtn_b64 v[16:17], v20, v[16:17], v[8:9]
	s_mov_b64 s[28:29], -1
	s_waitcnt lgkmcnt(0)
	v_cmp_eq_u64_e32 vcc, s[40:41], v[16:17]
	s_and_saveexec_b64 s[34:35], vcc
	s_cbranch_execz .LBB157_41
; %bb.40:                               ;   in Loop: Header=BB157_35 Depth=2
	v_lshl_add_u32 v16, v14, 3, v20
	ds_add_f64 v16, v[10:11] offset:2048
	ds_add_f64 v16, v[12:13] offset:2056
	s_xor_b64 s[28:29], exec, -1
.LBB157_41:                             ;   in Loop: Header=BB157_35 Depth=2
	s_or_b64 exec, exec, s[34:35]
	s_andn2_b64 s[24:25], s[24:25], exec
	s_and_b64 s[28:29], s[28:29], exec
	s_or_b64 s[24:25], s[24:25], s[28:29]
.LBB157_42:                             ;   in Loop: Header=BB157_35 Depth=2
	s_or_b64 exec, exec, s[26:27]
	s_and_b64 s[24:25], s[24:25], exec
                                        ; implicit-def: $vgpr20
.LBB157_43:                             ;   in Loop: Header=BB157_35 Depth=2
	s_andn2_saveexec_b64 s[22:23], s[22:23]
	s_cbranch_execz .LBB157_34
; %bb.44:                               ;   in Loop: Header=BB157_35 Depth=2
	v_lshl_add_u32 v16, v14, 3, v20
	ds_add_f64 v16, v[10:11] offset:2048
	ds_add_f64 v16, v[12:13] offset:2056
	s_andn2_b64 s[24:25], s[24:25], exec
	s_branch .LBB157_34
.LBB157_45:
	s_or_b64 exec, exec, s[8:9]
.LBB157_46:
	s_waitcnt lgkmcnt(0)
	s_barrier
	s_and_saveexec_b64 s[12:13], s[4:5]
	s_cbranch_execz .LBB157_55
; %bb.47:
	s_waitcnt vmcnt(0)
	v_mbcnt_lo_u32_b32 v2, -1, 0
	v_mbcnt_hi_u32_b32 v2, -1, v2
	v_sub_u32_e32 v2, 63, v2
	v_lshrrev_b64 v[4:5], v2, -1
	v_lshrrev_b32_e32 v2, 3, v0
	v_and_b32_e32 v2, 8, v2
	s_movk_i32 s6, 0x7f
	v_mov_b32_e32 v3, 0
	v_add_u32_e32 v12, 0, v2
	v_cmp_lt_u32_e64 s[4:5], 63, v0
	v_cmp_eq_u32_e64 s[6:7], s6, v0
	v_add_u32_e32 v13, 0x800, v27
	v_or_b32_e32 v14, 0xffffff80, v0
	s_mov_b64 s[14:15], 0
	v_pk_mov_b32 v[6:7], 0, 0
	s_branch .LBB157_49
.LBB157_48:                             ;   in Loop: Header=BB157_49 Depth=1
	s_or_b64 exec, exec, s[8:9]
	s_waitcnt lgkmcnt(0)
	s_barrier
	ds_read_b64 v[8:9], v3 offset:6152
	v_add_u32_e32 v13, 0x800, v13
	v_add_u32_e32 v1, 0x400, v1
	s_waitcnt lgkmcnt(0)
	v_add_co_u32_e32 v6, vcc, v8, v6
	v_addc_co_u32_e32 v7, vcc, v9, v7, vcc
	v_add_co_u32_e32 v14, vcc, 0x80, v14
	s_xor_b64 s[8:9], vcc, -1
	s_and_b64 s[8:9], exec, s[8:9]
	s_or_b64 s[14:15], s[8:9], s[14:15]
	s_andn2_b64 exec, exec, s[14:15]
	s_cbranch_execz .LBB157_55
.LBB157_49:                             ; =>This Inner Loop Header: Depth=1
	ds_read2_b64 v[16:19], v13 offset1:1
	ds_read_b64 v[10:11], v1
	s_waitcnt lgkmcnt(1)
	buffer_store_dword v19, off, s[0:3], 0 offset:12
	buffer_store_dword v18, off, s[0:3], 0 offset:8
	;; [unrolled: 1-line block ×3, first 2 shown]
	buffer_store_dword v16, off, s[0:3], 0
	s_waitcnt lgkmcnt(0)
	v_cmp_gt_i64_e32 vcc, s[40:41], v[10:11]
	v_and_b32_e32 v9, vcc_lo, v4
	s_bcnt1_i32_b64 s8, vcc
	v_and_b32_e32 v8, vcc_hi, v5
	v_bcnt_u32_b32 v9, v9, 0
	v_mov_b32_e32 v2, s8
	v_bcnt_u32_b32 v8, v8, v9
	s_barrier
	ds_write_b64 v12, v[2:3] offset:6144
	s_waitcnt lgkmcnt(0)
	s_barrier
	s_and_saveexec_b64 s[16:17], s[4:5]
	s_cbranch_execnz .LBB157_52
; %bb.50:                               ;   in Loop: Header=BB157_49 Depth=1
	s_or_b64 exec, exec, s[16:17]
	s_and_saveexec_b64 s[8:9], vcc
	s_cbranch_execnz .LBB157_53
.LBB157_51:                             ;   in Loop: Header=BB157_49 Depth=1
	s_or_b64 exec, exec, s[8:9]
	s_and_saveexec_b64 s[8:9], s[6:7]
	s_cbranch_execz .LBB157_48
	s_branch .LBB157_54
.LBB157_52:                             ;   in Loop: Header=BB157_49 Depth=1
	ds_read_b64 v[16:17], v3 offset:6144
	s_waitcnt lgkmcnt(0)
	v_add_co_u32_e64 v8, s[8:9], v16, v8
	s_or_b64 exec, exec, s[16:17]
	s_and_saveexec_b64 s[8:9], vcc
	s_cbranch_execz .LBB157_51
.LBB157_53:                             ;   in Loop: Header=BB157_49 Depth=1
	buffer_load_dword v16, off, s[0:3], 0
	buffer_load_dword v17, off, s[0:3], 0 offset:4
	buffer_load_dword v18, off, s[0:3], 0 offset:8
	;; [unrolled: 1-line block ×3, first 2 shown]
	v_add3_u32 v2, v6, -1, v8
	v_lshl_add_u32 v9, v2, 3, 0
	v_lshl_add_u32 v2, v2, 4, 0
	v_add_u32_e32 v2, 0x800, v2
	ds_write_b64 v9, v[10:11]
	s_waitcnt vmcnt(0)
	ds_write2_b64 v2, v[16:17], v[18:19] offset1:1
	s_or_b64 exec, exec, s[8:9]
	s_and_saveexec_b64 s[8:9], s[6:7]
	s_cbranch_execz .LBB157_48
.LBB157_54:                             ;   in Loop: Header=BB157_49 Depth=1
	v_ashrrev_i32_e32 v9, 31, v8
	ds_write_b64 v3, v[8:9] offset:6152
	s_branch .LBB157_48
.LBB157_55:
	s_or_b64 exec, exec, s[12:13]
	s_lshl_b64 s[4:5], s[10:11], 3
	s_add_u32 s4, s18, s4
	s_addc_u32 s5, s19, s5
	s_load_dwordx4 s[4:7], s[4:5], 0x0
	v_mov_b32_e32 v1, 0
	s_waitcnt lgkmcnt(0)
	s_sub_u32 s8, s6, s4
	s_subb_u32 s9, s7, s5
	v_cmp_gt_i64_e32 vcc, s[8:9], v[0:1]
	s_and_saveexec_b64 s[10:11], vcc
	s_cbranch_execz .LBB157_65
; %bb.56:
	s_sub_u32 s10, s4, s30
	s_subb_u32 s11, s5, 0
	s_and_b32 s12, s8, 7
	s_sub_u32 s4, s4, s6
	s_mov_b32 s20, 0
	s_subb_u32 s5, s5, s7
	s_mov_b32 s13, s20
	s_and_b32 s6, s8, -8
	v_cmp_lt_u64_e64 s[4:5], s[4:5], -7
	s_cmp_lg_u64 s[12:13], 0
	s_waitcnt vmcnt(0)
	v_cndmask_b32_e64 v2, 0, 1, s[4:5]
	s_mov_b32 s7, s9
	s_mov_b64 s[14:15], 0
	s_cselect_b64 s[16:17], -1, 0
	v_cmp_ne_u32_e64 s[4:5], 1, v2
	s_movk_i32 s21, 0x800
	s_branch .LBB157_58
.LBB157_57:                             ;   in Loop: Header=BB157_58 Depth=1
	v_lshlrev_b32_e32 v7, 3, v0
	v_add3_u32 v8, v6, v7, s21
	v_mov_b32_e32 v6, s20
	s_waitcnt lgkmcnt(0)
	v_add_co_u32_e32 v2, vcc, s30, v2
	v_addc_co_u32_e32 v3, vcc, v3, v6, vcc
	v_lshlrev_b64 v[6:7], 3, v[4:5]
	v_mov_b32_e32 v9, s37
	v_add_co_u32_e32 v6, vcc, s36, v6
	v_addc_co_u32_e32 v7, vcc, v9, v7, vcc
	global_store_dwordx2 v[6:7], v[2:3], off
	v_lshlrev_b64 v[2:3], 4, v[4:5]
	v_mov_b32_e32 v4, s39
	v_add_co_u32_e32 v6, vcc, s38, v2
	v_addc_co_u32_e32 v7, vcc, v4, v3, vcc
	ds_read2_b64 v[2:5], v8 offset1:1
	v_add_co_u32_e32 v0, vcc, 0x80, v0
	v_addc_co_u32_e32 v1, vcc, 0, v1, vcc
	v_cmp_le_i64_e32 vcc, s[8:9], v[0:1]
	s_or_b64 s[14:15], vcc, s[14:15]
	s_waitcnt lgkmcnt(0)
	global_store_dwordx4 v[6:7], v[2:5], off
	s_andn2_b64 exec, exec, s[14:15]
	s_cbranch_execz .LBB157_65
.LBB157_58:                             ; =>This Loop Header: Depth=1
                                        ;     Child Loop BB157_60 Depth 2
                                        ;     Child Loop BB157_64 Depth 2
	v_lshl_add_u32 v6, v0, 3, 0
	ds_read_b64 v[2:3], v6
	s_and_b64 vcc, exec, s[4:5]
	v_pk_mov_b32 v[4:5], s[10:11], s[10:11] op_sel:[0,1]
	s_mov_b64 s[18:19], 0
	s_cbranch_vccnz .LBB157_62
; %bb.59:                               ;   in Loop: Header=BB157_58 Depth=1
	s_mov_b32 s22, 0
	v_pk_mov_b32 v[4:5], s[10:11], s[10:11] op_sel:[0,1]
.LBB157_60:                             ;   Parent Loop BB157_58 Depth=1
                                        ; =>  This Inner Loop Header: Depth=2
	v_mov_b32_e32 v7, s22
	ds_read2_b64 v[8:11], v7 offset1:1
	ds_read2_b64 v[12:15], v7 offset0:2 offset1:3
	ds_read2_b64 v[16:19], v7 offset0:4 offset1:5
	ds_read2_b64 v[20:23], v7 offset0:6 offset1:7
	s_add_u32 s18, s18, 8
	s_waitcnt lgkmcnt(3)
	v_cmp_gt_i64_e32 vcc, v[2:3], v[8:9]
	v_cndmask_b32_e64 v7, 0, 1, vcc
	v_cmp_gt_i64_e32 vcc, v[2:3], v[10:11]
	v_cndmask_b32_e64 v8, 0, 1, vcc
	s_waitcnt lgkmcnt(2)
	v_cmp_gt_i64_e32 vcc, v[2:3], v[12:13]
	v_cndmask_b32_e64 v9, 0, 1, vcc
	v_cmp_gt_i64_e32 vcc, v[2:3], v[14:15]
	v_cndmask_b32_e64 v10, 0, 1, vcc
	;; [unrolled: 5-line block ×4, first 2 shown]
	v_add_co_u32_e32 v4, vcc, v4, v7
	v_addc_co_u32_e32 v5, vcc, 0, v5, vcc
	v_add_co_u32_e32 v4, vcc, v4, v8
	v_addc_co_u32_e32 v5, vcc, 0, v5, vcc
	;; [unrolled: 2-line block ×7, first 2 shown]
	s_addc_u32 s19, s19, 0
	s_add_i32 s22, s22, 64
	v_add_co_u32_e32 v4, vcc, v4, v14
	s_cmp_eq_u64 s[6:7], s[18:19]
	v_addc_co_u32_e32 v5, vcc, 0, v5, vcc
	s_cbranch_scc0 .LBB157_60
; %bb.61:                               ;   in Loop: Header=BB157_58 Depth=1
	s_mov_b64 s[18:19], s[6:7]
.LBB157_62:                             ;   in Loop: Header=BB157_58 Depth=1
	s_andn2_b64 vcc, exec, s[16:17]
	s_cbranch_vccnz .LBB157_57
; %bb.63:                               ;   in Loop: Header=BB157_58 Depth=1
	s_lshl_b32 s18, s18, 3
	s_add_i32 s22, s18, 0
	s_mov_b64 s[18:19], s[12:13]
.LBB157_64:                             ;   Parent Loop BB157_58 Depth=1
                                        ; =>  This Inner Loop Header: Depth=2
	v_mov_b32_e32 v7, s22
	ds_read_b64 v[8:9], v7
	s_add_i32 s22, s22, 8
	s_add_u32 s18, s18, -1
	s_addc_u32 s19, s19, -1
	s_cmp_lg_u64 s[18:19], 0
	s_waitcnt lgkmcnt(0)
	v_cmp_gt_i64_e32 vcc, v[2:3], v[8:9]
	v_cndmask_b32_e64 v7, 0, 1, vcc
	v_add_co_u32_e32 v4, vcc, v4, v7
	v_addc_co_u32_e32 v5, vcc, 0, v5, vcc
	s_cbranch_scc1 .LBB157_64
	s_branch .LBB157_57
.LBB157_65:
	s_endpgm
	.section	.rodata,"a",@progbits
	.p2align	6, 0x0
	.amdhsa_kernel _ZN9rocsparseL26csrgemm_fill_block_per_rowILj128ELj16ELj256ELj137ELj64Ell21rocsparse_complex_numIdEEEvT5_PKS3_S5_NS_24const_host_device_scalarIT6_EEPKT4_S5_PKS7_SB_S5_SD_S8_SB_S5_SD_SB_PS3_PS7_21rocsparse_index_base_SG_SG_SG_bbb
		.amdhsa_group_segment_fixed_size 0
		.amdhsa_private_segment_fixed_size 40
		.amdhsa_kernarg_size 172
		.amdhsa_user_sgpr_count 8
		.amdhsa_user_sgpr_private_segment_buffer 1
		.amdhsa_user_sgpr_dispatch_ptr 0
		.amdhsa_user_sgpr_queue_ptr 0
		.amdhsa_user_sgpr_kernarg_segment_ptr 1
		.amdhsa_user_sgpr_dispatch_id 0
		.amdhsa_user_sgpr_flat_scratch_init 1
		.amdhsa_user_sgpr_kernarg_preload_length 0
		.amdhsa_user_sgpr_kernarg_preload_offset 0
		.amdhsa_user_sgpr_private_segment_size 0
		.amdhsa_uses_dynamic_stack 0
		.amdhsa_system_sgpr_private_segment_wavefront_offset 1
		.amdhsa_system_sgpr_workgroup_id_x 1
		.amdhsa_system_sgpr_workgroup_id_y 0
		.amdhsa_system_sgpr_workgroup_id_z 0
		.amdhsa_system_sgpr_workgroup_info 0
		.amdhsa_system_vgpr_workitem_id 0
		.amdhsa_next_free_vgpr 40
		.amdhsa_next_free_sgpr 61
		.amdhsa_accum_offset 40
		.amdhsa_reserve_vcc 1
		.amdhsa_reserve_flat_scratch 1
		.amdhsa_float_round_mode_32 0
		.amdhsa_float_round_mode_16_64 0
		.amdhsa_float_denorm_mode_32 3
		.amdhsa_float_denorm_mode_16_64 3
		.amdhsa_dx10_clamp 1
		.amdhsa_ieee_mode 1
		.amdhsa_fp16_overflow 0
		.amdhsa_tg_split 0
		.amdhsa_exception_fp_ieee_invalid_op 0
		.amdhsa_exception_fp_denorm_src 0
		.amdhsa_exception_fp_ieee_div_zero 0
		.amdhsa_exception_fp_ieee_overflow 0
		.amdhsa_exception_fp_ieee_underflow 0
		.amdhsa_exception_fp_ieee_inexact 0
		.amdhsa_exception_int_div_zero 0
	.end_amdhsa_kernel
	.section	.text._ZN9rocsparseL26csrgemm_fill_block_per_rowILj128ELj16ELj256ELj137ELj64Ell21rocsparse_complex_numIdEEEvT5_PKS3_S5_NS_24const_host_device_scalarIT6_EEPKT4_S5_PKS7_SB_S5_SD_S8_SB_S5_SD_SB_PS3_PS7_21rocsparse_index_base_SG_SG_SG_bbb,"axG",@progbits,_ZN9rocsparseL26csrgemm_fill_block_per_rowILj128ELj16ELj256ELj137ELj64Ell21rocsparse_complex_numIdEEEvT5_PKS3_S5_NS_24const_host_device_scalarIT6_EEPKT4_S5_PKS7_SB_S5_SD_S8_SB_S5_SD_SB_PS3_PS7_21rocsparse_index_base_SG_SG_SG_bbb,comdat
.Lfunc_end157:
	.size	_ZN9rocsparseL26csrgemm_fill_block_per_rowILj128ELj16ELj256ELj137ELj64Ell21rocsparse_complex_numIdEEEvT5_PKS3_S5_NS_24const_host_device_scalarIT6_EEPKT4_S5_PKS7_SB_S5_SD_S8_SB_S5_SD_SB_PS3_PS7_21rocsparse_index_base_SG_SG_SG_bbb, .Lfunc_end157-_ZN9rocsparseL26csrgemm_fill_block_per_rowILj128ELj16ELj256ELj137ELj64Ell21rocsparse_complex_numIdEEEvT5_PKS3_S5_NS_24const_host_device_scalarIT6_EEPKT4_S5_PKS7_SB_S5_SD_S8_SB_S5_SD_SB_PS3_PS7_21rocsparse_index_base_SG_SG_SG_bbb
                                        ; -- End function
	.section	.AMDGPU.csdata,"",@progbits
; Kernel info:
; codeLenInByte = 2920
; NumSgprs: 67
; NumVgprs: 40
; NumAgprs: 0
; TotalNumVgprs: 40
; ScratchSize: 40
; MemoryBound: 0
; FloatMode: 240
; IeeeMode: 1
; LDSByteSize: 0 bytes/workgroup (compile time only)
; SGPRBlocks: 8
; VGPRBlocks: 4
; NumSGPRsForWavesPerEU: 67
; NumVGPRsForWavesPerEU: 40
; AccumOffset: 40
; Occupancy: 8
; WaveLimiterHint : 1
; COMPUTE_PGM_RSRC2:SCRATCH_EN: 1
; COMPUTE_PGM_RSRC2:USER_SGPR: 8
; COMPUTE_PGM_RSRC2:TRAP_HANDLER: 0
; COMPUTE_PGM_RSRC2:TGID_X_EN: 1
; COMPUTE_PGM_RSRC2:TGID_Y_EN: 0
; COMPUTE_PGM_RSRC2:TGID_Z_EN: 0
; COMPUTE_PGM_RSRC2:TIDIG_COMP_CNT: 0
; COMPUTE_PGM_RSRC3_GFX90A:ACCUM_OFFSET: 9
; COMPUTE_PGM_RSRC3_GFX90A:TG_SPLIT: 0
	.section	.text._ZN9rocsparseL26csrgemm_fill_block_per_rowILj256ELj32ELj512ELj137ELj32Ell21rocsparse_complex_numIdEEEvT5_PKS3_S5_NS_24const_host_device_scalarIT6_EEPKT4_S5_PKS7_SB_S5_SD_S8_SB_S5_SD_SB_PS3_PS7_21rocsparse_index_base_SG_SG_SG_bbb,"axG",@progbits,_ZN9rocsparseL26csrgemm_fill_block_per_rowILj256ELj32ELj512ELj137ELj32Ell21rocsparse_complex_numIdEEEvT5_PKS3_S5_NS_24const_host_device_scalarIT6_EEPKT4_S5_PKS7_SB_S5_SD_S8_SB_S5_SD_SB_PS3_PS7_21rocsparse_index_base_SG_SG_SG_bbb,comdat
	.globl	_ZN9rocsparseL26csrgemm_fill_block_per_rowILj256ELj32ELj512ELj137ELj32Ell21rocsparse_complex_numIdEEEvT5_PKS3_S5_NS_24const_host_device_scalarIT6_EEPKT4_S5_PKS7_SB_S5_SD_S8_SB_S5_SD_SB_PS3_PS7_21rocsparse_index_base_SG_SG_SG_bbb ; -- Begin function _ZN9rocsparseL26csrgemm_fill_block_per_rowILj256ELj32ELj512ELj137ELj32Ell21rocsparse_complex_numIdEEEvT5_PKS3_S5_NS_24const_host_device_scalarIT6_EEPKT4_S5_PKS7_SB_S5_SD_S8_SB_S5_SD_SB_PS3_PS7_21rocsparse_index_base_SG_SG_SG_bbb
	.p2align	8
	.type	_ZN9rocsparseL26csrgemm_fill_block_per_rowILj256ELj32ELj512ELj137ELj32Ell21rocsparse_complex_numIdEEEvT5_PKS3_S5_NS_24const_host_device_scalarIT6_EEPKT4_S5_PKS7_SB_S5_SD_S8_SB_S5_SD_SB_PS3_PS7_21rocsparse_index_base_SG_SG_SG_bbb,@function
_ZN9rocsparseL26csrgemm_fill_block_per_rowILj256ELj32ELj512ELj137ELj32Ell21rocsparse_complex_numIdEEEvT5_PKS3_S5_NS_24const_host_device_scalarIT6_EEPKT4_S5_PKS7_SB_S5_SD_S8_SB_S5_SD_SB_PS3_PS7_21rocsparse_index_base_SG_SG_SG_bbb: ; @_ZN9rocsparseL26csrgemm_fill_block_per_rowILj256ELj32ELj512ELj137ELj32Ell21rocsparse_complex_numIdEEEvT5_PKS3_S5_NS_24const_host_device_scalarIT6_EEPKT4_S5_PKS7_SB_S5_SD_S8_SB_S5_SD_SB_PS3_PS7_21rocsparse_index_base_SG_SG_SG_bbb
; %bb.0:
	s_add_u32 flat_scratch_lo, s6, s9
	s_addc_u32 flat_scratch_hi, s7, 0
	s_add_u32 s0, s0, s9
	s_load_dword s9, s[4:5], 0xa8
	s_load_dwordx4 s[16:19], s[4:5], 0x18
	s_load_dwordx4 s[12:15], s[4:5], 0x58
	s_addc_u32 s1, s1, 0
	v_pk_mov_b32 v[2:3], 0, 0
	s_waitcnt lgkmcnt(0)
	s_bitcmp1_b32 s9, 0
	v_mov_b32_e32 v1, s17
	s_cselect_b64 s[50:51], -1, 0
	s_bitcmp1_b32 s9, 16
	buffer_store_dword v1, off, s[0:3], 0 offset:20
	v_mov_b32_e32 v1, s16
	s_cselect_b64 s[6:7], -1, 0
	buffer_store_dword v1, off, s[0:3], 0 offset:16
	v_mov_b32_e32 v1, s13
	buffer_store_dword v1, off, s[0:3], 0 offset:28
	v_mov_b32_e32 v1, s12
	s_xor_b64 s[10:11], s[6:7], -1
	buffer_store_dword v1, off, s[0:3], 0 offset:24
	v_cndmask_b32_e64 v1, 0, 1, s[10:11]
	s_bitcmp0_b32 s9, 0
	v_cmp_ne_u32_e64 s[10:11], 1, v1
	v_pk_mov_b32 v[6:7], v[2:3], v[2:3] op_sel:[0,1]
	v_pk_mov_b32 v[8:9], v[2:3], v[2:3] op_sel:[0,1]
	s_cbranch_scc1 .LBB158_3
; %bb.1:
	s_mov_b64 s[20:21], src_private_base
	s_and_b64 s[22:23], s[6:7], exec
	s_cselect_b32 s20, s21, s17
	v_mov_b32_e32 v1, 16
	v_mov_b32_e32 v4, s16
	v_cndmask_b32_e64 v4, v4, v1, s[6:7]
	v_mov_b32_e32 v5, s20
	flat_load_dwordx2 v[6:7], v[4:5]
	s_and_b64 vcc, exec, s[10:11]
	v_pk_mov_b32 v[8:9], s[18:19], s[18:19] op_sel:[0,1]
	s_cbranch_vccnz .LBB158_3
; %bb.2:
	v_pk_mov_b32 v[4:5], s[16:17], s[16:17] op_sel:[0,1]
	flat_load_dwordx2 v[8:9], v[4:5] offset:8
.LBB158_3:
	s_load_dwordx4 s[36:39], s[4:5], 0x98
	s_bitcmp1_b32 s9, 8
	s_cselect_b64 s[48:49], -1, 0
	s_bfe_u32 s9, s9, 0x10008
	s_cmp_eq_u32 s9, 0
	v_pk_mov_b32 v[4:5], v[2:3], v[2:3] op_sel:[0,1]
	s_cbranch_scc1 .LBB158_6
; %bb.4:
	s_mov_b64 s[16:17], src_private_base
	s_and_b64 s[18:19], s[6:7], exec
	s_cselect_b32 s9, s17, s13
	v_mov_b32_e32 v1, 24
	v_mov_b32_e32 v2, s12
	v_cndmask_b32_e64 v2, v2, v1, s[6:7]
	v_mov_b32_e32 v3, s9
	flat_load_dwordx2 v[4:5], v[2:3]
	s_and_b64 vcc, exec, s[10:11]
	v_pk_mov_b32 v[2:3], s[14:15], s[14:15] op_sel:[0,1]
	s_cbranch_vccnz .LBB158_6
; %bb.5:
	v_pk_mov_b32 v[2:3], s[12:13], s[12:13] op_sel:[0,1]
	flat_load_dwordx2 v[2:3], v[2:3] offset:8
.LBB158_6:
	s_load_dwordx4 s[40:43], s[4:5], 0x88
	s_load_dwordx8 s[16:23], s[4:5], 0x68
	s_load_dwordx4 s[12:15], s[4:5], 0x48
	s_load_dwordx4 s[44:47], s[4:5], 0x0
	s_load_dwordx2 s[6:7], s[4:5], 0x10
	s_load_dwordx8 s[24:31], s[4:5], 0x28
	s_movk_i32 s4, 0x200
	v_cmp_gt_u32_e64 s[4:5], s4, v0
	v_lshl_add_u32 v27, v0, 4, 0
	v_lshl_add_u32 v1, v0, 3, 0
	s_and_saveexec_b64 s[10:11], s[4:5]
	s_cbranch_execz .LBB158_9
; %bb.7:
	s_mov_b32 s52, 0
	s_mov_b32 s53, s52
	s_mov_b32 s54, s52
	s_mov_b32 s55, s52
	v_add_u32_e32 v16, 0x1000, v27
	v_or_b32_e32 v17, 0xffffff00, v0
	v_lshl_add_u32 v18, v0, 3, 0
	s_mov_b64 s[34:35], 0
	s_waitcnt lgkmcnt(0)
	v_pk_mov_b32 v[10:11], s[44:45], s[44:45] op_sel:[0,1]
	v_pk_mov_b32 v[12:13], s[52:53], s[52:53] op_sel:[0,1]
	;; [unrolled: 1-line block ×3, first 2 shown]
.LBB158_8:                              ; =>This Inner Loop Header: Depth=1
	v_add_co_u32_e32 v17, vcc, 0x100, v17
	s_xor_b64 s[52:53], vcc, -1
	s_and_b64 s[52:53], exec, s[52:53]
	ds_write_b64 v18, v[10:11]
	ds_write2_b64 v16, v[12:13], v[14:15] offset1:1
	v_add_u32_e32 v16, 0x1000, v16
	s_or_b64 s[34:35], s[52:53], s[34:35]
	v_add_u32_e32 v18, 0x800, v18
	s_andn2_b64 exec, exec, s[34:35]
	s_cbranch_execnz .LBB158_8
.LBB158_9:
	s_or_b64 exec, exec, s[10:11]
	s_waitcnt lgkmcnt(0)
	s_barrier
	s_load_dwordx2 s[10:11], s[46:47], 0x0
	s_mov_b32 s9, 0
	v_lshrrev_b32_e32 v30, 5, v0
	s_waitcnt lgkmcnt(0)
	s_lshl_b64 s[10:11], s[10:11], 3
	s_add_u32 s10, s6, s10
	s_addc_u32 s11, s7, s11
	s_lshl_b64 s[6:7], s[8:9], 3
	s_add_u32 s6, s10, s6
	s_addc_u32 s7, s11, s7
	s_load_dwordx2 s[34:35], s[6:7], 0x0
	s_and_b64 vcc, exec, s[50:51]
	s_cbranch_vccz .LBB158_29
; %bb.10:
	s_waitcnt lgkmcnt(0)
	s_lshl_b64 s[6:7], s[34:35], 3
	s_add_u32 s6, s24, s6
	s_addc_u32 s7, s25, s7
	s_load_dwordx4 s[52:55], s[6:7], 0x0
	v_subrev_co_u32_e32 v10, vcc, s36, v30
	v_subb_co_u32_e64 v11, s[10:11], 0, 0, vcc
	s_waitcnt lgkmcnt(0)
	s_sub_u32 s6, s54, s36
	v_mov_b32_e32 v12, s53
	v_add_co_u32_e32 v10, vcc, s52, v10
	s_subb_u32 s7, s55, 0
	v_addc_co_u32_e32 v11, vcc, v12, v11, vcc
	v_cmp_gt_i64_e32 vcc, s[6:7], v[10:11]
	s_and_saveexec_b64 s[10:11], vcc
	s_cbranch_execz .LBB158_28
; %bb.11:
	v_and_b32_e32 v12, 31, v0
	v_subrev_co_u32_e32 v31, vcc, s37, v12
	s_mov_b32 s8, 0
	v_subb_co_u32_e64 v32, s[24:25], 0, 0, vcc
	s_mov_b32 s33, s36
	s_mov_b32 s60, s37
	s_mov_b64 s[24:25], 0
	v_mov_b32_e32 v33, s27
	v_mov_b32_e32 v34, s9
	;; [unrolled: 1-line block ×4, first 2 shown]
	s_movk_i32 s27, 0x89
	s_branch .LBB158_13
.LBB158_12:                             ;   in Loop: Header=BB158_13 Depth=1
	s_or_b64 exec, exec, s[8:9]
	v_add_co_u32_e32 v10, vcc, 8, v10
	v_addc_co_u32_e32 v11, vcc, 0, v11, vcc
	v_cmp_le_i64_e32 vcc, s[6:7], v[10:11]
	s_or_b64 s[24:25], vcc, s[24:25]
	s_andn2_b64 exec, exec, s[24:25]
	s_cbranch_execz .LBB158_28
.LBB158_13:                             ; =>This Loop Header: Depth=1
                                        ;     Child Loop BB158_16 Depth 2
                                        ;       Child Loop BB158_18 Depth 3
	v_lshlrev_b64 v[12:13], 3, v[10:11]
	v_add_co_u32_e32 v12, vcc, s26, v12
	v_addc_co_u32_e32 v13, vcc, v33, v13, vcc
	global_load_dwordx2 v[12:13], v[12:13], off
	s_waitcnt vmcnt(0)
	v_subrev_co_u32_e32 v12, vcc, s33, v12
	v_subb_co_u32_e32 v13, vcc, v13, v34, vcc
	v_lshlrev_b64 v[12:13], 3, v[12:13]
	v_add_co_u32_e32 v12, vcc, s30, v12
	v_addc_co_u32_e32 v13, vcc, v35, v13, vcc
	global_load_dwordx4 v[14:17], v[12:13], off
	s_waitcnt vmcnt(0)
	v_subrev_co_u32_e32 v12, vcc, s60, v16
	v_subb_co_u32_e32 v13, vcc, v17, v36, vcc
	v_add_co_u32_e32 v14, vcc, v14, v31
	v_addc_co_u32_e32 v15, vcc, v15, v32, vcc
	v_cmp_lt_i64_e32 vcc, v[14:15], v[12:13]
	s_and_saveexec_b64 s[8:9], vcc
	s_cbranch_execz .LBB158_12
; %bb.14:                               ;   in Loop: Header=BB158_13 Depth=1
	v_lshlrev_b64 v[16:17], 4, v[10:11]
	v_mov_b32_e32 v18, s29
	v_add_co_u32_e32 v16, vcc, s28, v16
	v_addc_co_u32_e32 v17, vcc, v18, v17, vcc
	global_load_dwordx4 v[20:23], v[16:17], off
	s_mov_b64 s[36:37], 0
	s_waitcnt vmcnt(0)
	v_mul_f64 v[16:17], v[22:23], -v[8:9]
	v_mul_f64 v[18:19], v[6:7], v[22:23]
	v_fmac_f64_e32 v[16:17], v[6:7], v[20:21]
	v_fmac_f64_e32 v[18:19], v[8:9], v[20:21]
	s_branch .LBB158_16
.LBB158_15:                             ;   in Loop: Header=BB158_16 Depth=2
	s_or_b64 exec, exec, s[46:47]
	v_add_co_u32_e32 v14, vcc, 32, v14
	v_addc_co_u32_e32 v15, vcc, 0, v15, vcc
	v_cmp_ge_i64_e32 vcc, v[14:15], v[12:13]
	s_or_b64 s[36:37], vcc, s[36:37]
	s_andn2_b64 exec, exec, s[36:37]
	s_cbranch_execz .LBB158_12
.LBB158_16:                             ;   Parent Loop BB158_13 Depth=1
                                        ; =>  This Loop Header: Depth=2
                                        ;       Child Loop BB158_18 Depth 3
	v_lshlrev_b64 v[20:21], 3, v[14:15]
	v_mov_b32_e32 v22, s13
	v_add_co_u32_e32 v20, vcc, s12, v20
	v_addc_co_u32_e32 v21, vcc, v22, v21, vcc
	v_lshlrev_b64 v[22:23], 4, v[14:15]
	v_mov_b32_e32 v24, s15
	v_add_co_u32_e32 v22, vcc, s14, v22
	global_load_dwordx2 v[20:21], v[20:21], off
	v_addc_co_u32_e32 v23, vcc, v24, v23, vcc
	global_load_dwordx4 v[38:41], v[22:23], off
	s_mov_b64 s[46:47], 0
	s_waitcnt vmcnt(1)
	v_subrev_co_u32_e32 v20, vcc, s60, v20
	v_mul_lo_u32 v26, v20, s27
	s_waitcnt vmcnt(0)
	v_mul_f64 v[22:23], v[40:41], -v[18:19]
	v_mul_f64 v[24:25], v[16:17], v[40:41]
	v_subb_co_u32_e32 v21, vcc, v21, v36, vcc
	v_fmac_f64_e32 v[22:23], v[16:17], v[38:39]
	v_fmac_f64_e32 v[24:25], v[18:19], v[38:39]
	v_and_b32_e32 v26, 0x1ff, v26
	s_branch .LBB158_18
.LBB158_17:                             ;   in Loop: Header=BB158_18 Depth=3
	s_or_b64 exec, exec, s[50:51]
	s_xor_b64 s[50:51], s[52:53], -1
	s_and_b64 s[50:51], exec, s[50:51]
	s_or_b64 s[46:47], s[50:51], s[46:47]
	s_andn2_b64 exec, exec, s[46:47]
	s_cbranch_execz .LBB158_15
.LBB158_18:                             ;   Parent Loop BB158_13 Depth=1
                                        ;     Parent Loop BB158_16 Depth=2
                                        ; =>    This Inner Loop Header: Depth=3
	v_lshl_add_u32 v37, v26, 3, 0
	ds_read_b64 v[28:29], v37
                                        ; implicit-def: $sgpr52_sgpr53
	s_waitcnt lgkmcnt(0)
	v_cmp_ne_u64_e32 vcc, v[28:29], v[20:21]
	s_and_saveexec_b64 s[50:51], vcc
	s_xor_b64 s[50:51], exec, s[50:51]
	s_cbranch_execz .LBB158_26
; %bb.19:                               ;   in Loop: Header=BB158_18 Depth=3
	v_cmp_ne_u64_e32 vcc, s[44:45], v[28:29]
                                        ; implicit-def: $sgpr52_sgpr53
	s_and_saveexec_b64 s[54:55], vcc
	s_xor_b64 s[54:55], exec, s[54:55]
; %bb.20:                               ;   in Loop: Header=BB158_18 Depth=3
	v_add_u32_e32 v26, 1, v26
	v_and_b32_e32 v26, 0x1ff, v26
	s_mov_b64 s[52:53], -1
                                        ; implicit-def: $vgpr37
; %bb.21:                               ;   in Loop: Header=BB158_18 Depth=3
	s_andn2_saveexec_b64 s[54:55], s[54:55]
	s_cbranch_execz .LBB158_25
; %bb.22:                               ;   in Loop: Header=BB158_18 Depth=3
	v_pk_mov_b32 v[28:29], s[44:45], s[44:45] op_sel:[0,1]
	ds_cmpst_rtn_b64 v[28:29], v37, v[28:29], v[20:21]
	s_mov_b64 s[56:57], -1
	s_waitcnt lgkmcnt(0)
	v_cmp_eq_u64_e32 vcc, s[44:45], v[28:29]
	s_and_saveexec_b64 s[58:59], vcc
	s_cbranch_execz .LBB158_24
; %bb.23:                               ;   in Loop: Header=BB158_18 Depth=3
	v_lshl_add_u32 v28, v26, 3, v37
	ds_add_f64 v28, v[22:23] offset:4096
	ds_add_f64 v28, v[24:25] offset:4104
	s_xor_b64 s[56:57], exec, -1
.LBB158_24:                             ;   in Loop: Header=BB158_18 Depth=3
	s_or_b64 exec, exec, s[58:59]
	s_andn2_b64 s[52:53], s[52:53], exec
	s_and_b64 s[56:57], s[56:57], exec
	s_or_b64 s[52:53], s[52:53], s[56:57]
.LBB158_25:                             ;   in Loop: Header=BB158_18 Depth=3
	s_or_b64 exec, exec, s[54:55]
	s_and_b64 s[52:53], s[52:53], exec
                                        ; implicit-def: $vgpr37
.LBB158_26:                             ;   in Loop: Header=BB158_18 Depth=3
	s_andn2_saveexec_b64 s[50:51], s[50:51]
	s_cbranch_execz .LBB158_17
; %bb.27:                               ;   in Loop: Header=BB158_18 Depth=3
	v_lshl_add_u32 v28, v26, 3, v37
	ds_add_f64 v28, v[22:23] offset:4096
	ds_add_f64 v28, v[24:25] offset:4104
	s_andn2_b64 s[52:53], s[52:53], exec
	s_branch .LBB158_17
.LBB158_28:
	s_or_b64 exec, exec, s[10:11]
.LBB158_29:
	s_andn2_b64 vcc, exec, s[48:49]
	s_cbranch_vccnz .LBB158_46
; %bb.30:
	s_waitcnt lgkmcnt(0)
	s_lshl_b64 s[6:7], s[34:35], 3
	s_add_u32 s6, s16, s6
	s_addc_u32 s7, s17, s7
	s_load_dwordx4 s[8:11], s[6:7], 0x0
	s_waitcnt vmcnt(0)
	v_subrev_co_u32_e32 v6, vcc, s39, v0
	s_mov_b32 s12, 0
	s_waitcnt lgkmcnt(0)
	s_sub_u32 s6, s10, s39
	s_subb_u32 s7, s11, 0
	v_subb_co_u32_e64 v7, s[10:11], 0, 0, vcc
	v_mov_b32_e32 v8, s9
	v_add_co_u32_e32 v6, vcc, s8, v6
	v_addc_co_u32_e32 v7, vcc, v8, v7, vcc
	v_cmp_gt_i64_e32 vcc, s[6:7], v[6:7]
	s_and_saveexec_b64 s[8:9], vcc
	s_cbranch_execz .LBB158_45
; %bb.31:
	s_mov_b32 s30, s39
	s_mov_b64 s[10:11], 0
	v_mov_b32_e32 v15, s19
	v_mov_b32_e32 v18, s12
	v_mov_b32_e32 v19, s21
	s_movk_i32 s19, 0x89
	s_branch .LBB158_33
.LBB158_32:                             ;   in Loop: Header=BB158_33 Depth=1
	s_or_b64 exec, exec, s[12:13]
	v_add_co_u32_e32 v6, vcc, 0x100, v6
	v_addc_co_u32_e32 v7, vcc, 0, v7, vcc
	v_cmp_le_i64_e32 vcc, s[6:7], v[6:7]
	s_or_b64 s[10:11], vcc, s[10:11]
	s_andn2_b64 exec, exec, s[10:11]
	s_cbranch_execz .LBB158_45
.LBB158_33:                             ; =>This Loop Header: Depth=1
                                        ;     Child Loop BB158_35 Depth 2
	v_lshlrev_b64 v[8:9], 3, v[6:7]
	v_add_co_u32_e32 v8, vcc, s18, v8
	v_addc_co_u32_e32 v9, vcc, v15, v9, vcc
	v_lshlrev_b64 v[10:11], 4, v[6:7]
	v_add_co_u32_e32 v10, vcc, s20, v10
	global_load_dwordx2 v[8:9], v[8:9], off
	v_addc_co_u32_e32 v11, vcc, v19, v11, vcc
	global_load_dwordx4 v[20:23], v[10:11], off
	s_mov_b64 s[12:13], 0
	s_waitcnt vmcnt(1)
	v_subrev_co_u32_e32 v8, vcc, s30, v8
	v_mul_lo_u32 v14, v8, s19
	s_waitcnt vmcnt(0)
	v_mul_f64 v[10:11], v[22:23], -v[2:3]
	v_mul_f64 v[12:13], v[4:5], v[22:23]
	v_subb_co_u32_e32 v9, vcc, v9, v18, vcc
	v_fmac_f64_e32 v[10:11], v[4:5], v[20:21]
	v_fmac_f64_e32 v[12:13], v[2:3], v[20:21]
	v_and_b32_e32 v14, 0x1ff, v14
	s_branch .LBB158_35
.LBB158_34:                             ;   in Loop: Header=BB158_35 Depth=2
	s_or_b64 exec, exec, s[14:15]
	s_xor_b64 s[14:15], s[16:17], -1
	s_and_b64 s[14:15], exec, s[14:15]
	s_or_b64 s[12:13], s[14:15], s[12:13]
	s_andn2_b64 exec, exec, s[12:13]
	s_cbranch_execz .LBB158_32
.LBB158_35:                             ;   Parent Loop BB158_33 Depth=1
                                        ; =>  This Inner Loop Header: Depth=2
	v_lshl_add_u32 v20, v14, 3, 0
	ds_read_b64 v[16:17], v20
                                        ; implicit-def: $sgpr16_sgpr17
	s_waitcnt lgkmcnt(0)
	v_cmp_ne_u64_e32 vcc, v[16:17], v[8:9]
	s_and_saveexec_b64 s[14:15], vcc
	s_xor_b64 s[14:15], exec, s[14:15]
	s_cbranch_execz .LBB158_43
; %bb.36:                               ;   in Loop: Header=BB158_35 Depth=2
	v_cmp_ne_u64_e32 vcc, s[44:45], v[16:17]
                                        ; implicit-def: $sgpr16_sgpr17
	s_and_saveexec_b64 s[24:25], vcc
	s_xor_b64 s[24:25], exec, s[24:25]
; %bb.37:                               ;   in Loop: Header=BB158_35 Depth=2
	v_add_u32_e32 v14, 1, v14
	v_and_b32_e32 v14, 0x1ff, v14
	s_mov_b64 s[16:17], -1
                                        ; implicit-def: $vgpr20
; %bb.38:                               ;   in Loop: Header=BB158_35 Depth=2
	s_andn2_saveexec_b64 s[24:25], s[24:25]
	s_cbranch_execz .LBB158_42
; %bb.39:                               ;   in Loop: Header=BB158_35 Depth=2
	v_pk_mov_b32 v[16:17], s[44:45], s[44:45] op_sel:[0,1]
	ds_cmpst_rtn_b64 v[16:17], v20, v[16:17], v[8:9]
	s_mov_b64 s[26:27], -1
	s_waitcnt lgkmcnt(0)
	v_cmp_eq_u64_e32 vcc, s[44:45], v[16:17]
	s_and_saveexec_b64 s[28:29], vcc
	s_cbranch_execz .LBB158_41
; %bb.40:                               ;   in Loop: Header=BB158_35 Depth=2
	v_lshl_add_u32 v16, v14, 3, v20
	ds_add_f64 v16, v[10:11] offset:4096
	ds_add_f64 v16, v[12:13] offset:4104
	s_xor_b64 s[26:27], exec, -1
.LBB158_41:                             ;   in Loop: Header=BB158_35 Depth=2
	s_or_b64 exec, exec, s[28:29]
	s_andn2_b64 s[16:17], s[16:17], exec
	s_and_b64 s[26:27], s[26:27], exec
	s_or_b64 s[16:17], s[16:17], s[26:27]
.LBB158_42:                             ;   in Loop: Header=BB158_35 Depth=2
	s_or_b64 exec, exec, s[24:25]
	s_and_b64 s[16:17], s[16:17], exec
                                        ; implicit-def: $vgpr20
.LBB158_43:                             ;   in Loop: Header=BB158_35 Depth=2
	s_andn2_saveexec_b64 s[14:15], s[14:15]
	s_cbranch_execz .LBB158_34
; %bb.44:                               ;   in Loop: Header=BB158_35 Depth=2
	v_lshl_add_u32 v16, v14, 3, v20
	ds_add_f64 v16, v[10:11] offset:4096
	ds_add_f64 v16, v[12:13] offset:4104
	s_andn2_b64 s[16:17], s[16:17], exec
	s_branch .LBB158_34
.LBB158_45:
	s_or_b64 exec, exec, s[8:9]
.LBB158_46:
	s_waitcnt lgkmcnt(0)
	s_barrier
	s_and_saveexec_b64 s[20:21], s[4:5]
	s_cbranch_execz .LBB158_67
; %bb.47:
	s_waitcnt vmcnt(0)
	v_mbcnt_lo_u32_b32 v2, -1, 0
	v_mbcnt_hi_u32_b32 v2, -1, v2
	v_sub_u32_e32 v2, 63, v2
	s_movk_i32 s4, 0xff
	s_movk_i32 s10, 0x5f
	;; [unrolled: 1-line block ×6, first 2 shown]
	v_mov_b32_e32 v3, 0
	v_lshrrev_b64 v[4:5], v2, -1
	v_lshl_add_u32 v12, v30, 3, 0
	v_cmp_eq_u32_e64 s[4:5], s4, v0
	v_cmp_lt_u32_e64 s[6:7], 31, v0
	v_cmp_lt_u32_e64 s[8:9], 63, v0
	;; [unrolled: 1-line block ×7, first 2 shown]
	v_add_u32_e32 v13, 0x1000, v27
	v_or_b32_e32 v14, 0xffffff00, v0
	s_mov_b64 s[24:25], 0
	v_pk_mov_b32 v[6:7], 0, 0
	s_branch .LBB158_49
.LBB158_48:                             ;   in Loop: Header=BB158_49 Depth=1
	s_or_b64 exec, exec, s[26:27]
	s_waitcnt lgkmcnt(0)
	s_barrier
	ds_read_b64 v[8:9], v3 offset:12344
	v_add_u32_e32 v13, 0x1000, v13
	v_add_u32_e32 v1, 0x800, v1
	s_waitcnt lgkmcnt(0)
	v_add_co_u32_e32 v6, vcc, v8, v6
	v_addc_co_u32_e32 v7, vcc, v9, v7, vcc
	v_add_co_u32_e32 v14, vcc, 0x100, v14
	s_xor_b64 s[26:27], vcc, -1
	s_and_b64 s[26:27], exec, s[26:27]
	s_or_b64 s[24:25], s[26:27], s[24:25]
	s_andn2_b64 exec, exec, s[24:25]
	s_cbranch_execz .LBB158_67
.LBB158_49:                             ; =>This Inner Loop Header: Depth=1
	ds_read2_b64 v[16:19], v13 offset1:1
	ds_read_b64 v[10:11], v1
	s_waitcnt lgkmcnt(1)
	buffer_store_dword v19, off, s[0:3], 0 offset:12
	buffer_store_dword v18, off, s[0:3], 0 offset:8
	;; [unrolled: 1-line block ×3, first 2 shown]
	buffer_store_dword v16, off, s[0:3], 0
	s_waitcnt lgkmcnt(0)
	v_cmp_gt_i64_e32 vcc, s[44:45], v[10:11]
	v_and_b32_e32 v9, vcc_lo, v4
	s_bcnt1_i32_b64 s26, vcc
	v_and_b32_e32 v8, vcc_hi, v5
	v_bcnt_u32_b32 v9, v9, 0
	v_mov_b32_e32 v2, s26
	v_bcnt_u32_b32 v8, v8, v9
	s_barrier
	ds_write_b64 v12, v[2:3] offset:12288
	s_waitcnt lgkmcnt(0)
	s_barrier
	s_and_saveexec_b64 s[26:27], s[6:7]
	s_cbranch_execnz .LBB158_58
; %bb.50:                               ;   in Loop: Header=BB158_49 Depth=1
	s_or_b64 exec, exec, s[26:27]
	s_and_saveexec_b64 s[26:27], s[8:9]
	s_cbranch_execnz .LBB158_59
.LBB158_51:                             ;   in Loop: Header=BB158_49 Depth=1
	s_or_b64 exec, exec, s[26:27]
	s_and_saveexec_b64 s[26:27], s[10:11]
	s_cbranch_execnz .LBB158_60
.LBB158_52:                             ;   in Loop: Header=BB158_49 Depth=1
	s_or_b64 exec, exec, s[26:27]
	s_and_saveexec_b64 s[26:27], s[12:13]
	s_cbranch_execnz .LBB158_61
.LBB158_53:                             ;   in Loop: Header=BB158_49 Depth=1
	s_or_b64 exec, exec, s[26:27]
	s_and_saveexec_b64 s[26:27], s[14:15]
	s_cbranch_execnz .LBB158_62
.LBB158_54:                             ;   in Loop: Header=BB158_49 Depth=1
	s_or_b64 exec, exec, s[26:27]
	s_and_saveexec_b64 s[26:27], s[16:17]
	s_cbranch_execnz .LBB158_63
.LBB158_55:                             ;   in Loop: Header=BB158_49 Depth=1
	s_or_b64 exec, exec, s[26:27]
	s_and_saveexec_b64 s[26:27], s[18:19]
	s_cbranch_execnz .LBB158_64
.LBB158_56:                             ;   in Loop: Header=BB158_49 Depth=1
	s_or_b64 exec, exec, s[26:27]
	v_ashrrev_i32_e32 v9, 31, v8
	s_and_saveexec_b64 s[26:27], vcc
	s_cbranch_execnz .LBB158_65
.LBB158_57:                             ;   in Loop: Header=BB158_49 Depth=1
	s_or_b64 exec, exec, s[26:27]
	s_and_saveexec_b64 s[26:27], s[4:5]
	s_cbranch_execz .LBB158_48
	s_branch .LBB158_66
.LBB158_58:                             ;   in Loop: Header=BB158_49 Depth=1
	ds_read_b32 v2, v3 offset:12288
	s_waitcnt lgkmcnt(0)
	v_add_u32_e32 v8, v2, v8
	s_or_b64 exec, exec, s[26:27]
	s_and_saveexec_b64 s[26:27], s[8:9]
	s_cbranch_execz .LBB158_51
.LBB158_59:                             ;   in Loop: Header=BB158_49 Depth=1
	ds_read_b32 v2, v3 offset:12296
	s_waitcnt lgkmcnt(0)
	v_add_u32_e32 v8, v8, v2
	s_or_b64 exec, exec, s[26:27]
	s_and_saveexec_b64 s[26:27], s[10:11]
	s_cbranch_execz .LBB158_52
.LBB158_60:                             ;   in Loop: Header=BB158_49 Depth=1
	ds_read_b32 v2, v3 offset:12304
	s_waitcnt lgkmcnt(0)
	v_add_u32_e32 v8, v8, v2
	s_or_b64 exec, exec, s[26:27]
	s_and_saveexec_b64 s[26:27], s[12:13]
	s_cbranch_execz .LBB158_53
.LBB158_61:                             ;   in Loop: Header=BB158_49 Depth=1
	ds_read_b32 v2, v3 offset:12312
	s_waitcnt lgkmcnt(0)
	v_add_u32_e32 v8, v8, v2
	s_or_b64 exec, exec, s[26:27]
	s_and_saveexec_b64 s[26:27], s[14:15]
	s_cbranch_execz .LBB158_54
.LBB158_62:                             ;   in Loop: Header=BB158_49 Depth=1
	ds_read_b32 v2, v3 offset:12320
	s_waitcnt lgkmcnt(0)
	v_add_u32_e32 v8, v8, v2
	s_or_b64 exec, exec, s[26:27]
	s_and_saveexec_b64 s[26:27], s[16:17]
	s_cbranch_execz .LBB158_55
.LBB158_63:                             ;   in Loop: Header=BB158_49 Depth=1
	ds_read_b32 v2, v3 offset:12328
	s_waitcnt lgkmcnt(0)
	v_add_u32_e32 v8, v8, v2
	s_or_b64 exec, exec, s[26:27]
	s_and_saveexec_b64 s[26:27], s[18:19]
	s_cbranch_execz .LBB158_56
.LBB158_64:                             ;   in Loop: Header=BB158_49 Depth=1
	ds_read_b32 v2, v3 offset:12336
	s_waitcnt lgkmcnt(0)
	v_add_u32_e32 v8, v8, v2
	s_or_b64 exec, exec, s[26:27]
	v_ashrrev_i32_e32 v9, 31, v8
	s_and_saveexec_b64 s[26:27], vcc
	s_cbranch_execz .LBB158_57
.LBB158_65:                             ;   in Loop: Header=BB158_49 Depth=1
	buffer_load_dword v16, off, s[0:3], 0
	buffer_load_dword v17, off, s[0:3], 0 offset:4
	buffer_load_dword v18, off, s[0:3], 0 offset:8
	;; [unrolled: 1-line block ×3, first 2 shown]
	v_add3_u32 v2, v6, -1, v8
	v_lshl_add_u32 v15, v2, 3, 0
	v_lshl_add_u32 v2, v2, 4, 0
	v_add_u32_e32 v2, 0x1000, v2
	ds_write_b64 v15, v[10:11]
	s_waitcnt vmcnt(0)
	ds_write2_b64 v2, v[16:17], v[18:19] offset1:1
	s_or_b64 exec, exec, s[26:27]
	s_and_saveexec_b64 s[26:27], s[4:5]
	s_cbranch_execz .LBB158_48
.LBB158_66:                             ;   in Loop: Header=BB158_49 Depth=1
	ds_write_b64 v3, v[8:9] offset:12344
	s_branch .LBB158_48
.LBB158_67:
	s_or_b64 exec, exec, s[20:21]
	s_lshl_b64 s[4:5], s[34:35], 3
	s_add_u32 s4, s22, s4
	s_addc_u32 s5, s23, s5
	s_load_dwordx4 s[4:7], s[4:5], 0x0
	v_mov_b32_e32 v1, 0
	s_waitcnt lgkmcnt(0)
	s_sub_u32 s8, s6, s4
	s_subb_u32 s9, s7, s5
	v_cmp_gt_i64_e32 vcc, s[8:9], v[0:1]
	s_and_saveexec_b64 s[10:11], vcc
	s_cbranch_execz .LBB158_77
; %bb.68:
	s_sub_u32 s10, s4, s38
	s_subb_u32 s11, s5, 0
	s_and_b32 s12, s8, 7
	s_sub_u32 s4, s4, s6
	s_mov_b32 s20, 0
	s_subb_u32 s5, s5, s7
	s_mov_b32 s13, s20
	s_and_b32 s6, s8, -8
	v_cmp_lt_u64_e64 s[4:5], s[4:5], -7
	s_cmp_lg_u64 s[12:13], 0
	s_waitcnt vmcnt(0)
	v_cndmask_b32_e64 v2, 0, 1, s[4:5]
	s_mov_b32 s7, s9
	s_mov_b64 s[14:15], 0
	s_cselect_b64 s[16:17], -1, 0
	v_cmp_ne_u32_e64 s[4:5], 1, v2
	s_movk_i32 s21, 0x1000
	s_branch .LBB158_70
.LBB158_69:                             ;   in Loop: Header=BB158_70 Depth=1
	v_lshlrev_b32_e32 v7, 3, v0
	v_add3_u32 v8, v6, v7, s21
	v_mov_b32_e32 v6, s20
	s_waitcnt lgkmcnt(0)
	v_add_co_u32_e32 v2, vcc, s38, v2
	v_addc_co_u32_e32 v3, vcc, v3, v6, vcc
	v_lshlrev_b64 v[6:7], 3, v[4:5]
	v_mov_b32_e32 v9, s41
	v_add_co_u32_e32 v6, vcc, s40, v6
	v_addc_co_u32_e32 v7, vcc, v9, v7, vcc
	global_store_dwordx2 v[6:7], v[2:3], off
	v_lshlrev_b64 v[2:3], 4, v[4:5]
	v_mov_b32_e32 v4, s43
	v_add_co_u32_e32 v6, vcc, s42, v2
	v_addc_co_u32_e32 v7, vcc, v4, v3, vcc
	ds_read2_b64 v[2:5], v8 offset1:1
	v_add_co_u32_e32 v0, vcc, 0x100, v0
	v_addc_co_u32_e32 v1, vcc, 0, v1, vcc
	v_cmp_le_i64_e32 vcc, s[8:9], v[0:1]
	s_or_b64 s[14:15], vcc, s[14:15]
	s_waitcnt lgkmcnt(0)
	global_store_dwordx4 v[6:7], v[2:5], off
	s_andn2_b64 exec, exec, s[14:15]
	s_cbranch_execz .LBB158_77
.LBB158_70:                             ; =>This Loop Header: Depth=1
                                        ;     Child Loop BB158_72 Depth 2
                                        ;     Child Loop BB158_76 Depth 2
	v_lshl_add_u32 v6, v0, 3, 0
	ds_read_b64 v[2:3], v6
	s_and_b64 vcc, exec, s[4:5]
	v_pk_mov_b32 v[4:5], s[10:11], s[10:11] op_sel:[0,1]
	s_mov_b64 s[18:19], 0
	s_cbranch_vccnz .LBB158_74
; %bb.71:                               ;   in Loop: Header=BB158_70 Depth=1
	s_mov_b32 s22, 0
	v_pk_mov_b32 v[4:5], s[10:11], s[10:11] op_sel:[0,1]
.LBB158_72:                             ;   Parent Loop BB158_70 Depth=1
                                        ; =>  This Inner Loop Header: Depth=2
	v_mov_b32_e32 v7, s22
	ds_read2_b64 v[8:11], v7 offset1:1
	ds_read2_b64 v[12:15], v7 offset0:2 offset1:3
	ds_read2_b64 v[16:19], v7 offset0:4 offset1:5
	;; [unrolled: 1-line block ×3, first 2 shown]
	s_add_u32 s18, s18, 8
	s_waitcnt lgkmcnt(3)
	v_cmp_gt_i64_e32 vcc, v[2:3], v[8:9]
	v_cndmask_b32_e64 v7, 0, 1, vcc
	v_cmp_gt_i64_e32 vcc, v[2:3], v[10:11]
	v_cndmask_b32_e64 v8, 0, 1, vcc
	s_waitcnt lgkmcnt(2)
	v_cmp_gt_i64_e32 vcc, v[2:3], v[12:13]
	v_cndmask_b32_e64 v9, 0, 1, vcc
	v_cmp_gt_i64_e32 vcc, v[2:3], v[14:15]
	v_cndmask_b32_e64 v10, 0, 1, vcc
	;; [unrolled: 5-line block ×4, first 2 shown]
	v_add_co_u32_e32 v4, vcc, v4, v7
	v_addc_co_u32_e32 v5, vcc, 0, v5, vcc
	v_add_co_u32_e32 v4, vcc, v4, v8
	v_addc_co_u32_e32 v5, vcc, 0, v5, vcc
	;; [unrolled: 2-line block ×7, first 2 shown]
	s_addc_u32 s19, s19, 0
	s_add_i32 s22, s22, 64
	v_add_co_u32_e32 v4, vcc, v4, v14
	s_cmp_eq_u64 s[6:7], s[18:19]
	v_addc_co_u32_e32 v5, vcc, 0, v5, vcc
	s_cbranch_scc0 .LBB158_72
; %bb.73:                               ;   in Loop: Header=BB158_70 Depth=1
	s_mov_b64 s[18:19], s[6:7]
.LBB158_74:                             ;   in Loop: Header=BB158_70 Depth=1
	s_andn2_b64 vcc, exec, s[16:17]
	s_cbranch_vccnz .LBB158_69
; %bb.75:                               ;   in Loop: Header=BB158_70 Depth=1
	s_lshl_b32 s18, s18, 3
	s_add_i32 s22, s18, 0
	s_mov_b64 s[18:19], s[12:13]
.LBB158_76:                             ;   Parent Loop BB158_70 Depth=1
                                        ; =>  This Inner Loop Header: Depth=2
	v_mov_b32_e32 v7, s22
	ds_read_b64 v[8:9], v7
	s_add_i32 s22, s22, 8
	s_add_u32 s18, s18, -1
	s_addc_u32 s19, s19, -1
	s_cmp_lg_u64 s[18:19], 0
	s_waitcnt lgkmcnt(0)
	v_cmp_gt_i64_e32 vcc, v[2:3], v[8:9]
	v_cndmask_b32_e64 v7, 0, 1, vcc
	v_add_co_u32_e32 v4, vcc, v4, v7
	v_addc_co_u32_e32 v5, vcc, 0, v5, vcc
	s_cbranch_scc1 .LBB158_76
	s_branch .LBB158_69
.LBB158_77:
	s_endpgm
	.section	.rodata,"a",@progbits
	.p2align	6, 0x0
	.amdhsa_kernel _ZN9rocsparseL26csrgemm_fill_block_per_rowILj256ELj32ELj512ELj137ELj32Ell21rocsparse_complex_numIdEEEvT5_PKS3_S5_NS_24const_host_device_scalarIT6_EEPKT4_S5_PKS7_SB_S5_SD_S8_SB_S5_SD_SB_PS3_PS7_21rocsparse_index_base_SG_SG_SG_bbb
		.amdhsa_group_segment_fixed_size 0
		.amdhsa_private_segment_fixed_size 40
		.amdhsa_kernarg_size 172
		.amdhsa_user_sgpr_count 8
		.amdhsa_user_sgpr_private_segment_buffer 1
		.amdhsa_user_sgpr_dispatch_ptr 0
		.amdhsa_user_sgpr_queue_ptr 0
		.amdhsa_user_sgpr_kernarg_segment_ptr 1
		.amdhsa_user_sgpr_dispatch_id 0
		.amdhsa_user_sgpr_flat_scratch_init 1
		.amdhsa_user_sgpr_kernarg_preload_length 0
		.amdhsa_user_sgpr_kernarg_preload_offset 0
		.amdhsa_user_sgpr_private_segment_size 0
		.amdhsa_uses_dynamic_stack 0
		.amdhsa_system_sgpr_private_segment_wavefront_offset 1
		.amdhsa_system_sgpr_workgroup_id_x 1
		.amdhsa_system_sgpr_workgroup_id_y 0
		.amdhsa_system_sgpr_workgroup_id_z 0
		.amdhsa_system_sgpr_workgroup_info 0
		.amdhsa_system_vgpr_workitem_id 0
		.amdhsa_next_free_vgpr 42
		.amdhsa_next_free_sgpr 61
		.amdhsa_accum_offset 44
		.amdhsa_reserve_vcc 1
		.amdhsa_reserve_flat_scratch 1
		.amdhsa_float_round_mode_32 0
		.amdhsa_float_round_mode_16_64 0
		.amdhsa_float_denorm_mode_32 3
		.amdhsa_float_denorm_mode_16_64 3
		.amdhsa_dx10_clamp 1
		.amdhsa_ieee_mode 1
		.amdhsa_fp16_overflow 0
		.amdhsa_tg_split 0
		.amdhsa_exception_fp_ieee_invalid_op 0
		.amdhsa_exception_fp_denorm_src 0
		.amdhsa_exception_fp_ieee_div_zero 0
		.amdhsa_exception_fp_ieee_overflow 0
		.amdhsa_exception_fp_ieee_underflow 0
		.amdhsa_exception_fp_ieee_inexact 0
		.amdhsa_exception_int_div_zero 0
	.end_amdhsa_kernel
	.section	.text._ZN9rocsparseL26csrgemm_fill_block_per_rowILj256ELj32ELj512ELj137ELj32Ell21rocsparse_complex_numIdEEEvT5_PKS3_S5_NS_24const_host_device_scalarIT6_EEPKT4_S5_PKS7_SB_S5_SD_S8_SB_S5_SD_SB_PS3_PS7_21rocsparse_index_base_SG_SG_SG_bbb,"axG",@progbits,_ZN9rocsparseL26csrgemm_fill_block_per_rowILj256ELj32ELj512ELj137ELj32Ell21rocsparse_complex_numIdEEEvT5_PKS3_S5_NS_24const_host_device_scalarIT6_EEPKT4_S5_PKS7_SB_S5_SD_S8_SB_S5_SD_SB_PS3_PS7_21rocsparse_index_base_SG_SG_SG_bbb,comdat
.Lfunc_end158:
	.size	_ZN9rocsparseL26csrgemm_fill_block_per_rowILj256ELj32ELj512ELj137ELj32Ell21rocsparse_complex_numIdEEEvT5_PKS3_S5_NS_24const_host_device_scalarIT6_EEPKT4_S5_PKS7_SB_S5_SD_S8_SB_S5_SD_SB_PS3_PS7_21rocsparse_index_base_SG_SG_SG_bbb, .Lfunc_end158-_ZN9rocsparseL26csrgemm_fill_block_per_rowILj256ELj32ELj512ELj137ELj32Ell21rocsparse_complex_numIdEEEvT5_PKS3_S5_NS_24const_host_device_scalarIT6_EEPKT4_S5_PKS7_SB_S5_SD_S8_SB_S5_SD_SB_PS3_PS7_21rocsparse_index_base_SG_SG_SG_bbb
                                        ; -- End function
	.section	.AMDGPU.csdata,"",@progbits
; Kernel info:
; codeLenInByte = 3224
; NumSgprs: 67
; NumVgprs: 42
; NumAgprs: 0
; TotalNumVgprs: 42
; ScratchSize: 40
; MemoryBound: 0
; FloatMode: 240
; IeeeMode: 1
; LDSByteSize: 0 bytes/workgroup (compile time only)
; SGPRBlocks: 8
; VGPRBlocks: 5
; NumSGPRsForWavesPerEU: 67
; NumVGPRsForWavesPerEU: 42
; AccumOffset: 44
; Occupancy: 8
; WaveLimiterHint : 1
; COMPUTE_PGM_RSRC2:SCRATCH_EN: 1
; COMPUTE_PGM_RSRC2:USER_SGPR: 8
; COMPUTE_PGM_RSRC2:TRAP_HANDLER: 0
; COMPUTE_PGM_RSRC2:TGID_X_EN: 1
; COMPUTE_PGM_RSRC2:TGID_Y_EN: 0
; COMPUTE_PGM_RSRC2:TGID_Z_EN: 0
; COMPUTE_PGM_RSRC2:TIDIG_COMP_CNT: 0
; COMPUTE_PGM_RSRC3_GFX90A:ACCUM_OFFSET: 10
; COMPUTE_PGM_RSRC3_GFX90A:TG_SPLIT: 0
	.section	.text._ZN9rocsparseL26csrgemm_fill_block_per_rowILj256ELj32ELj512ELj137ELj64Ell21rocsparse_complex_numIdEEEvT5_PKS3_S5_NS_24const_host_device_scalarIT6_EEPKT4_S5_PKS7_SB_S5_SD_S8_SB_S5_SD_SB_PS3_PS7_21rocsparse_index_base_SG_SG_SG_bbb,"axG",@progbits,_ZN9rocsparseL26csrgemm_fill_block_per_rowILj256ELj32ELj512ELj137ELj64Ell21rocsparse_complex_numIdEEEvT5_PKS3_S5_NS_24const_host_device_scalarIT6_EEPKT4_S5_PKS7_SB_S5_SD_S8_SB_S5_SD_SB_PS3_PS7_21rocsparse_index_base_SG_SG_SG_bbb,comdat
	.globl	_ZN9rocsparseL26csrgemm_fill_block_per_rowILj256ELj32ELj512ELj137ELj64Ell21rocsparse_complex_numIdEEEvT5_PKS3_S5_NS_24const_host_device_scalarIT6_EEPKT4_S5_PKS7_SB_S5_SD_S8_SB_S5_SD_SB_PS3_PS7_21rocsparse_index_base_SG_SG_SG_bbb ; -- Begin function _ZN9rocsparseL26csrgemm_fill_block_per_rowILj256ELj32ELj512ELj137ELj64Ell21rocsparse_complex_numIdEEEvT5_PKS3_S5_NS_24const_host_device_scalarIT6_EEPKT4_S5_PKS7_SB_S5_SD_S8_SB_S5_SD_SB_PS3_PS7_21rocsparse_index_base_SG_SG_SG_bbb
	.p2align	8
	.type	_ZN9rocsparseL26csrgemm_fill_block_per_rowILj256ELj32ELj512ELj137ELj64Ell21rocsparse_complex_numIdEEEvT5_PKS3_S5_NS_24const_host_device_scalarIT6_EEPKT4_S5_PKS7_SB_S5_SD_S8_SB_S5_SD_SB_PS3_PS7_21rocsparse_index_base_SG_SG_SG_bbb,@function
_ZN9rocsparseL26csrgemm_fill_block_per_rowILj256ELj32ELj512ELj137ELj64Ell21rocsparse_complex_numIdEEEvT5_PKS3_S5_NS_24const_host_device_scalarIT6_EEPKT4_S5_PKS7_SB_S5_SD_S8_SB_S5_SD_SB_PS3_PS7_21rocsparse_index_base_SG_SG_SG_bbb: ; @_ZN9rocsparseL26csrgemm_fill_block_per_rowILj256ELj32ELj512ELj137ELj64Ell21rocsparse_complex_numIdEEEvT5_PKS3_S5_NS_24const_host_device_scalarIT6_EEPKT4_S5_PKS7_SB_S5_SD_S8_SB_S5_SD_SB_PS3_PS7_21rocsparse_index_base_SG_SG_SG_bbb
; %bb.0:
	s_add_u32 flat_scratch_lo, s6, s9
	s_addc_u32 flat_scratch_hi, s7, 0
	s_add_u32 s0, s0, s9
	s_load_dword s9, s[4:5], 0xa8
	s_load_dwordx4 s[16:19], s[4:5], 0x18
	s_load_dwordx4 s[12:15], s[4:5], 0x58
	s_addc_u32 s1, s1, 0
	v_pk_mov_b32 v[2:3], 0, 0
	s_waitcnt lgkmcnt(0)
	s_bitcmp1_b32 s9, 0
	v_mov_b32_e32 v1, s17
	s_cselect_b64 s[50:51], -1, 0
	s_bitcmp1_b32 s9, 16
	buffer_store_dword v1, off, s[0:3], 0 offset:20
	v_mov_b32_e32 v1, s16
	s_cselect_b64 s[6:7], -1, 0
	buffer_store_dword v1, off, s[0:3], 0 offset:16
	v_mov_b32_e32 v1, s13
	buffer_store_dword v1, off, s[0:3], 0 offset:28
	v_mov_b32_e32 v1, s12
	s_xor_b64 s[10:11], s[6:7], -1
	buffer_store_dword v1, off, s[0:3], 0 offset:24
	v_cndmask_b32_e64 v1, 0, 1, s[10:11]
	s_bitcmp0_b32 s9, 0
	v_cmp_ne_u32_e64 s[10:11], 1, v1
	v_pk_mov_b32 v[6:7], v[2:3], v[2:3] op_sel:[0,1]
	v_pk_mov_b32 v[8:9], v[2:3], v[2:3] op_sel:[0,1]
	s_cbranch_scc1 .LBB159_3
; %bb.1:
	s_mov_b64 s[20:21], src_private_base
	s_and_b64 s[22:23], s[6:7], exec
	s_cselect_b32 s20, s21, s17
	v_mov_b32_e32 v1, 16
	v_mov_b32_e32 v4, s16
	v_cndmask_b32_e64 v4, v4, v1, s[6:7]
	v_mov_b32_e32 v5, s20
	flat_load_dwordx2 v[6:7], v[4:5]
	s_and_b64 vcc, exec, s[10:11]
	v_pk_mov_b32 v[8:9], s[18:19], s[18:19] op_sel:[0,1]
	s_cbranch_vccnz .LBB159_3
; %bb.2:
	v_pk_mov_b32 v[4:5], s[16:17], s[16:17] op_sel:[0,1]
	flat_load_dwordx2 v[8:9], v[4:5] offset:8
.LBB159_3:
	s_load_dwordx4 s[28:31], s[4:5], 0x98
	s_bitcmp1_b32 s9, 8
	s_cselect_b64 s[48:49], -1, 0
	s_bfe_u32 s9, s9, 0x10008
	s_cmp_eq_u32 s9, 0
	v_pk_mov_b32 v[4:5], v[2:3], v[2:3] op_sel:[0,1]
	s_cbranch_scc1 .LBB159_6
; %bb.4:
	s_mov_b64 s[16:17], src_private_base
	s_and_b64 s[18:19], s[6:7], exec
	s_cselect_b32 s9, s17, s13
	v_mov_b32_e32 v1, 24
	v_mov_b32_e32 v2, s12
	v_cndmask_b32_e64 v2, v2, v1, s[6:7]
	v_mov_b32_e32 v3, s9
	flat_load_dwordx2 v[4:5], v[2:3]
	s_and_b64 vcc, exec, s[10:11]
	v_pk_mov_b32 v[2:3], s[14:15], s[14:15] op_sel:[0,1]
	s_cbranch_vccnz .LBB159_6
; %bb.5:
	v_pk_mov_b32 v[2:3], s[12:13], s[12:13] op_sel:[0,1]
	flat_load_dwordx2 v[2:3], v[2:3] offset:8
.LBB159_6:
	s_load_dwordx4 s[36:39], s[4:5], 0x88
	s_load_dwordx8 s[12:19], s[4:5], 0x68
	s_load_dwordx4 s[44:47], s[4:5], 0x48
	s_load_dwordx4 s[40:43], s[4:5], 0x0
	s_load_dwordx2 s[6:7], s[4:5], 0x10
	s_load_dwordx8 s[20:27], s[4:5], 0x28
	s_movk_i32 s4, 0x200
	v_cmp_gt_u32_e64 s[4:5], s4, v0
	v_lshl_add_u32 v27, v0, 4, 0
	v_lshl_add_u32 v1, v0, 3, 0
	s_and_saveexec_b64 s[10:11], s[4:5]
	s_cbranch_execz .LBB159_9
; %bb.7:
	s_mov_b32 s52, 0
	s_mov_b32 s53, s52
	;; [unrolled: 1-line block ×4, first 2 shown]
	v_add_u32_e32 v16, 0x1000, v27
	v_or_b32_e32 v17, 0xffffff00, v0
	v_lshl_add_u32 v18, v0, 3, 0
	s_mov_b64 s[34:35], 0
	s_waitcnt lgkmcnt(0)
	v_pk_mov_b32 v[10:11], s[40:41], s[40:41] op_sel:[0,1]
	v_pk_mov_b32 v[12:13], s[52:53], s[52:53] op_sel:[0,1]
	;; [unrolled: 1-line block ×3, first 2 shown]
.LBB159_8:                              ; =>This Inner Loop Header: Depth=1
	v_add_co_u32_e32 v17, vcc, 0x100, v17
	s_xor_b64 s[52:53], vcc, -1
	s_and_b64 s[52:53], exec, s[52:53]
	ds_write_b64 v18, v[10:11]
	ds_write2_b64 v16, v[12:13], v[14:15] offset1:1
	v_add_u32_e32 v16, 0x1000, v16
	s_or_b64 s[34:35], s[52:53], s[34:35]
	v_add_u32_e32 v18, 0x800, v18
	s_andn2_b64 exec, exec, s[34:35]
	s_cbranch_execnz .LBB159_8
.LBB159_9:
	s_or_b64 exec, exec, s[10:11]
	s_waitcnt lgkmcnt(0)
	s_barrier
	s_load_dwordx2 s[10:11], s[42:43], 0x0
	s_mov_b32 s9, 0
	s_waitcnt lgkmcnt(0)
	s_lshl_b64 s[10:11], s[10:11], 3
	s_add_u32 s10, s6, s10
	s_addc_u32 s11, s7, s11
	s_lshl_b64 s[6:7], s[8:9], 3
	s_add_u32 s6, s10, s6
	s_addc_u32 s7, s11, s7
	s_load_dwordx2 s[34:35], s[6:7], 0x0
	s_and_b64 vcc, exec, s[50:51]
	s_cbranch_vccz .LBB159_29
; %bb.10:
	s_waitcnt lgkmcnt(0)
	s_lshl_b64 s[6:7], s[34:35], 3
	s_add_u32 s6, s20, s6
	s_addc_u32 s7, s21, s7
	s_load_dwordx4 s[52:55], s[6:7], 0x0
	v_lshrrev_b32_e32 v10, 5, v0
	v_subrev_co_u32_e32 v10, vcc, s28, v10
	v_subb_co_u32_e64 v11, s[10:11], 0, 0, vcc
	s_waitcnt lgkmcnt(0)
	s_sub_u32 s6, s54, s28
	v_mov_b32_e32 v12, s53
	v_add_co_u32_e32 v10, vcc, s52, v10
	s_subb_u32 s7, s55, 0
	v_addc_co_u32_e32 v11, vcc, v12, v11, vcc
	v_cmp_gt_i64_e32 vcc, s[6:7], v[10:11]
	s_and_saveexec_b64 s[10:11], vcc
	s_cbranch_execz .LBB159_28
; %bb.11:
	v_and_b32_e32 v12, 31, v0
	v_subrev_co_u32_e32 v30, vcc, s29, v12
	s_mov_b32 s8, 0
	v_subb_co_u32_e64 v31, s[20:21], 0, 0, vcc
	s_mov_b32 s33, s28
	s_mov_b32 s60, s29
	s_mov_b64 s[20:21], 0
	v_mov_b32_e32 v32, s23
	v_mov_b32_e32 v33, s9
	;; [unrolled: 1-line block ×4, first 2 shown]
	s_movk_i32 s23, 0x89
	s_branch .LBB159_13
.LBB159_12:                             ;   in Loop: Header=BB159_13 Depth=1
	s_or_b64 exec, exec, s[8:9]
	v_add_co_u32_e32 v10, vcc, 8, v10
	v_addc_co_u32_e32 v11, vcc, 0, v11, vcc
	v_cmp_le_i64_e32 vcc, s[6:7], v[10:11]
	s_or_b64 s[20:21], vcc, s[20:21]
	s_andn2_b64 exec, exec, s[20:21]
	s_cbranch_execz .LBB159_28
.LBB159_13:                             ; =>This Loop Header: Depth=1
                                        ;     Child Loop BB159_16 Depth 2
                                        ;       Child Loop BB159_18 Depth 3
	v_lshlrev_b64 v[12:13], 3, v[10:11]
	v_add_co_u32_e32 v12, vcc, s22, v12
	v_addc_co_u32_e32 v13, vcc, v32, v13, vcc
	global_load_dwordx2 v[12:13], v[12:13], off
	s_waitcnt vmcnt(0)
	v_subrev_co_u32_e32 v12, vcc, s33, v12
	v_subb_co_u32_e32 v13, vcc, v13, v33, vcc
	v_lshlrev_b64 v[12:13], 3, v[12:13]
	v_add_co_u32_e32 v12, vcc, s26, v12
	v_addc_co_u32_e32 v13, vcc, v34, v13, vcc
	global_load_dwordx4 v[14:17], v[12:13], off
	s_waitcnt vmcnt(0)
	v_subrev_co_u32_e32 v12, vcc, s60, v16
	v_subb_co_u32_e32 v13, vcc, v17, v35, vcc
	v_add_co_u32_e32 v14, vcc, v14, v30
	v_addc_co_u32_e32 v15, vcc, v15, v31, vcc
	v_cmp_lt_i64_e32 vcc, v[14:15], v[12:13]
	s_and_saveexec_b64 s[8:9], vcc
	s_cbranch_execz .LBB159_12
; %bb.14:                               ;   in Loop: Header=BB159_13 Depth=1
	v_lshlrev_b64 v[16:17], 4, v[10:11]
	v_mov_b32_e32 v18, s25
	v_add_co_u32_e32 v16, vcc, s24, v16
	v_addc_co_u32_e32 v17, vcc, v18, v17, vcc
	global_load_dwordx4 v[20:23], v[16:17], off
	s_mov_b64 s[28:29], 0
	s_waitcnt vmcnt(0)
	v_mul_f64 v[16:17], v[22:23], -v[8:9]
	v_mul_f64 v[18:19], v[6:7], v[22:23]
	v_fmac_f64_e32 v[16:17], v[6:7], v[20:21]
	v_fmac_f64_e32 v[18:19], v[8:9], v[20:21]
	s_branch .LBB159_16
.LBB159_15:                             ;   in Loop: Header=BB159_16 Depth=2
	s_or_b64 exec, exec, s[42:43]
	v_add_co_u32_e32 v14, vcc, 32, v14
	v_addc_co_u32_e32 v15, vcc, 0, v15, vcc
	v_cmp_ge_i64_e32 vcc, v[14:15], v[12:13]
	s_or_b64 s[28:29], vcc, s[28:29]
	s_andn2_b64 exec, exec, s[28:29]
	s_cbranch_execz .LBB159_12
.LBB159_16:                             ;   Parent Loop BB159_13 Depth=1
                                        ; =>  This Loop Header: Depth=2
                                        ;       Child Loop BB159_18 Depth 3
	v_lshlrev_b64 v[20:21], 3, v[14:15]
	v_mov_b32_e32 v22, s45
	v_add_co_u32_e32 v20, vcc, s44, v20
	v_addc_co_u32_e32 v21, vcc, v22, v21, vcc
	v_lshlrev_b64 v[22:23], 4, v[14:15]
	v_mov_b32_e32 v24, s47
	v_add_co_u32_e32 v22, vcc, s46, v22
	global_load_dwordx2 v[20:21], v[20:21], off
	v_addc_co_u32_e32 v23, vcc, v24, v23, vcc
	global_load_dwordx4 v[36:39], v[22:23], off
	s_mov_b64 s[42:43], 0
	s_waitcnt vmcnt(1)
	v_subrev_co_u32_e32 v20, vcc, s60, v20
	v_mul_lo_u32 v26, v20, s23
	s_waitcnt vmcnt(0)
	v_mul_f64 v[22:23], v[38:39], -v[18:19]
	v_mul_f64 v[24:25], v[16:17], v[38:39]
	v_subb_co_u32_e32 v21, vcc, v21, v35, vcc
	v_fmac_f64_e32 v[22:23], v[16:17], v[36:37]
	v_fmac_f64_e32 v[24:25], v[18:19], v[36:37]
	v_and_b32_e32 v26, 0x1ff, v26
	s_branch .LBB159_18
.LBB159_17:                             ;   in Loop: Header=BB159_18 Depth=3
	s_or_b64 exec, exec, s[50:51]
	s_xor_b64 s[50:51], s[52:53], -1
	s_and_b64 s[50:51], exec, s[50:51]
	s_or_b64 s[42:43], s[50:51], s[42:43]
	s_andn2_b64 exec, exec, s[42:43]
	s_cbranch_execz .LBB159_15
.LBB159_18:                             ;   Parent Loop BB159_13 Depth=1
                                        ;     Parent Loop BB159_16 Depth=2
                                        ; =>    This Inner Loop Header: Depth=3
	v_lshl_add_u32 v36, v26, 3, 0
	ds_read_b64 v[28:29], v36
                                        ; implicit-def: $sgpr52_sgpr53
	s_waitcnt lgkmcnt(0)
	v_cmp_ne_u64_e32 vcc, v[28:29], v[20:21]
	s_and_saveexec_b64 s[50:51], vcc
	s_xor_b64 s[50:51], exec, s[50:51]
	s_cbranch_execz .LBB159_26
; %bb.19:                               ;   in Loop: Header=BB159_18 Depth=3
	v_cmp_ne_u64_e32 vcc, s[40:41], v[28:29]
                                        ; implicit-def: $sgpr52_sgpr53
	s_and_saveexec_b64 s[54:55], vcc
	s_xor_b64 s[54:55], exec, s[54:55]
; %bb.20:                               ;   in Loop: Header=BB159_18 Depth=3
	v_add_u32_e32 v26, 1, v26
	v_and_b32_e32 v26, 0x1ff, v26
	s_mov_b64 s[52:53], -1
                                        ; implicit-def: $vgpr36
; %bb.21:                               ;   in Loop: Header=BB159_18 Depth=3
	s_andn2_saveexec_b64 s[54:55], s[54:55]
	s_cbranch_execz .LBB159_25
; %bb.22:                               ;   in Loop: Header=BB159_18 Depth=3
	v_pk_mov_b32 v[28:29], s[40:41], s[40:41] op_sel:[0,1]
	ds_cmpst_rtn_b64 v[28:29], v36, v[28:29], v[20:21]
	s_mov_b64 s[56:57], -1
	s_waitcnt lgkmcnt(0)
	v_cmp_eq_u64_e32 vcc, s[40:41], v[28:29]
	s_and_saveexec_b64 s[58:59], vcc
	s_cbranch_execz .LBB159_24
; %bb.23:                               ;   in Loop: Header=BB159_18 Depth=3
	v_lshl_add_u32 v28, v26, 3, v36
	ds_add_f64 v28, v[22:23] offset:4096
	ds_add_f64 v28, v[24:25] offset:4104
	s_xor_b64 s[56:57], exec, -1
.LBB159_24:                             ;   in Loop: Header=BB159_18 Depth=3
	s_or_b64 exec, exec, s[58:59]
	s_andn2_b64 s[52:53], s[52:53], exec
	s_and_b64 s[56:57], s[56:57], exec
	s_or_b64 s[52:53], s[52:53], s[56:57]
.LBB159_25:                             ;   in Loop: Header=BB159_18 Depth=3
	s_or_b64 exec, exec, s[54:55]
	s_and_b64 s[52:53], s[52:53], exec
                                        ; implicit-def: $vgpr36
.LBB159_26:                             ;   in Loop: Header=BB159_18 Depth=3
	s_andn2_saveexec_b64 s[50:51], s[50:51]
	s_cbranch_execz .LBB159_17
; %bb.27:                               ;   in Loop: Header=BB159_18 Depth=3
	v_lshl_add_u32 v28, v26, 3, v36
	ds_add_f64 v28, v[22:23] offset:4096
	ds_add_f64 v28, v[24:25] offset:4104
	s_andn2_b64 s[52:53], s[52:53], exec
	s_branch .LBB159_17
.LBB159_28:
	s_or_b64 exec, exec, s[10:11]
.LBB159_29:
	s_andn2_b64 vcc, exec, s[48:49]
	s_cbranch_vccnz .LBB159_46
; %bb.30:
	s_waitcnt lgkmcnt(0)
	s_lshl_b64 s[6:7], s[34:35], 3
	s_add_u32 s6, s12, s6
	s_addc_u32 s7, s13, s7
	s_load_dwordx4 s[8:11], s[6:7], 0x0
	s_waitcnt vmcnt(0)
	v_subrev_co_u32_e32 v6, vcc, s31, v0
	s_mov_b32 s12, 0
	s_waitcnt lgkmcnt(0)
	s_sub_u32 s6, s10, s31
	s_subb_u32 s7, s11, 0
	v_subb_co_u32_e64 v7, s[10:11], 0, 0, vcc
	v_mov_b32_e32 v8, s9
	v_add_co_u32_e32 v6, vcc, s8, v6
	v_addc_co_u32_e32 v7, vcc, v8, v7, vcc
	v_cmp_gt_i64_e32 vcc, s[6:7], v[6:7]
	s_and_saveexec_b64 s[8:9], vcc
	s_cbranch_execz .LBB159_45
; %bb.31:
	s_mov_b32 s33, s31
	s_mov_b64 s[10:11], 0
	v_mov_b32_e32 v15, s15
	v_mov_b32_e32 v18, s12
	;; [unrolled: 1-line block ×3, first 2 shown]
	s_movk_i32 s15, 0x89
	s_branch .LBB159_33
.LBB159_32:                             ;   in Loop: Header=BB159_33 Depth=1
	s_or_b64 exec, exec, s[12:13]
	v_add_co_u32_e32 v6, vcc, 0x100, v6
	v_addc_co_u32_e32 v7, vcc, 0, v7, vcc
	v_cmp_le_i64_e32 vcc, s[6:7], v[6:7]
	s_or_b64 s[10:11], vcc, s[10:11]
	s_andn2_b64 exec, exec, s[10:11]
	s_cbranch_execz .LBB159_45
.LBB159_33:                             ; =>This Loop Header: Depth=1
                                        ;     Child Loop BB159_35 Depth 2
	v_lshlrev_b64 v[8:9], 3, v[6:7]
	v_add_co_u32_e32 v8, vcc, s14, v8
	v_addc_co_u32_e32 v9, vcc, v15, v9, vcc
	v_lshlrev_b64 v[10:11], 4, v[6:7]
	v_add_co_u32_e32 v10, vcc, s16, v10
	global_load_dwordx2 v[8:9], v[8:9], off
	v_addc_co_u32_e32 v11, vcc, v19, v11, vcc
	global_load_dwordx4 v[20:23], v[10:11], off
	s_mov_b64 s[12:13], 0
	s_waitcnt vmcnt(1)
	v_subrev_co_u32_e32 v8, vcc, s33, v8
	v_mul_lo_u32 v14, v8, s15
	s_waitcnt vmcnt(0)
	v_mul_f64 v[10:11], v[22:23], -v[2:3]
	v_mul_f64 v[12:13], v[4:5], v[22:23]
	v_subb_co_u32_e32 v9, vcc, v9, v18, vcc
	v_fmac_f64_e32 v[10:11], v[4:5], v[20:21]
	v_fmac_f64_e32 v[12:13], v[2:3], v[20:21]
	v_and_b32_e32 v14, 0x1ff, v14
	s_branch .LBB159_35
.LBB159_34:                             ;   in Loop: Header=BB159_35 Depth=2
	s_or_b64 exec, exec, s[20:21]
	s_xor_b64 s[20:21], s[22:23], -1
	s_and_b64 s[20:21], exec, s[20:21]
	s_or_b64 s[12:13], s[20:21], s[12:13]
	s_andn2_b64 exec, exec, s[12:13]
	s_cbranch_execz .LBB159_32
.LBB159_35:                             ;   Parent Loop BB159_33 Depth=1
                                        ; =>  This Inner Loop Header: Depth=2
	v_lshl_add_u32 v20, v14, 3, 0
	ds_read_b64 v[16:17], v20
                                        ; implicit-def: $sgpr22_sgpr23
	s_waitcnt lgkmcnt(0)
	v_cmp_ne_u64_e32 vcc, v[16:17], v[8:9]
	s_and_saveexec_b64 s[20:21], vcc
	s_xor_b64 s[20:21], exec, s[20:21]
	s_cbranch_execz .LBB159_43
; %bb.36:                               ;   in Loop: Header=BB159_35 Depth=2
	v_cmp_ne_u64_e32 vcc, s[40:41], v[16:17]
                                        ; implicit-def: $sgpr22_sgpr23
	s_and_saveexec_b64 s[24:25], vcc
	s_xor_b64 s[24:25], exec, s[24:25]
; %bb.37:                               ;   in Loop: Header=BB159_35 Depth=2
	v_add_u32_e32 v14, 1, v14
	v_and_b32_e32 v14, 0x1ff, v14
	s_mov_b64 s[22:23], -1
                                        ; implicit-def: $vgpr20
; %bb.38:                               ;   in Loop: Header=BB159_35 Depth=2
	s_andn2_saveexec_b64 s[24:25], s[24:25]
	s_cbranch_execz .LBB159_42
; %bb.39:                               ;   in Loop: Header=BB159_35 Depth=2
	v_pk_mov_b32 v[16:17], s[40:41], s[40:41] op_sel:[0,1]
	ds_cmpst_rtn_b64 v[16:17], v20, v[16:17], v[8:9]
	s_mov_b64 s[26:27], -1
	s_waitcnt lgkmcnt(0)
	v_cmp_eq_u64_e32 vcc, s[40:41], v[16:17]
	s_and_saveexec_b64 s[28:29], vcc
	s_cbranch_execz .LBB159_41
; %bb.40:                               ;   in Loop: Header=BB159_35 Depth=2
	v_lshl_add_u32 v16, v14, 3, v20
	ds_add_f64 v16, v[10:11] offset:4096
	ds_add_f64 v16, v[12:13] offset:4104
	s_xor_b64 s[26:27], exec, -1
.LBB159_41:                             ;   in Loop: Header=BB159_35 Depth=2
	s_or_b64 exec, exec, s[28:29]
	s_andn2_b64 s[22:23], s[22:23], exec
	s_and_b64 s[26:27], s[26:27], exec
	s_or_b64 s[22:23], s[22:23], s[26:27]
.LBB159_42:                             ;   in Loop: Header=BB159_35 Depth=2
	s_or_b64 exec, exec, s[24:25]
	s_and_b64 s[22:23], s[22:23], exec
                                        ; implicit-def: $vgpr20
.LBB159_43:                             ;   in Loop: Header=BB159_35 Depth=2
	s_andn2_saveexec_b64 s[20:21], s[20:21]
	s_cbranch_execz .LBB159_34
; %bb.44:                               ;   in Loop: Header=BB159_35 Depth=2
	v_lshl_add_u32 v16, v14, 3, v20
	ds_add_f64 v16, v[10:11] offset:4096
	ds_add_f64 v16, v[12:13] offset:4104
	s_andn2_b64 s[22:23], s[22:23], exec
	s_branch .LBB159_34
.LBB159_45:
	s_or_b64 exec, exec, s[8:9]
.LBB159_46:
	s_waitcnt lgkmcnt(0)
	s_barrier
	s_and_saveexec_b64 s[12:13], s[4:5]
	s_cbranch_execz .LBB159_59
; %bb.47:
	s_waitcnt vmcnt(0)
	v_mbcnt_lo_u32_b32 v2, -1, 0
	v_mbcnt_hi_u32_b32 v2, -1, v2
	v_sub_u32_e32 v2, 63, v2
	v_lshrrev_b64 v[4:5], v2, -1
	v_lshrrev_b32_e32 v2, 3, v0
	v_and_b32_e32 v2, 24, v2
	s_movk_i32 s4, 0xff
	s_movk_i32 s8, 0x7f
	;; [unrolled: 1-line block ×3, first 2 shown]
	v_mov_b32_e32 v3, 0
	v_add_u32_e32 v12, 0, v2
	v_cmp_eq_u32_e64 s[4:5], s4, v0
	v_cmp_lt_u32_e64 s[6:7], 63, v0
	v_cmp_lt_u32_e64 s[8:9], s8, v0
	;; [unrolled: 1-line block ×3, first 2 shown]
	v_add_u32_e32 v13, 0x1000, v27
	v_or_b32_e32 v14, 0xffffff00, v0
	s_mov_b64 s[14:15], 0
	v_pk_mov_b32 v[6:7], 0, 0
	s_branch .LBB159_49
.LBB159_48:                             ;   in Loop: Header=BB159_49 Depth=1
	s_or_b64 exec, exec, s[16:17]
	s_waitcnt lgkmcnt(0)
	s_barrier
	ds_read_b64 v[8:9], v3 offset:12312
	v_add_u32_e32 v13, 0x1000, v13
	v_add_u32_e32 v1, 0x800, v1
	s_waitcnt lgkmcnt(0)
	v_add_co_u32_e32 v6, vcc, v8, v6
	v_addc_co_u32_e32 v7, vcc, v9, v7, vcc
	v_add_co_u32_e32 v14, vcc, 0x100, v14
	s_xor_b64 s[16:17], vcc, -1
	s_and_b64 s[16:17], exec, s[16:17]
	s_or_b64 s[14:15], s[16:17], s[14:15]
	s_andn2_b64 exec, exec, s[14:15]
	s_cbranch_execz .LBB159_59
.LBB159_49:                             ; =>This Inner Loop Header: Depth=1
	ds_read2_b64 v[16:19], v13 offset1:1
	ds_read_b64 v[10:11], v1
	s_waitcnt lgkmcnt(1)
	buffer_store_dword v19, off, s[0:3], 0 offset:12
	buffer_store_dword v18, off, s[0:3], 0 offset:8
	;; [unrolled: 1-line block ×3, first 2 shown]
	buffer_store_dword v16, off, s[0:3], 0
	s_waitcnt lgkmcnt(0)
	v_cmp_gt_i64_e32 vcc, s[40:41], v[10:11]
	v_and_b32_e32 v9, vcc_lo, v4
	s_bcnt1_i32_b64 s16, vcc
	v_and_b32_e32 v8, vcc_hi, v5
	v_bcnt_u32_b32 v9, v9, 0
	v_mov_b32_e32 v2, s16
	v_bcnt_u32_b32 v8, v8, v9
	s_barrier
	ds_write_b64 v12, v[2:3] offset:12288
	s_waitcnt lgkmcnt(0)
	s_barrier
	s_and_saveexec_b64 s[16:17], s[6:7]
	s_cbranch_execnz .LBB159_54
; %bb.50:                               ;   in Loop: Header=BB159_49 Depth=1
	s_or_b64 exec, exec, s[16:17]
	s_and_saveexec_b64 s[16:17], s[8:9]
	s_cbranch_execnz .LBB159_55
.LBB159_51:                             ;   in Loop: Header=BB159_49 Depth=1
	s_or_b64 exec, exec, s[16:17]
	s_and_saveexec_b64 s[16:17], s[10:11]
	s_cbranch_execnz .LBB159_56
.LBB159_52:                             ;   in Loop: Header=BB159_49 Depth=1
	s_or_b64 exec, exec, s[16:17]
	v_ashrrev_i32_e32 v9, 31, v8
	s_and_saveexec_b64 s[16:17], vcc
	s_cbranch_execnz .LBB159_57
.LBB159_53:                             ;   in Loop: Header=BB159_49 Depth=1
	s_or_b64 exec, exec, s[16:17]
	s_and_saveexec_b64 s[16:17], s[4:5]
	s_cbranch_execz .LBB159_48
	s_branch .LBB159_58
.LBB159_54:                             ;   in Loop: Header=BB159_49 Depth=1
	ds_read_b32 v2, v3 offset:12288
	s_waitcnt lgkmcnt(0)
	v_add_u32_e32 v8, v2, v8
	s_or_b64 exec, exec, s[16:17]
	s_and_saveexec_b64 s[16:17], s[8:9]
	s_cbranch_execz .LBB159_51
.LBB159_55:                             ;   in Loop: Header=BB159_49 Depth=1
	ds_read_b32 v2, v3 offset:12296
	s_waitcnt lgkmcnt(0)
	v_add_u32_e32 v8, v8, v2
	s_or_b64 exec, exec, s[16:17]
	s_and_saveexec_b64 s[16:17], s[10:11]
	s_cbranch_execz .LBB159_52
.LBB159_56:                             ;   in Loop: Header=BB159_49 Depth=1
	ds_read_b32 v2, v3 offset:12304
	s_waitcnt lgkmcnt(0)
	v_add_u32_e32 v8, v8, v2
	s_or_b64 exec, exec, s[16:17]
	v_ashrrev_i32_e32 v9, 31, v8
	s_and_saveexec_b64 s[16:17], vcc
	s_cbranch_execz .LBB159_53
.LBB159_57:                             ;   in Loop: Header=BB159_49 Depth=1
	buffer_load_dword v16, off, s[0:3], 0
	buffer_load_dword v17, off, s[0:3], 0 offset:4
	buffer_load_dword v18, off, s[0:3], 0 offset:8
	;; [unrolled: 1-line block ×3, first 2 shown]
	v_add3_u32 v2, v6, -1, v8
	v_lshl_add_u32 v15, v2, 3, 0
	v_lshl_add_u32 v2, v2, 4, 0
	v_add_u32_e32 v2, 0x1000, v2
	ds_write_b64 v15, v[10:11]
	s_waitcnt vmcnt(0)
	ds_write2_b64 v2, v[16:17], v[18:19] offset1:1
	s_or_b64 exec, exec, s[16:17]
	s_and_saveexec_b64 s[16:17], s[4:5]
	s_cbranch_execz .LBB159_48
.LBB159_58:                             ;   in Loop: Header=BB159_49 Depth=1
	ds_write_b64 v3, v[8:9] offset:12312
	s_branch .LBB159_48
.LBB159_59:
	s_or_b64 exec, exec, s[12:13]
	s_lshl_b64 s[4:5], s[34:35], 3
	s_add_u32 s4, s18, s4
	s_addc_u32 s5, s19, s5
	s_load_dwordx4 s[4:7], s[4:5], 0x0
	v_mov_b32_e32 v1, 0
	s_waitcnt lgkmcnt(0)
	s_sub_u32 s8, s6, s4
	s_subb_u32 s9, s7, s5
	v_cmp_gt_i64_e32 vcc, s[8:9], v[0:1]
	s_and_saveexec_b64 s[10:11], vcc
	s_cbranch_execz .LBB159_69
; %bb.60:
	s_sub_u32 s10, s4, s30
	s_subb_u32 s11, s5, 0
	s_and_b32 s12, s8, 7
	s_sub_u32 s4, s4, s6
	s_mov_b32 s20, 0
	s_subb_u32 s5, s5, s7
	s_mov_b32 s13, s20
	s_and_b32 s6, s8, -8
	v_cmp_lt_u64_e64 s[4:5], s[4:5], -7
	s_cmp_lg_u64 s[12:13], 0
	s_waitcnt vmcnt(0)
	v_cndmask_b32_e64 v2, 0, 1, s[4:5]
	s_mov_b32 s7, s9
	s_mov_b64 s[14:15], 0
	s_cselect_b64 s[16:17], -1, 0
	v_cmp_ne_u32_e64 s[4:5], 1, v2
	s_movk_i32 s21, 0x1000
	s_branch .LBB159_62
.LBB159_61:                             ;   in Loop: Header=BB159_62 Depth=1
	v_lshlrev_b32_e32 v7, 3, v0
	v_add3_u32 v8, v6, v7, s21
	v_mov_b32_e32 v6, s20
	s_waitcnt lgkmcnt(0)
	v_add_co_u32_e32 v2, vcc, s30, v2
	v_addc_co_u32_e32 v3, vcc, v3, v6, vcc
	v_lshlrev_b64 v[6:7], 3, v[4:5]
	v_mov_b32_e32 v9, s37
	v_add_co_u32_e32 v6, vcc, s36, v6
	v_addc_co_u32_e32 v7, vcc, v9, v7, vcc
	global_store_dwordx2 v[6:7], v[2:3], off
	v_lshlrev_b64 v[2:3], 4, v[4:5]
	v_mov_b32_e32 v4, s39
	v_add_co_u32_e32 v6, vcc, s38, v2
	v_addc_co_u32_e32 v7, vcc, v4, v3, vcc
	ds_read2_b64 v[2:5], v8 offset1:1
	v_add_co_u32_e32 v0, vcc, 0x100, v0
	v_addc_co_u32_e32 v1, vcc, 0, v1, vcc
	v_cmp_le_i64_e32 vcc, s[8:9], v[0:1]
	s_or_b64 s[14:15], vcc, s[14:15]
	s_waitcnt lgkmcnt(0)
	global_store_dwordx4 v[6:7], v[2:5], off
	s_andn2_b64 exec, exec, s[14:15]
	s_cbranch_execz .LBB159_69
.LBB159_62:                             ; =>This Loop Header: Depth=1
                                        ;     Child Loop BB159_64 Depth 2
                                        ;     Child Loop BB159_68 Depth 2
	v_lshl_add_u32 v6, v0, 3, 0
	ds_read_b64 v[2:3], v6
	s_and_b64 vcc, exec, s[4:5]
	v_pk_mov_b32 v[4:5], s[10:11], s[10:11] op_sel:[0,1]
	s_mov_b64 s[18:19], 0
	s_cbranch_vccnz .LBB159_66
; %bb.63:                               ;   in Loop: Header=BB159_62 Depth=1
	s_mov_b32 s22, 0
	v_pk_mov_b32 v[4:5], s[10:11], s[10:11] op_sel:[0,1]
.LBB159_64:                             ;   Parent Loop BB159_62 Depth=1
                                        ; =>  This Inner Loop Header: Depth=2
	v_mov_b32_e32 v7, s22
	ds_read2_b64 v[8:11], v7 offset1:1
	ds_read2_b64 v[12:15], v7 offset0:2 offset1:3
	ds_read2_b64 v[16:19], v7 offset0:4 offset1:5
	;; [unrolled: 1-line block ×3, first 2 shown]
	s_add_u32 s18, s18, 8
	s_waitcnt lgkmcnt(3)
	v_cmp_gt_i64_e32 vcc, v[2:3], v[8:9]
	v_cndmask_b32_e64 v7, 0, 1, vcc
	v_cmp_gt_i64_e32 vcc, v[2:3], v[10:11]
	v_cndmask_b32_e64 v8, 0, 1, vcc
	s_waitcnt lgkmcnt(2)
	v_cmp_gt_i64_e32 vcc, v[2:3], v[12:13]
	v_cndmask_b32_e64 v9, 0, 1, vcc
	v_cmp_gt_i64_e32 vcc, v[2:3], v[14:15]
	v_cndmask_b32_e64 v10, 0, 1, vcc
	;; [unrolled: 5-line block ×4, first 2 shown]
	v_add_co_u32_e32 v4, vcc, v4, v7
	v_addc_co_u32_e32 v5, vcc, 0, v5, vcc
	v_add_co_u32_e32 v4, vcc, v4, v8
	v_addc_co_u32_e32 v5, vcc, 0, v5, vcc
	;; [unrolled: 2-line block ×7, first 2 shown]
	s_addc_u32 s19, s19, 0
	s_add_i32 s22, s22, 64
	v_add_co_u32_e32 v4, vcc, v4, v14
	s_cmp_eq_u64 s[6:7], s[18:19]
	v_addc_co_u32_e32 v5, vcc, 0, v5, vcc
	s_cbranch_scc0 .LBB159_64
; %bb.65:                               ;   in Loop: Header=BB159_62 Depth=1
	s_mov_b64 s[18:19], s[6:7]
.LBB159_66:                             ;   in Loop: Header=BB159_62 Depth=1
	s_andn2_b64 vcc, exec, s[16:17]
	s_cbranch_vccnz .LBB159_61
; %bb.67:                               ;   in Loop: Header=BB159_62 Depth=1
	s_lshl_b32 s18, s18, 3
	s_add_i32 s22, s18, 0
	s_mov_b64 s[18:19], s[12:13]
.LBB159_68:                             ;   Parent Loop BB159_62 Depth=1
                                        ; =>  This Inner Loop Header: Depth=2
	v_mov_b32_e32 v7, s22
	ds_read_b64 v[8:9], v7
	s_add_i32 s22, s22, 8
	s_add_u32 s18, s18, -1
	s_addc_u32 s19, s19, -1
	s_cmp_lg_u64 s[18:19], 0
	s_waitcnt lgkmcnt(0)
	v_cmp_gt_i64_e32 vcc, v[2:3], v[8:9]
	v_cndmask_b32_e64 v7, 0, 1, vcc
	v_add_co_u32_e32 v4, vcc, v4, v7
	v_addc_co_u32_e32 v5, vcc, 0, v5, vcc
	s_cbranch_scc1 .LBB159_68
	s_branch .LBB159_61
.LBB159_69:
	s_endpgm
	.section	.rodata,"a",@progbits
	.p2align	6, 0x0
	.amdhsa_kernel _ZN9rocsparseL26csrgemm_fill_block_per_rowILj256ELj32ELj512ELj137ELj64Ell21rocsparse_complex_numIdEEEvT5_PKS3_S5_NS_24const_host_device_scalarIT6_EEPKT4_S5_PKS7_SB_S5_SD_S8_SB_S5_SD_SB_PS3_PS7_21rocsparse_index_base_SG_SG_SG_bbb
		.amdhsa_group_segment_fixed_size 0
		.amdhsa_private_segment_fixed_size 40
		.amdhsa_kernarg_size 172
		.amdhsa_user_sgpr_count 8
		.amdhsa_user_sgpr_private_segment_buffer 1
		.amdhsa_user_sgpr_dispatch_ptr 0
		.amdhsa_user_sgpr_queue_ptr 0
		.amdhsa_user_sgpr_kernarg_segment_ptr 1
		.amdhsa_user_sgpr_dispatch_id 0
		.amdhsa_user_sgpr_flat_scratch_init 1
		.amdhsa_user_sgpr_kernarg_preload_length 0
		.amdhsa_user_sgpr_kernarg_preload_offset 0
		.amdhsa_user_sgpr_private_segment_size 0
		.amdhsa_uses_dynamic_stack 0
		.amdhsa_system_sgpr_private_segment_wavefront_offset 1
		.amdhsa_system_sgpr_workgroup_id_x 1
		.amdhsa_system_sgpr_workgroup_id_y 0
		.amdhsa_system_sgpr_workgroup_id_z 0
		.amdhsa_system_sgpr_workgroup_info 0
		.amdhsa_system_vgpr_workitem_id 0
		.amdhsa_next_free_vgpr 40
		.amdhsa_next_free_sgpr 61
		.amdhsa_accum_offset 40
		.amdhsa_reserve_vcc 1
		.amdhsa_reserve_flat_scratch 1
		.amdhsa_float_round_mode_32 0
		.amdhsa_float_round_mode_16_64 0
		.amdhsa_float_denorm_mode_32 3
		.amdhsa_float_denorm_mode_16_64 3
		.amdhsa_dx10_clamp 1
		.amdhsa_ieee_mode 1
		.amdhsa_fp16_overflow 0
		.amdhsa_tg_split 0
		.amdhsa_exception_fp_ieee_invalid_op 0
		.amdhsa_exception_fp_denorm_src 0
		.amdhsa_exception_fp_ieee_div_zero 0
		.amdhsa_exception_fp_ieee_overflow 0
		.amdhsa_exception_fp_ieee_underflow 0
		.amdhsa_exception_fp_ieee_inexact 0
		.amdhsa_exception_int_div_zero 0
	.end_amdhsa_kernel
	.section	.text._ZN9rocsparseL26csrgemm_fill_block_per_rowILj256ELj32ELj512ELj137ELj64Ell21rocsparse_complex_numIdEEEvT5_PKS3_S5_NS_24const_host_device_scalarIT6_EEPKT4_S5_PKS7_SB_S5_SD_S8_SB_S5_SD_SB_PS3_PS7_21rocsparse_index_base_SG_SG_SG_bbb,"axG",@progbits,_ZN9rocsparseL26csrgemm_fill_block_per_rowILj256ELj32ELj512ELj137ELj64Ell21rocsparse_complex_numIdEEEvT5_PKS3_S5_NS_24const_host_device_scalarIT6_EEPKT4_S5_PKS7_SB_S5_SD_S8_SB_S5_SD_SB_PS3_PS7_21rocsparse_index_base_SG_SG_SG_bbb,comdat
.Lfunc_end159:
	.size	_ZN9rocsparseL26csrgemm_fill_block_per_rowILj256ELj32ELj512ELj137ELj64Ell21rocsparse_complex_numIdEEEvT5_PKS3_S5_NS_24const_host_device_scalarIT6_EEPKT4_S5_PKS7_SB_S5_SD_S8_SB_S5_SD_SB_PS3_PS7_21rocsparse_index_base_SG_SG_SG_bbb, .Lfunc_end159-_ZN9rocsparseL26csrgemm_fill_block_per_rowILj256ELj32ELj512ELj137ELj64Ell21rocsparse_complex_numIdEEEvT5_PKS3_S5_NS_24const_host_device_scalarIT6_EEPKT4_S5_PKS7_SB_S5_SD_S8_SB_S5_SD_SB_PS3_PS7_21rocsparse_index_base_SG_SG_SG_bbb
                                        ; -- End function
	.section	.AMDGPU.csdata,"",@progbits
; Kernel info:
; codeLenInByte = 3024
; NumSgprs: 67
; NumVgprs: 40
; NumAgprs: 0
; TotalNumVgprs: 40
; ScratchSize: 40
; MemoryBound: 0
; FloatMode: 240
; IeeeMode: 1
; LDSByteSize: 0 bytes/workgroup (compile time only)
; SGPRBlocks: 8
; VGPRBlocks: 4
; NumSGPRsForWavesPerEU: 67
; NumVGPRsForWavesPerEU: 40
; AccumOffset: 40
; Occupancy: 8
; WaveLimiterHint : 1
; COMPUTE_PGM_RSRC2:SCRATCH_EN: 1
; COMPUTE_PGM_RSRC2:USER_SGPR: 8
; COMPUTE_PGM_RSRC2:TRAP_HANDLER: 0
; COMPUTE_PGM_RSRC2:TGID_X_EN: 1
; COMPUTE_PGM_RSRC2:TGID_Y_EN: 0
; COMPUTE_PGM_RSRC2:TGID_Z_EN: 0
; COMPUTE_PGM_RSRC2:TIDIG_COMP_CNT: 0
; COMPUTE_PGM_RSRC3_GFX90A:ACCUM_OFFSET: 9
; COMPUTE_PGM_RSRC3_GFX90A:TG_SPLIT: 0
	.section	.text._ZN9rocsparseL26csrgemm_fill_block_per_rowILj512ELj32ELj1024ELj137ELj32Ell21rocsparse_complex_numIdEEEvT5_PKS3_S5_NS_24const_host_device_scalarIT6_EEPKT4_S5_PKS7_SB_S5_SD_S8_SB_S5_SD_SB_PS3_PS7_21rocsparse_index_base_SG_SG_SG_bbb,"axG",@progbits,_ZN9rocsparseL26csrgemm_fill_block_per_rowILj512ELj32ELj1024ELj137ELj32Ell21rocsparse_complex_numIdEEEvT5_PKS3_S5_NS_24const_host_device_scalarIT6_EEPKT4_S5_PKS7_SB_S5_SD_S8_SB_S5_SD_SB_PS3_PS7_21rocsparse_index_base_SG_SG_SG_bbb,comdat
	.globl	_ZN9rocsparseL26csrgemm_fill_block_per_rowILj512ELj32ELj1024ELj137ELj32Ell21rocsparse_complex_numIdEEEvT5_PKS3_S5_NS_24const_host_device_scalarIT6_EEPKT4_S5_PKS7_SB_S5_SD_S8_SB_S5_SD_SB_PS3_PS7_21rocsparse_index_base_SG_SG_SG_bbb ; -- Begin function _ZN9rocsparseL26csrgemm_fill_block_per_rowILj512ELj32ELj1024ELj137ELj32Ell21rocsparse_complex_numIdEEEvT5_PKS3_S5_NS_24const_host_device_scalarIT6_EEPKT4_S5_PKS7_SB_S5_SD_S8_SB_S5_SD_SB_PS3_PS7_21rocsparse_index_base_SG_SG_SG_bbb
	.p2align	8
	.type	_ZN9rocsparseL26csrgemm_fill_block_per_rowILj512ELj32ELj1024ELj137ELj32Ell21rocsparse_complex_numIdEEEvT5_PKS3_S5_NS_24const_host_device_scalarIT6_EEPKT4_S5_PKS7_SB_S5_SD_S8_SB_S5_SD_SB_PS3_PS7_21rocsparse_index_base_SG_SG_SG_bbb,@function
_ZN9rocsparseL26csrgemm_fill_block_per_rowILj512ELj32ELj1024ELj137ELj32Ell21rocsparse_complex_numIdEEEvT5_PKS3_S5_NS_24const_host_device_scalarIT6_EEPKT4_S5_PKS7_SB_S5_SD_S8_SB_S5_SD_SB_PS3_PS7_21rocsparse_index_base_SG_SG_SG_bbb: ; @_ZN9rocsparseL26csrgemm_fill_block_per_rowILj512ELj32ELj1024ELj137ELj32Ell21rocsparse_complex_numIdEEEvT5_PKS3_S5_NS_24const_host_device_scalarIT6_EEPKT4_S5_PKS7_SB_S5_SD_S8_SB_S5_SD_SB_PS3_PS7_21rocsparse_index_base_SG_SG_SG_bbb
; %bb.0:
	s_add_u32 flat_scratch_lo, s6, s9
	s_addc_u32 flat_scratch_hi, s7, 0
	s_load_dwordx4 s[12:15], s[4:5], 0x18
	s_load_dwordx4 s[28:31], s[4:5], 0x58
	s_add_u32 s0, s0, s9
	s_load_dword s9, s[4:5], 0xa8
	s_load_dwordx4 s[44:47], s[4:5], 0x98
	s_addc_u32 s1, s1, 0
	s_waitcnt lgkmcnt(0)
	v_mov_b32_e32 v1, s13
	buffer_store_dword v1, off, s[0:3], 0 offset:20
	s_bitcmp1_b32 s9, 0
	s_cselect_b64 s[56:57], -1, 0
	s_bitcmp1_b32 s9, 16
	v_mov_b32_e32 v1, s12
	s_cselect_b64 s[6:7], -1, 0
	buffer_store_dword v1, off, s[0:3], 0 offset:16
	v_mov_b32_e32 v1, s29
	buffer_store_dword v1, off, s[0:3], 0 offset:28
	v_mov_b32_e32 v1, s28
	s_xor_b64 s[10:11], s[6:7], -1
	buffer_store_dword v1, off, s[0:3], 0 offset:24
	v_pk_mov_b32 v[2:3], 0, 0
	v_cndmask_b32_e64 v1, 0, 1, s[10:11]
	s_bitcmp0_b32 s9, 0
	v_cmp_ne_u32_e64 s[10:11], 1, v1
	v_pk_mov_b32 v[6:7], v[2:3], v[2:3] op_sel:[0,1]
	v_pk_mov_b32 v[8:9], v[2:3], v[2:3] op_sel:[0,1]
	s_cbranch_scc1 .LBB160_3
; %bb.1:
	s_mov_b64 s[16:17], src_private_base
	s_and_b64 s[18:19], s[6:7], exec
	s_cselect_b32 s16, s17, s13
	v_mov_b32_e32 v1, 16
	v_mov_b32_e32 v4, s12
	v_cndmask_b32_e64 v4, v4, v1, s[6:7]
	v_mov_b32_e32 v5, s16
	flat_load_dwordx2 v[6:7], v[4:5]
	s_and_b64 vcc, exec, s[10:11]
	v_pk_mov_b32 v[8:9], s[14:15], s[14:15] op_sel:[0,1]
	s_cbranch_vccnz .LBB160_3
; %bb.2:
	v_pk_mov_b32 v[4:5], s[12:13], s[12:13] op_sel:[0,1]
	flat_load_dwordx2 v[8:9], v[4:5] offset:8
.LBB160_3:
	s_load_dwordx4 s[48:51], s[4:5], 0x88
	s_load_dwordx8 s[36:43], s[4:5], 0x68
	s_load_dwordx4 s[20:23], s[4:5], 0x48
	s_load_dwordx4 s[24:27], s[4:5], 0x8
	s_load_dwordx8 s[12:19], s[4:5], 0x28
	s_bitcmp1_b32 s9, 8
	s_cselect_b64 s[34:35], -1, 0
	s_bfe_u32 s9, s9, 0x10008
	s_mov_b64 s[54:55], 0
	s_cmp_eq_u32 s9, 0
	v_pk_mov_b32 v[4:5], v[2:3], v[2:3] op_sel:[0,1]
	s_cbranch_scc1 .LBB160_6
; %bb.4:
	s_mov_b64 s[52:53], src_private_base
	s_and_b64 s[58:59], s[6:7], exec
	s_cselect_b32 s9, s53, s29
	v_mov_b32_e32 v1, 24
	v_mov_b32_e32 v2, s28
	v_cndmask_b32_e64 v2, v2, v1, s[6:7]
	v_mov_b32_e32 v3, s9
	flat_load_dwordx2 v[4:5], v[2:3]
	s_and_b64 vcc, exec, s[10:11]
	v_pk_mov_b32 v[2:3], s[30:31], s[30:31] op_sel:[0,1]
	s_cbranch_vccnz .LBB160_6
; %bb.5:
	v_pk_mov_b32 v[2:3], s[28:29], s[28:29] op_sel:[0,1]
	flat_load_dwordx2 v[2:3], v[2:3] offset:8
.LBB160_6:
	s_load_dwordx2 s[52:53], s[4:5], 0x0
	s_mov_b32 s4, 0
	v_lshl_add_u32 v1, v0, 4, 0
	v_add_u32_e32 v1, 0x2000, v1
	v_or_b32_e32 v27, 0xfffffe00, v0
	v_lshl_add_u32 v30, v0, 3, 0
	s_mov_b32 s5, s4
	s_mov_b32 s6, s4
	;; [unrolled: 1-line block ×3, first 2 shown]
	s_waitcnt lgkmcnt(0)
	v_pk_mov_b32 v[10:11], s[52:53], s[52:53] op_sel:[0,1]
	v_pk_mov_b32 v[12:13], s[4:5], s[4:5] op_sel:[0,1]
	;; [unrolled: 1-line block ×3, first 2 shown]
	v_mov_b32_e32 v16, v30
	v_mov_b32_e32 v17, v27
	;; [unrolled: 1-line block ×3, first 2 shown]
.LBB160_7:                              ; =>This Inner Loop Header: Depth=1
	v_add_co_u32_e32 v17, vcc, 0x200, v17
	s_xor_b64 s[4:5], vcc, -1
	s_and_b64 s[4:5], exec, s[4:5]
	ds_write_b64 v16, v[10:11]
	ds_write2_b64 v18, v[12:13], v[14:15] offset1:1
	v_add_u32_e32 v18, 0x2000, v18
	s_or_b64 s[54:55], s[4:5], s[54:55]
	v_add_u32_e32 v16, 0x1000, v16
	s_andn2_b64 exec, exec, s[54:55]
	s_cbranch_execnz .LBB160_7
; %bb.8:
	s_or_b64 exec, exec, s[54:55]
	s_waitcnt lgkmcnt(0)
	s_barrier
	s_load_dwordx2 s[4:5], s[24:25], 0x0
	s_mov_b32 s9, 0
	v_lshrrev_b32_e32 v31, 5, v0
	s_waitcnt lgkmcnt(0)
	s_lshl_b64 s[4:5], s[4:5], 3
	s_add_u32 s6, s26, s4
	s_addc_u32 s7, s27, s5
	s_lshl_b64 s[4:5], s[8:9], 3
	s_add_u32 s4, s6, s4
	s_addc_u32 s5, s7, s5
	s_load_dwordx2 s[54:55], s[4:5], 0x0
	s_and_b64 vcc, exec, s[56:57]
	s_cbranch_vccz .LBB160_28
; %bb.9:
	s_waitcnt lgkmcnt(0)
	s_lshl_b64 s[4:5], s[54:55], 3
	s_add_u32 s4, s12, s4
	s_addc_u32 s5, s13, s5
	s_load_dwordx4 s[24:27], s[4:5], 0x0
	v_subrev_co_u32_e32 v10, vcc, s44, v31
	v_subb_co_u32_e64 v11, s[6:7], 0, 0, vcc
	s_waitcnt lgkmcnt(0)
	s_sub_u32 s4, s26, s44
	v_mov_b32_e32 v12, s25
	v_add_co_u32_e32 v10, vcc, s24, v10
	s_subb_u32 s5, s27, 0
	v_addc_co_u32_e32 v11, vcc, v12, v11, vcc
	v_cmp_gt_i64_e32 vcc, s[4:5], v[10:11]
	s_and_saveexec_b64 s[6:7], vcc
	s_cbranch_execz .LBB160_27
; %bb.10:
	v_and_b32_e32 v12, 31, v0
	v_subrev_co_u32_e32 v32, vcc, s45, v12
	s_mov_b32 s8, 0
	v_subb_co_u32_e64 v33, s[10:11], 0, 0, vcc
	s_mov_b32 s33, s44
	s_mov_b32 s58, s45
	s_mov_b64 s[10:11], 0
	v_mov_b32_e32 v34, s15
	v_mov_b32_e32 v35, s9
	;; [unrolled: 1-line block ×4, first 2 shown]
	s_movk_i32 s15, 0x89
	s_branch .LBB160_12
.LBB160_11:                             ;   in Loop: Header=BB160_12 Depth=1
	s_or_b64 exec, exec, s[8:9]
	v_add_co_u32_e32 v10, vcc, 16, v10
	v_addc_co_u32_e32 v11, vcc, 0, v11, vcc
	v_cmp_le_i64_e32 vcc, s[4:5], v[10:11]
	s_or_b64 s[10:11], vcc, s[10:11]
	s_andn2_b64 exec, exec, s[10:11]
	s_cbranch_execz .LBB160_27
.LBB160_12:                             ; =>This Loop Header: Depth=1
                                        ;     Child Loop BB160_15 Depth 2
                                        ;       Child Loop BB160_17 Depth 3
	v_lshlrev_b64 v[12:13], 3, v[10:11]
	v_add_co_u32_e32 v12, vcc, s14, v12
	v_addc_co_u32_e32 v13, vcc, v34, v13, vcc
	global_load_dwordx2 v[12:13], v[12:13], off
	s_waitcnt vmcnt(0)
	v_subrev_co_u32_e32 v12, vcc, s33, v12
	v_subb_co_u32_e32 v13, vcc, v13, v35, vcc
	v_lshlrev_b64 v[12:13], 3, v[12:13]
	v_add_co_u32_e32 v12, vcc, s18, v12
	v_addc_co_u32_e32 v13, vcc, v36, v13, vcc
	global_load_dwordx4 v[14:17], v[12:13], off
	s_waitcnt vmcnt(0)
	v_subrev_co_u32_e32 v12, vcc, s58, v16
	v_subb_co_u32_e32 v13, vcc, v17, v37, vcc
	v_add_co_u32_e32 v14, vcc, v14, v32
	v_addc_co_u32_e32 v15, vcc, v15, v33, vcc
	v_cmp_lt_i64_e32 vcc, v[14:15], v[12:13]
	s_and_saveexec_b64 s[8:9], vcc
	s_cbranch_execz .LBB160_11
; %bb.13:                               ;   in Loop: Header=BB160_12 Depth=1
	v_lshlrev_b64 v[16:17], 4, v[10:11]
	v_mov_b32_e32 v18, s17
	v_add_co_u32_e32 v16, vcc, s16, v16
	v_addc_co_u32_e32 v17, vcc, v18, v17, vcc
	global_load_dwordx4 v[20:23], v[16:17], off
	s_mov_b64 s[12:13], 0
	s_waitcnt vmcnt(0)
	v_mul_f64 v[16:17], v[22:23], -v[8:9]
	v_mul_f64 v[18:19], v[6:7], v[22:23]
	v_fmac_f64_e32 v[16:17], v[6:7], v[20:21]
	v_fmac_f64_e32 v[18:19], v[8:9], v[20:21]
	s_branch .LBB160_15
.LBB160_14:                             ;   in Loop: Header=BB160_15 Depth=2
	s_or_b64 exec, exec, s[24:25]
	v_add_co_u32_e32 v14, vcc, 32, v14
	v_addc_co_u32_e32 v15, vcc, 0, v15, vcc
	v_cmp_ge_i64_e32 vcc, v[14:15], v[12:13]
	s_or_b64 s[12:13], vcc, s[12:13]
	s_andn2_b64 exec, exec, s[12:13]
	s_cbranch_execz .LBB160_11
.LBB160_15:                             ;   Parent Loop BB160_12 Depth=1
                                        ; =>  This Loop Header: Depth=2
                                        ;       Child Loop BB160_17 Depth 3
	v_lshlrev_b64 v[20:21], 3, v[14:15]
	v_mov_b32_e32 v22, s21
	v_add_co_u32_e32 v20, vcc, s20, v20
	v_addc_co_u32_e32 v21, vcc, v22, v21, vcc
	v_lshlrev_b64 v[22:23], 4, v[14:15]
	v_mov_b32_e32 v24, s23
	v_add_co_u32_e32 v22, vcc, s22, v22
	global_load_dwordx2 v[20:21], v[20:21], off
	v_addc_co_u32_e32 v23, vcc, v24, v23, vcc
	global_load_dwordx4 v[38:41], v[22:23], off
	s_mov_b64 s[24:25], 0
	s_waitcnt vmcnt(1)
	v_subrev_co_u32_e32 v20, vcc, s58, v20
	v_mul_lo_u32 v26, v20, s15
	s_waitcnt vmcnt(0)
	v_mul_f64 v[22:23], v[40:41], -v[18:19]
	v_mul_f64 v[24:25], v[16:17], v[40:41]
	v_subb_co_u32_e32 v21, vcc, v21, v37, vcc
	v_fmac_f64_e32 v[22:23], v[16:17], v[38:39]
	v_fmac_f64_e32 v[24:25], v[18:19], v[38:39]
	v_and_b32_e32 v26, 0x3ff, v26
	s_branch .LBB160_17
.LBB160_16:                             ;   in Loop: Header=BB160_17 Depth=3
	s_or_b64 exec, exec, s[26:27]
	s_xor_b64 s[26:27], s[28:29], -1
	s_and_b64 s[26:27], exec, s[26:27]
	s_or_b64 s[24:25], s[26:27], s[24:25]
	s_andn2_b64 exec, exec, s[24:25]
	s_cbranch_execz .LBB160_14
.LBB160_17:                             ;   Parent Loop BB160_12 Depth=1
                                        ;     Parent Loop BB160_15 Depth=2
                                        ; =>    This Inner Loop Header: Depth=3
	v_lshl_add_u32 v38, v26, 3, 0
	ds_read_b64 v[28:29], v38
                                        ; implicit-def: $sgpr28_sgpr29
	s_waitcnt lgkmcnt(0)
	v_cmp_ne_u64_e32 vcc, v[28:29], v[20:21]
	s_and_saveexec_b64 s[26:27], vcc
	s_xor_b64 s[26:27], exec, s[26:27]
	s_cbranch_execz .LBB160_25
; %bb.18:                               ;   in Loop: Header=BB160_17 Depth=3
	v_cmp_ne_u64_e32 vcc, s[52:53], v[28:29]
                                        ; implicit-def: $sgpr28_sgpr29
	s_and_saveexec_b64 s[30:31], vcc
	s_xor_b64 s[30:31], exec, s[30:31]
; %bb.19:                               ;   in Loop: Header=BB160_17 Depth=3
	v_add_u32_e32 v26, 1, v26
	v_and_b32_e32 v26, 0x3ff, v26
	s_mov_b64 s[28:29], -1
                                        ; implicit-def: $vgpr38
; %bb.20:                               ;   in Loop: Header=BB160_17 Depth=3
	s_andn2_saveexec_b64 s[30:31], s[30:31]
	s_cbranch_execz .LBB160_24
; %bb.21:                               ;   in Loop: Header=BB160_17 Depth=3
	v_pk_mov_b32 v[28:29], s[52:53], s[52:53] op_sel:[0,1]
	ds_cmpst_rtn_b64 v[28:29], v38, v[28:29], v[20:21]
	s_mov_b64 s[44:45], -1
	s_waitcnt lgkmcnt(0)
	v_cmp_eq_u64_e32 vcc, s[52:53], v[28:29]
	s_and_saveexec_b64 s[56:57], vcc
	s_cbranch_execz .LBB160_23
; %bb.22:                               ;   in Loop: Header=BB160_17 Depth=3
	v_lshl_add_u32 v28, v26, 3, v38
	ds_add_f64 v28, v[22:23] offset:8192
	ds_add_f64 v28, v[24:25] offset:8200
	s_xor_b64 s[44:45], exec, -1
.LBB160_23:                             ;   in Loop: Header=BB160_17 Depth=3
	s_or_b64 exec, exec, s[56:57]
	s_andn2_b64 s[28:29], s[28:29], exec
	s_and_b64 s[44:45], s[44:45], exec
	s_or_b64 s[28:29], s[28:29], s[44:45]
.LBB160_24:                             ;   in Loop: Header=BB160_17 Depth=3
	s_or_b64 exec, exec, s[30:31]
	s_and_b64 s[28:29], s[28:29], exec
                                        ; implicit-def: $vgpr38
.LBB160_25:                             ;   in Loop: Header=BB160_17 Depth=3
	s_andn2_saveexec_b64 s[26:27], s[26:27]
	s_cbranch_execz .LBB160_16
; %bb.26:                               ;   in Loop: Header=BB160_17 Depth=3
	v_lshl_add_u32 v28, v26, 3, v38
	ds_add_f64 v28, v[22:23] offset:8192
	ds_add_f64 v28, v[24:25] offset:8200
	s_andn2_b64 s[28:29], s[28:29], exec
	s_branch .LBB160_16
.LBB160_27:
	s_or_b64 exec, exec, s[6:7]
.LBB160_28:
	s_andn2_b64 vcc, exec, s[34:35]
	s_cbranch_vccnz .LBB160_45
; %bb.29:
	s_waitcnt lgkmcnt(0)
	s_lshl_b64 s[4:5], s[54:55], 3
	s_add_u32 s4, s36, s4
	s_addc_u32 s5, s37, s5
	s_load_dwordx4 s[12:15], s[4:5], 0x0
	s_waitcnt vmcnt(0)
	v_subrev_co_u32_e32 v6, vcc, s47, v0
	v_subb_co_u32_e64 v7, s[6:7], 0, 0, vcc
	s_waitcnt lgkmcnt(0)
	s_sub_u32 s4, s14, s47
	v_mov_b32_e32 v8, s13
	v_add_co_u32_e32 v6, vcc, s12, v6
	s_subb_u32 s5, s15, 0
	v_addc_co_u32_e32 v7, vcc, v8, v7, vcc
	s_mov_b32 s10, 0
	v_cmp_gt_i64_e32 vcc, s[4:5], v[6:7]
	s_and_saveexec_b64 s[6:7], vcc
	s_cbranch_execz .LBB160_44
; %bb.30:
	s_mov_b32 s22, s47
	s_mov_b64 s[8:9], 0
	v_mov_b32_e32 v15, s39
	v_mov_b32_e32 v18, s10
	;; [unrolled: 1-line block ×3, first 2 shown]
	s_movk_i32 s23, 0x89
	s_branch .LBB160_32
.LBB160_31:                             ;   in Loop: Header=BB160_32 Depth=1
	s_or_b64 exec, exec, s[10:11]
	v_add_co_u32_e32 v6, vcc, 0x200, v6
	v_addc_co_u32_e32 v7, vcc, 0, v7, vcc
	v_cmp_le_i64_e32 vcc, s[4:5], v[6:7]
	s_or_b64 s[8:9], vcc, s[8:9]
	s_andn2_b64 exec, exec, s[8:9]
	s_cbranch_execz .LBB160_44
.LBB160_32:                             ; =>This Loop Header: Depth=1
                                        ;     Child Loop BB160_34 Depth 2
	v_lshlrev_b64 v[8:9], 3, v[6:7]
	v_add_co_u32_e32 v8, vcc, s38, v8
	v_addc_co_u32_e32 v9, vcc, v15, v9, vcc
	v_lshlrev_b64 v[10:11], 4, v[6:7]
	v_add_co_u32_e32 v10, vcc, s40, v10
	global_load_dwordx2 v[8:9], v[8:9], off
	v_addc_co_u32_e32 v11, vcc, v19, v11, vcc
	global_load_dwordx4 v[20:23], v[10:11], off
	s_mov_b64 s[10:11], 0
	s_waitcnt vmcnt(1)
	v_subrev_co_u32_e32 v8, vcc, s22, v8
	v_mul_lo_u32 v14, v8, s23
	s_waitcnt vmcnt(0)
	v_mul_f64 v[10:11], v[22:23], -v[2:3]
	v_mul_f64 v[12:13], v[4:5], v[22:23]
	v_subb_co_u32_e32 v9, vcc, v9, v18, vcc
	v_fmac_f64_e32 v[10:11], v[4:5], v[20:21]
	v_fmac_f64_e32 v[12:13], v[2:3], v[20:21]
	v_and_b32_e32 v14, 0x3ff, v14
	s_branch .LBB160_34
.LBB160_33:                             ;   in Loop: Header=BB160_34 Depth=2
	s_or_b64 exec, exec, s[12:13]
	s_xor_b64 s[12:13], s[14:15], -1
	s_and_b64 s[12:13], exec, s[12:13]
	s_or_b64 s[10:11], s[12:13], s[10:11]
	s_andn2_b64 exec, exec, s[10:11]
	s_cbranch_execz .LBB160_31
.LBB160_34:                             ;   Parent Loop BB160_32 Depth=1
                                        ; =>  This Inner Loop Header: Depth=2
	v_lshl_add_u32 v20, v14, 3, 0
	ds_read_b64 v[16:17], v20
                                        ; implicit-def: $sgpr14_sgpr15
	s_waitcnt lgkmcnt(0)
	v_cmp_ne_u64_e32 vcc, v[16:17], v[8:9]
	s_and_saveexec_b64 s[12:13], vcc
	s_xor_b64 s[12:13], exec, s[12:13]
	s_cbranch_execz .LBB160_42
; %bb.35:                               ;   in Loop: Header=BB160_34 Depth=2
	v_cmp_ne_u64_e32 vcc, s[52:53], v[16:17]
                                        ; implicit-def: $sgpr14_sgpr15
	s_and_saveexec_b64 s[16:17], vcc
	s_xor_b64 s[16:17], exec, s[16:17]
; %bb.36:                               ;   in Loop: Header=BB160_34 Depth=2
	v_add_u32_e32 v14, 1, v14
	v_and_b32_e32 v14, 0x3ff, v14
	s_mov_b64 s[14:15], -1
                                        ; implicit-def: $vgpr20
; %bb.37:                               ;   in Loop: Header=BB160_34 Depth=2
	s_andn2_saveexec_b64 s[16:17], s[16:17]
	s_cbranch_execz .LBB160_41
; %bb.38:                               ;   in Loop: Header=BB160_34 Depth=2
	v_pk_mov_b32 v[16:17], s[52:53], s[52:53] op_sel:[0,1]
	ds_cmpst_rtn_b64 v[16:17], v20, v[16:17], v[8:9]
	s_mov_b64 s[18:19], -1
	s_waitcnt lgkmcnt(0)
	v_cmp_eq_u64_e32 vcc, s[52:53], v[16:17]
	s_and_saveexec_b64 s[20:21], vcc
	s_cbranch_execz .LBB160_40
; %bb.39:                               ;   in Loop: Header=BB160_34 Depth=2
	v_lshl_add_u32 v16, v14, 3, v20
	ds_add_f64 v16, v[10:11] offset:8192
	ds_add_f64 v16, v[12:13] offset:8200
	s_xor_b64 s[18:19], exec, -1
.LBB160_40:                             ;   in Loop: Header=BB160_34 Depth=2
	s_or_b64 exec, exec, s[20:21]
	s_andn2_b64 s[14:15], s[14:15], exec
	s_and_b64 s[18:19], s[18:19], exec
	s_or_b64 s[14:15], s[14:15], s[18:19]
.LBB160_41:                             ;   in Loop: Header=BB160_34 Depth=2
	s_or_b64 exec, exec, s[16:17]
	s_and_b64 s[14:15], s[14:15], exec
                                        ; implicit-def: $vgpr20
.LBB160_42:                             ;   in Loop: Header=BB160_34 Depth=2
	s_andn2_saveexec_b64 s[12:13], s[12:13]
	s_cbranch_execz .LBB160_33
; %bb.43:                               ;   in Loop: Header=BB160_34 Depth=2
	v_lshl_add_u32 v16, v14, 3, v20
	ds_add_f64 v16, v[10:11] offset:8192
	ds_add_f64 v16, v[12:13] offset:8200
	s_andn2_b64 s[14:15], s[14:15], exec
	s_branch .LBB160_33
.LBB160_44:
	s_or_b64 exec, exec, s[6:7]
.LBB160_45:
	s_waitcnt vmcnt(0)
	v_mbcnt_lo_u32_b32 v2, -1, 0
	v_mbcnt_hi_u32_b32 v2, -1, v2
	s_movk_i32 s33, 0x1bf
	v_sub_u32_e32 v2, 63, v2
	s_movk_i32 s4, 0x1ff
	s_movk_i32 s10, 0x5f
	;; [unrolled: 1-line block ×12, first 2 shown]
	v_cmp_lt_u32_e64 s[34:35], s33, v0
	s_movk_i32 s33, 0x1df
	v_mov_b32_e32 v3, 0
	v_lshrrev_b64 v[4:5], v2, -1
	v_lshl_add_u32 v12, v31, 3, 0
	v_cmp_eq_u32_e64 s[4:5], s4, v0
	v_cmp_lt_u32_e64 s[6:7], 31, v0
	v_cmp_lt_u32_e64 s[8:9], 63, v0
	;; [unrolled: 1-line block ×14, first 2 shown]
	s_mov_b64 s[38:39], 0
	v_pk_mov_b32 v[6:7], 0, 0
	s_waitcnt lgkmcnt(0)
	s_barrier
	s_branch .LBB160_47
.LBB160_46:                             ;   in Loop: Header=BB160_47 Depth=1
	s_or_b64 exec, exec, s[40:41]
	s_waitcnt lgkmcnt(0)
	s_barrier
	ds_read_b64 v[8:9], v3 offset:24696
	v_add_u32_e32 v1, 0x2000, v1
	v_add_u32_e32 v30, 0x1000, v30
	s_waitcnt lgkmcnt(0)
	v_add_co_u32_e32 v6, vcc, v8, v6
	v_addc_co_u32_e32 v7, vcc, v9, v7, vcc
	v_add_co_u32_e32 v27, vcc, 0x200, v27
	s_xor_b64 s[40:41], vcc, -1
	s_and_b64 s[40:41], exec, s[40:41]
	s_or_b64 s[38:39], s[40:41], s[38:39]
	s_andn2_b64 exec, exec, s[38:39]
	s_cbranch_execz .LBB160_81
.LBB160_47:                             ; =>This Inner Loop Header: Depth=1
	ds_read2_b64 v[14:17], v1 offset1:1
	ds_read_b64 v[10:11], v30
	s_waitcnt lgkmcnt(1)
	buffer_store_dword v17, off, s[0:3], 0 offset:12
	buffer_store_dword v16, off, s[0:3], 0 offset:8
	;; [unrolled: 1-line block ×3, first 2 shown]
	buffer_store_dword v14, off, s[0:3], 0
	s_waitcnt lgkmcnt(0)
	v_cmp_gt_i64_e32 vcc, s[52:53], v[10:11]
	v_and_b32_e32 v9, vcc_lo, v4
	s_bcnt1_i32_b64 s33, vcc
	v_and_b32_e32 v8, vcc_hi, v5
	v_bcnt_u32_b32 v9, v9, 0
	v_mov_b32_e32 v2, s33
	v_bcnt_u32_b32 v8, v8, v9
	s_barrier
	ds_write_b64 v12, v[2:3] offset:24576
	s_waitcnt lgkmcnt(0)
	s_barrier
	s_and_saveexec_b64 s[40:41], s[6:7]
	s_cbranch_execnz .LBB160_64
; %bb.48:                               ;   in Loop: Header=BB160_47 Depth=1
	s_or_b64 exec, exec, s[40:41]
	s_and_saveexec_b64 s[40:41], s[8:9]
	s_cbranch_execnz .LBB160_65
.LBB160_49:                             ;   in Loop: Header=BB160_47 Depth=1
	s_or_b64 exec, exec, s[40:41]
	s_and_saveexec_b64 s[40:41], s[10:11]
	s_cbranch_execnz .LBB160_66
.LBB160_50:                             ;   in Loop: Header=BB160_47 Depth=1
	s_or_b64 exec, exec, s[40:41]
	s_and_saveexec_b64 s[40:41], s[12:13]
	s_cbranch_execnz .LBB160_67
.LBB160_51:                             ;   in Loop: Header=BB160_47 Depth=1
	s_or_b64 exec, exec, s[40:41]
	s_and_saveexec_b64 s[40:41], s[14:15]
	s_cbranch_execnz .LBB160_68
.LBB160_52:                             ;   in Loop: Header=BB160_47 Depth=1
	s_or_b64 exec, exec, s[40:41]
	s_and_saveexec_b64 s[40:41], s[16:17]
	s_cbranch_execnz .LBB160_69
.LBB160_53:                             ;   in Loop: Header=BB160_47 Depth=1
	s_or_b64 exec, exec, s[40:41]
	s_and_saveexec_b64 s[40:41], s[18:19]
	s_cbranch_execnz .LBB160_70
.LBB160_54:                             ;   in Loop: Header=BB160_47 Depth=1
	s_or_b64 exec, exec, s[40:41]
	s_and_saveexec_b64 s[40:41], s[20:21]
	s_cbranch_execnz .LBB160_71
.LBB160_55:                             ;   in Loop: Header=BB160_47 Depth=1
	s_or_b64 exec, exec, s[40:41]
	s_and_saveexec_b64 s[40:41], s[22:23]
	s_cbranch_execnz .LBB160_72
.LBB160_56:                             ;   in Loop: Header=BB160_47 Depth=1
	s_or_b64 exec, exec, s[40:41]
	s_and_saveexec_b64 s[40:41], s[24:25]
	s_cbranch_execnz .LBB160_73
.LBB160_57:                             ;   in Loop: Header=BB160_47 Depth=1
	s_or_b64 exec, exec, s[40:41]
	s_and_saveexec_b64 s[40:41], s[26:27]
	s_cbranch_execnz .LBB160_74
.LBB160_58:                             ;   in Loop: Header=BB160_47 Depth=1
	s_or_b64 exec, exec, s[40:41]
	s_and_saveexec_b64 s[40:41], s[28:29]
	s_cbranch_execnz .LBB160_75
.LBB160_59:                             ;   in Loop: Header=BB160_47 Depth=1
	s_or_b64 exec, exec, s[40:41]
	s_and_saveexec_b64 s[40:41], s[30:31]
	s_cbranch_execnz .LBB160_76
.LBB160_60:                             ;   in Loop: Header=BB160_47 Depth=1
	s_or_b64 exec, exec, s[40:41]
	s_and_saveexec_b64 s[40:41], s[34:35]
	s_cbranch_execnz .LBB160_77
.LBB160_61:                             ;   in Loop: Header=BB160_47 Depth=1
	s_or_b64 exec, exec, s[40:41]
	s_and_saveexec_b64 s[40:41], s[36:37]
	s_cbranch_execnz .LBB160_78
.LBB160_62:                             ;   in Loop: Header=BB160_47 Depth=1
	s_or_b64 exec, exec, s[40:41]
	v_ashrrev_i32_e32 v9, 31, v8
	s_and_saveexec_b64 s[40:41], vcc
	s_cbranch_execnz .LBB160_79
.LBB160_63:                             ;   in Loop: Header=BB160_47 Depth=1
	s_or_b64 exec, exec, s[40:41]
	s_and_saveexec_b64 s[40:41], s[4:5]
	s_cbranch_execz .LBB160_46
	s_branch .LBB160_80
.LBB160_64:                             ;   in Loop: Header=BB160_47 Depth=1
	ds_read_b32 v2, v3 offset:24576
	s_waitcnt lgkmcnt(0)
	v_add_u32_e32 v8, v2, v8
	s_or_b64 exec, exec, s[40:41]
	s_and_saveexec_b64 s[40:41], s[8:9]
	s_cbranch_execz .LBB160_49
.LBB160_65:                             ;   in Loop: Header=BB160_47 Depth=1
	ds_read_b32 v2, v3 offset:24584
	s_waitcnt lgkmcnt(0)
	v_add_u32_e32 v8, v8, v2
	s_or_b64 exec, exec, s[40:41]
	s_and_saveexec_b64 s[40:41], s[10:11]
	s_cbranch_execz .LBB160_50
.LBB160_66:                             ;   in Loop: Header=BB160_47 Depth=1
	ds_read_b32 v2, v3 offset:24592
	s_waitcnt lgkmcnt(0)
	v_add_u32_e32 v8, v8, v2
	s_or_b64 exec, exec, s[40:41]
	s_and_saveexec_b64 s[40:41], s[12:13]
	s_cbranch_execz .LBB160_51
.LBB160_67:                             ;   in Loop: Header=BB160_47 Depth=1
	ds_read_b32 v2, v3 offset:24600
	s_waitcnt lgkmcnt(0)
	v_add_u32_e32 v8, v8, v2
	s_or_b64 exec, exec, s[40:41]
	s_and_saveexec_b64 s[40:41], s[14:15]
	s_cbranch_execz .LBB160_52
.LBB160_68:                             ;   in Loop: Header=BB160_47 Depth=1
	ds_read_b32 v2, v3 offset:24608
	s_waitcnt lgkmcnt(0)
	v_add_u32_e32 v8, v8, v2
	s_or_b64 exec, exec, s[40:41]
	s_and_saveexec_b64 s[40:41], s[16:17]
	s_cbranch_execz .LBB160_53
.LBB160_69:                             ;   in Loop: Header=BB160_47 Depth=1
	ds_read_b32 v2, v3 offset:24616
	s_waitcnt lgkmcnt(0)
	v_add_u32_e32 v8, v8, v2
	s_or_b64 exec, exec, s[40:41]
	s_and_saveexec_b64 s[40:41], s[18:19]
	s_cbranch_execz .LBB160_54
.LBB160_70:                             ;   in Loop: Header=BB160_47 Depth=1
	ds_read_b32 v2, v3 offset:24624
	s_waitcnt lgkmcnt(0)
	v_add_u32_e32 v8, v8, v2
	s_or_b64 exec, exec, s[40:41]
	s_and_saveexec_b64 s[40:41], s[20:21]
	s_cbranch_execz .LBB160_55
.LBB160_71:                             ;   in Loop: Header=BB160_47 Depth=1
	ds_read_b32 v2, v3 offset:24632
	s_waitcnt lgkmcnt(0)
	v_add_u32_e32 v8, v8, v2
	s_or_b64 exec, exec, s[40:41]
	s_and_saveexec_b64 s[40:41], s[22:23]
	s_cbranch_execz .LBB160_56
.LBB160_72:                             ;   in Loop: Header=BB160_47 Depth=1
	ds_read_b32 v2, v3 offset:24640
	s_waitcnt lgkmcnt(0)
	v_add_u32_e32 v8, v8, v2
	s_or_b64 exec, exec, s[40:41]
	s_and_saveexec_b64 s[40:41], s[24:25]
	s_cbranch_execz .LBB160_57
.LBB160_73:                             ;   in Loop: Header=BB160_47 Depth=1
	ds_read_b32 v2, v3 offset:24648
	s_waitcnt lgkmcnt(0)
	v_add_u32_e32 v8, v8, v2
	s_or_b64 exec, exec, s[40:41]
	s_and_saveexec_b64 s[40:41], s[26:27]
	s_cbranch_execz .LBB160_58
.LBB160_74:                             ;   in Loop: Header=BB160_47 Depth=1
	ds_read_b32 v2, v3 offset:24656
	s_waitcnt lgkmcnt(0)
	v_add_u32_e32 v8, v8, v2
	s_or_b64 exec, exec, s[40:41]
	s_and_saveexec_b64 s[40:41], s[28:29]
	s_cbranch_execz .LBB160_59
.LBB160_75:                             ;   in Loop: Header=BB160_47 Depth=1
	ds_read_b32 v2, v3 offset:24664
	s_waitcnt lgkmcnt(0)
	v_add_u32_e32 v8, v8, v2
	s_or_b64 exec, exec, s[40:41]
	s_and_saveexec_b64 s[40:41], s[30:31]
	s_cbranch_execz .LBB160_60
.LBB160_76:                             ;   in Loop: Header=BB160_47 Depth=1
	ds_read_b32 v2, v3 offset:24672
	s_waitcnt lgkmcnt(0)
	v_add_u32_e32 v8, v8, v2
	s_or_b64 exec, exec, s[40:41]
	s_and_saveexec_b64 s[40:41], s[34:35]
	s_cbranch_execz .LBB160_61
.LBB160_77:                             ;   in Loop: Header=BB160_47 Depth=1
	ds_read_b32 v2, v3 offset:24680
	s_waitcnt lgkmcnt(0)
	v_add_u32_e32 v8, v8, v2
	s_or_b64 exec, exec, s[40:41]
	s_and_saveexec_b64 s[40:41], s[36:37]
	s_cbranch_execz .LBB160_62
.LBB160_78:                             ;   in Loop: Header=BB160_47 Depth=1
	ds_read_b32 v2, v3 offset:24688
	s_waitcnt lgkmcnt(0)
	v_add_u32_e32 v8, v8, v2
	s_or_b64 exec, exec, s[40:41]
	v_ashrrev_i32_e32 v9, 31, v8
	s_and_saveexec_b64 s[40:41], vcc
	s_cbranch_execz .LBB160_63
.LBB160_79:                             ;   in Loop: Header=BB160_47 Depth=1
	buffer_load_dword v14, off, s[0:3], 0
	buffer_load_dword v15, off, s[0:3], 0 offset:4
	buffer_load_dword v16, off, s[0:3], 0 offset:8
	;; [unrolled: 1-line block ×3, first 2 shown]
	v_add3_u32 v2, v6, -1, v8
	v_lshl_add_u32 v13, v2, 3, 0
	v_lshl_add_u32 v2, v2, 4, 0
	v_add_u32_e32 v2, 0x2000, v2
	ds_write_b64 v13, v[10:11]
	s_waitcnt vmcnt(0)
	ds_write2_b64 v2, v[14:15], v[16:17] offset1:1
	s_or_b64 exec, exec, s[40:41]
	s_and_saveexec_b64 s[40:41], s[4:5]
	s_cbranch_execz .LBB160_46
.LBB160_80:                             ;   in Loop: Header=BB160_47 Depth=1
	ds_write_b64 v3, v[8:9] offset:24696
	s_branch .LBB160_46
.LBB160_81:
	s_or_b64 exec, exec, s[38:39]
	s_lshl_b64 s[4:5], s[54:55], 3
	s_add_u32 s4, s42, s4
	s_addc_u32 s5, s43, s5
	s_load_dwordx4 s[4:7], s[4:5], 0x0
	v_mov_b32_e32 v1, 0
	s_waitcnt lgkmcnt(0)
	s_sub_u32 s8, s6, s4
	s_subb_u32 s9, s7, s5
	v_cmp_gt_i64_e32 vcc, s[8:9], v[0:1]
	s_and_saveexec_b64 s[10:11], vcc
	s_cbranch_execz .LBB160_91
; %bb.82:
	s_sub_u32 s10, s4, s46
	s_subb_u32 s11, s5, 0
	s_and_b32 s12, s8, 7
	s_sub_u32 s4, s4, s6
	s_mov_b32 s20, 0
	s_subb_u32 s5, s5, s7
	s_mov_b32 s13, s20
	s_and_b32 s6, s8, -8
	v_cmp_lt_u64_e64 s[4:5], s[4:5], -7
	s_cmp_lg_u64 s[12:13], 0
	v_cndmask_b32_e64 v2, 0, 1, s[4:5]
	s_mov_b32 s7, s9
	s_mov_b64 s[14:15], 0
	s_cselect_b64 s[16:17], -1, 0
	v_cmp_ne_u32_e64 s[4:5], 1, v2
	s_movk_i32 s21, 0x2000
	s_branch .LBB160_84
.LBB160_83:                             ;   in Loop: Header=BB160_84 Depth=1
	v_lshlrev_b32_e32 v7, 3, v0
	v_add3_u32 v8, v6, v7, s21
	v_mov_b32_e32 v6, s20
	s_waitcnt lgkmcnt(0)
	v_add_co_u32_e32 v2, vcc, s46, v2
	v_addc_co_u32_e32 v3, vcc, v3, v6, vcc
	v_lshlrev_b64 v[6:7], 3, v[4:5]
	v_mov_b32_e32 v9, s49
	v_add_co_u32_e32 v6, vcc, s48, v6
	v_addc_co_u32_e32 v7, vcc, v9, v7, vcc
	global_store_dwordx2 v[6:7], v[2:3], off
	v_lshlrev_b64 v[2:3], 4, v[4:5]
	v_mov_b32_e32 v4, s51
	v_add_co_u32_e32 v6, vcc, s50, v2
	v_addc_co_u32_e32 v7, vcc, v4, v3, vcc
	ds_read2_b64 v[2:5], v8 offset1:1
	v_add_co_u32_e32 v0, vcc, 0x200, v0
	v_addc_co_u32_e32 v1, vcc, 0, v1, vcc
	v_cmp_le_i64_e32 vcc, s[8:9], v[0:1]
	s_or_b64 s[14:15], vcc, s[14:15]
	s_waitcnt lgkmcnt(0)
	global_store_dwordx4 v[6:7], v[2:5], off
	s_andn2_b64 exec, exec, s[14:15]
	s_cbranch_execz .LBB160_91
.LBB160_84:                             ; =>This Loop Header: Depth=1
                                        ;     Child Loop BB160_86 Depth 2
                                        ;     Child Loop BB160_90 Depth 2
	v_lshl_add_u32 v6, v0, 3, 0
	ds_read_b64 v[2:3], v6
	s_and_b64 vcc, exec, s[4:5]
	v_pk_mov_b32 v[4:5], s[10:11], s[10:11] op_sel:[0,1]
	s_mov_b64 s[18:19], 0
	s_cbranch_vccnz .LBB160_88
; %bb.85:                               ;   in Loop: Header=BB160_84 Depth=1
	s_mov_b32 s22, 0
	v_pk_mov_b32 v[4:5], s[10:11], s[10:11] op_sel:[0,1]
.LBB160_86:                             ;   Parent Loop BB160_84 Depth=1
                                        ; =>  This Inner Loop Header: Depth=2
	v_mov_b32_e32 v7, s22
	ds_read2_b64 v[8:11], v7 offset1:1
	ds_read2_b64 v[12:15], v7 offset0:2 offset1:3
	ds_read2_b64 v[16:19], v7 offset0:4 offset1:5
	;; [unrolled: 1-line block ×3, first 2 shown]
	s_add_u32 s18, s18, 8
	s_waitcnt lgkmcnt(3)
	v_cmp_gt_i64_e32 vcc, v[2:3], v[8:9]
	v_cndmask_b32_e64 v7, 0, 1, vcc
	v_cmp_gt_i64_e32 vcc, v[2:3], v[10:11]
	v_cndmask_b32_e64 v8, 0, 1, vcc
	s_waitcnt lgkmcnt(2)
	v_cmp_gt_i64_e32 vcc, v[2:3], v[12:13]
	v_cndmask_b32_e64 v9, 0, 1, vcc
	v_cmp_gt_i64_e32 vcc, v[2:3], v[14:15]
	v_cndmask_b32_e64 v10, 0, 1, vcc
	;; [unrolled: 5-line block ×4, first 2 shown]
	v_add_co_u32_e32 v4, vcc, v4, v7
	v_addc_co_u32_e32 v5, vcc, 0, v5, vcc
	v_add_co_u32_e32 v4, vcc, v4, v8
	v_addc_co_u32_e32 v5, vcc, 0, v5, vcc
	v_add_co_u32_e32 v4, vcc, v4, v9
	v_addc_co_u32_e32 v5, vcc, 0, v5, vcc
	v_add_co_u32_e32 v4, vcc, v4, v10
	v_addc_co_u32_e32 v5, vcc, 0, v5, vcc
	v_add_co_u32_e32 v4, vcc, v4, v11
	v_addc_co_u32_e32 v5, vcc, 0, v5, vcc
	v_add_co_u32_e32 v4, vcc, v4, v12
	v_addc_co_u32_e32 v5, vcc, 0, v5, vcc
	v_add_co_u32_e32 v4, vcc, v4, v13
	v_addc_co_u32_e32 v5, vcc, 0, v5, vcc
	s_addc_u32 s19, s19, 0
	s_add_i32 s22, s22, 64
	v_add_co_u32_e32 v4, vcc, v4, v14
	s_cmp_eq_u64 s[6:7], s[18:19]
	v_addc_co_u32_e32 v5, vcc, 0, v5, vcc
	s_cbranch_scc0 .LBB160_86
; %bb.87:                               ;   in Loop: Header=BB160_84 Depth=1
	s_mov_b64 s[18:19], s[6:7]
.LBB160_88:                             ;   in Loop: Header=BB160_84 Depth=1
	s_andn2_b64 vcc, exec, s[16:17]
	s_cbranch_vccnz .LBB160_83
; %bb.89:                               ;   in Loop: Header=BB160_84 Depth=1
	s_lshl_b32 s18, s18, 3
	s_add_i32 s22, s18, 0
	s_mov_b64 s[18:19], s[12:13]
.LBB160_90:                             ;   Parent Loop BB160_84 Depth=1
                                        ; =>  This Inner Loop Header: Depth=2
	v_mov_b32_e32 v7, s22
	ds_read_b64 v[8:9], v7
	s_add_i32 s22, s22, 8
	s_add_u32 s18, s18, -1
	s_addc_u32 s19, s19, -1
	s_cmp_lg_u64 s[18:19], 0
	s_waitcnt lgkmcnt(0)
	v_cmp_gt_i64_e32 vcc, v[2:3], v[8:9]
	v_cndmask_b32_e64 v7, 0, 1, vcc
	v_add_co_u32_e32 v4, vcc, v4, v7
	v_addc_co_u32_e32 v5, vcc, 0, v5, vcc
	s_cbranch_scc1 .LBB160_90
	s_branch .LBB160_83
.LBB160_91:
	s_endpgm
	.section	.rodata,"a",@progbits
	.p2align	6, 0x0
	.amdhsa_kernel _ZN9rocsparseL26csrgemm_fill_block_per_rowILj512ELj32ELj1024ELj137ELj32Ell21rocsparse_complex_numIdEEEvT5_PKS3_S5_NS_24const_host_device_scalarIT6_EEPKT4_S5_PKS7_SB_S5_SD_S8_SB_S5_SD_SB_PS3_PS7_21rocsparse_index_base_SG_SG_SG_bbb
		.amdhsa_group_segment_fixed_size 0
		.amdhsa_private_segment_fixed_size 40
		.amdhsa_kernarg_size 172
		.amdhsa_user_sgpr_count 8
		.amdhsa_user_sgpr_private_segment_buffer 1
		.amdhsa_user_sgpr_dispatch_ptr 0
		.amdhsa_user_sgpr_queue_ptr 0
		.amdhsa_user_sgpr_kernarg_segment_ptr 1
		.amdhsa_user_sgpr_dispatch_id 0
		.amdhsa_user_sgpr_flat_scratch_init 1
		.amdhsa_user_sgpr_kernarg_preload_length 0
		.amdhsa_user_sgpr_kernarg_preload_offset 0
		.amdhsa_user_sgpr_private_segment_size 0
		.amdhsa_uses_dynamic_stack 0
		.amdhsa_system_sgpr_private_segment_wavefront_offset 1
		.amdhsa_system_sgpr_workgroup_id_x 1
		.amdhsa_system_sgpr_workgroup_id_y 0
		.amdhsa_system_sgpr_workgroup_id_z 0
		.amdhsa_system_sgpr_workgroup_info 0
		.amdhsa_system_vgpr_workitem_id 0
		.amdhsa_next_free_vgpr 42
		.amdhsa_next_free_sgpr 60
		.amdhsa_accum_offset 44
		.amdhsa_reserve_vcc 1
		.amdhsa_reserve_flat_scratch 1
		.amdhsa_float_round_mode_32 0
		.amdhsa_float_round_mode_16_64 0
		.amdhsa_float_denorm_mode_32 3
		.amdhsa_float_denorm_mode_16_64 3
		.amdhsa_dx10_clamp 1
		.amdhsa_ieee_mode 1
		.amdhsa_fp16_overflow 0
		.amdhsa_tg_split 0
		.amdhsa_exception_fp_ieee_invalid_op 0
		.amdhsa_exception_fp_denorm_src 0
		.amdhsa_exception_fp_ieee_div_zero 0
		.amdhsa_exception_fp_ieee_overflow 0
		.amdhsa_exception_fp_ieee_underflow 0
		.amdhsa_exception_fp_ieee_inexact 0
		.amdhsa_exception_int_div_zero 0
	.end_amdhsa_kernel
	.section	.text._ZN9rocsparseL26csrgemm_fill_block_per_rowILj512ELj32ELj1024ELj137ELj32Ell21rocsparse_complex_numIdEEEvT5_PKS3_S5_NS_24const_host_device_scalarIT6_EEPKT4_S5_PKS7_SB_S5_SD_S8_SB_S5_SD_SB_PS3_PS7_21rocsparse_index_base_SG_SG_SG_bbb,"axG",@progbits,_ZN9rocsparseL26csrgemm_fill_block_per_rowILj512ELj32ELj1024ELj137ELj32Ell21rocsparse_complex_numIdEEEvT5_PKS3_S5_NS_24const_host_device_scalarIT6_EEPKT4_S5_PKS7_SB_S5_SD_S8_SB_S5_SD_SB_PS3_PS7_21rocsparse_index_base_SG_SG_SG_bbb,comdat
.Lfunc_end160:
	.size	_ZN9rocsparseL26csrgemm_fill_block_per_rowILj512ELj32ELj1024ELj137ELj32Ell21rocsparse_complex_numIdEEEvT5_PKS3_S5_NS_24const_host_device_scalarIT6_EEPKT4_S5_PKS7_SB_S5_SD_S8_SB_S5_SD_SB_PS3_PS7_21rocsparse_index_base_SG_SG_SG_bbb, .Lfunc_end160-_ZN9rocsparseL26csrgemm_fill_block_per_rowILj512ELj32ELj1024ELj137ELj32Ell21rocsparse_complex_numIdEEEvT5_PKS3_S5_NS_24const_host_device_scalarIT6_EEPKT4_S5_PKS7_SB_S5_SD_S8_SB_S5_SD_SB_PS3_PS7_21rocsparse_index_base_SG_SG_SG_bbb
                                        ; -- End function
	.section	.AMDGPU.csdata,"",@progbits
; Kernel info:
; codeLenInByte = 3596
; NumSgprs: 66
; NumVgprs: 42
; NumAgprs: 0
; TotalNumVgprs: 42
; ScratchSize: 40
; MemoryBound: 0
; FloatMode: 240
; IeeeMode: 1
; LDSByteSize: 0 bytes/workgroup (compile time only)
; SGPRBlocks: 8
; VGPRBlocks: 5
; NumSGPRsForWavesPerEU: 66
; NumVGPRsForWavesPerEU: 42
; AccumOffset: 44
; Occupancy: 8
; WaveLimiterHint : 1
; COMPUTE_PGM_RSRC2:SCRATCH_EN: 1
; COMPUTE_PGM_RSRC2:USER_SGPR: 8
; COMPUTE_PGM_RSRC2:TRAP_HANDLER: 0
; COMPUTE_PGM_RSRC2:TGID_X_EN: 1
; COMPUTE_PGM_RSRC2:TGID_Y_EN: 0
; COMPUTE_PGM_RSRC2:TGID_Z_EN: 0
; COMPUTE_PGM_RSRC2:TIDIG_COMP_CNT: 0
; COMPUTE_PGM_RSRC3_GFX90A:ACCUM_OFFSET: 10
; COMPUTE_PGM_RSRC3_GFX90A:TG_SPLIT: 0
	.section	.text._ZN9rocsparseL26csrgemm_fill_block_per_rowILj512ELj32ELj1024ELj137ELj64Ell21rocsparse_complex_numIdEEEvT5_PKS3_S5_NS_24const_host_device_scalarIT6_EEPKT4_S5_PKS7_SB_S5_SD_S8_SB_S5_SD_SB_PS3_PS7_21rocsparse_index_base_SG_SG_SG_bbb,"axG",@progbits,_ZN9rocsparseL26csrgemm_fill_block_per_rowILj512ELj32ELj1024ELj137ELj64Ell21rocsparse_complex_numIdEEEvT5_PKS3_S5_NS_24const_host_device_scalarIT6_EEPKT4_S5_PKS7_SB_S5_SD_S8_SB_S5_SD_SB_PS3_PS7_21rocsparse_index_base_SG_SG_SG_bbb,comdat
	.globl	_ZN9rocsparseL26csrgemm_fill_block_per_rowILj512ELj32ELj1024ELj137ELj64Ell21rocsparse_complex_numIdEEEvT5_PKS3_S5_NS_24const_host_device_scalarIT6_EEPKT4_S5_PKS7_SB_S5_SD_S8_SB_S5_SD_SB_PS3_PS7_21rocsparse_index_base_SG_SG_SG_bbb ; -- Begin function _ZN9rocsparseL26csrgemm_fill_block_per_rowILj512ELj32ELj1024ELj137ELj64Ell21rocsparse_complex_numIdEEEvT5_PKS3_S5_NS_24const_host_device_scalarIT6_EEPKT4_S5_PKS7_SB_S5_SD_S8_SB_S5_SD_SB_PS3_PS7_21rocsparse_index_base_SG_SG_SG_bbb
	.p2align	8
	.type	_ZN9rocsparseL26csrgemm_fill_block_per_rowILj512ELj32ELj1024ELj137ELj64Ell21rocsparse_complex_numIdEEEvT5_PKS3_S5_NS_24const_host_device_scalarIT6_EEPKT4_S5_PKS7_SB_S5_SD_S8_SB_S5_SD_SB_PS3_PS7_21rocsparse_index_base_SG_SG_SG_bbb,@function
_ZN9rocsparseL26csrgemm_fill_block_per_rowILj512ELj32ELj1024ELj137ELj64Ell21rocsparse_complex_numIdEEEvT5_PKS3_S5_NS_24const_host_device_scalarIT6_EEPKT4_S5_PKS7_SB_S5_SD_S8_SB_S5_SD_SB_PS3_PS7_21rocsparse_index_base_SG_SG_SG_bbb: ; @_ZN9rocsparseL26csrgemm_fill_block_per_rowILj512ELj32ELj1024ELj137ELj64Ell21rocsparse_complex_numIdEEEvT5_PKS3_S5_NS_24const_host_device_scalarIT6_EEPKT4_S5_PKS7_SB_S5_SD_S8_SB_S5_SD_SB_PS3_PS7_21rocsparse_index_base_SG_SG_SG_bbb
; %bb.0:
	s_add_u32 flat_scratch_lo, s6, s9
	s_addc_u32 flat_scratch_hi, s7, 0
	s_load_dwordx4 s[12:15], s[4:5], 0x18
	s_load_dwordx4 s[48:51], s[4:5], 0x58
	s_add_u32 s0, s0, s9
	s_load_dword s9, s[4:5], 0xa8
	s_load_dwordx4 s[36:39], s[4:5], 0x98
	s_addc_u32 s1, s1, 0
	s_waitcnt lgkmcnt(0)
	v_mov_b32_e32 v1, s13
	buffer_store_dword v1, off, s[0:3], 0 offset:20
	s_bitcmp1_b32 s9, 0
	s_cselect_b64 s[54:55], -1, 0
	s_bitcmp1_b32 s9, 16
	v_mov_b32_e32 v1, s12
	s_cselect_b64 s[6:7], -1, 0
	buffer_store_dword v1, off, s[0:3], 0 offset:16
	v_mov_b32_e32 v1, s49
	buffer_store_dword v1, off, s[0:3], 0 offset:28
	v_mov_b32_e32 v1, s48
	s_xor_b64 s[10:11], s[6:7], -1
	buffer_store_dword v1, off, s[0:3], 0 offset:24
	v_pk_mov_b32 v[2:3], 0, 0
	v_cndmask_b32_e64 v1, 0, 1, s[10:11]
	s_bitcmp0_b32 s9, 0
	v_cmp_ne_u32_e64 s[10:11], 1, v1
	v_pk_mov_b32 v[6:7], v[2:3], v[2:3] op_sel:[0,1]
	v_pk_mov_b32 v[8:9], v[2:3], v[2:3] op_sel:[0,1]
	s_cbranch_scc1 .LBB161_3
; %bb.1:
	s_mov_b64 s[16:17], src_private_base
	s_and_b64 s[18:19], s[6:7], exec
	s_cselect_b32 s16, s17, s13
	v_mov_b32_e32 v1, 16
	v_mov_b32_e32 v4, s12
	v_cndmask_b32_e64 v4, v4, v1, s[6:7]
	v_mov_b32_e32 v5, s16
	flat_load_dwordx2 v[6:7], v[4:5]
	s_and_b64 vcc, exec, s[10:11]
	v_pk_mov_b32 v[8:9], s[14:15], s[14:15] op_sel:[0,1]
	s_cbranch_vccnz .LBB161_3
; %bb.2:
	v_pk_mov_b32 v[4:5], s[12:13], s[12:13] op_sel:[0,1]
	flat_load_dwordx2 v[8:9], v[4:5] offset:8
.LBB161_3:
	s_load_dwordx4 s[40:43], s[4:5], 0x88
	s_load_dwordx8 s[16:23], s[4:5], 0x68
	s_load_dwordx4 s[12:15], s[4:5], 0x48
	s_load_dwordx4 s[44:47], s[4:5], 0x8
	s_load_dwordx8 s[24:31], s[4:5], 0x28
	s_bitcmp1_b32 s9, 8
	s_cselect_b64 s[52:53], -1, 0
	s_bfe_u32 s9, s9, 0x10008
	s_mov_b64 s[56:57], 0
	s_cmp_eq_u32 s9, 0
	v_pk_mov_b32 v[4:5], v[2:3], v[2:3] op_sel:[0,1]
	s_cbranch_scc1 .LBB161_6
; %bb.4:
	s_mov_b64 s[34:35], src_private_base
	s_and_b64 s[58:59], s[6:7], exec
	s_cselect_b32 s9, s35, s49
	v_mov_b32_e32 v1, 24
	v_mov_b32_e32 v2, s48
	v_cndmask_b32_e64 v2, v2, v1, s[6:7]
	v_mov_b32_e32 v3, s9
	flat_load_dwordx2 v[4:5], v[2:3]
	s_and_b64 vcc, exec, s[10:11]
	v_pk_mov_b32 v[2:3], s[50:51], s[50:51] op_sel:[0,1]
	s_cbranch_vccnz .LBB161_6
; %bb.5:
	v_pk_mov_b32 v[2:3], s[48:49], s[48:49] op_sel:[0,1]
	flat_load_dwordx2 v[2:3], v[2:3] offset:8
.LBB161_6:
	s_load_dwordx2 s[34:35], s[4:5], 0x0
	s_mov_b32 s4, 0
	v_lshl_add_u32 v1, v0, 4, 0
	v_add_u32_e32 v1, 0x2000, v1
	v_or_b32_e32 v27, 0xfffffe00, v0
	v_lshl_add_u32 v30, v0, 3, 0
	s_mov_b32 s5, s4
	s_mov_b32 s6, s4
	;; [unrolled: 1-line block ×3, first 2 shown]
	s_waitcnt lgkmcnt(0)
	v_pk_mov_b32 v[10:11], s[34:35], s[34:35] op_sel:[0,1]
	v_pk_mov_b32 v[12:13], s[4:5], s[4:5] op_sel:[0,1]
	;; [unrolled: 1-line block ×3, first 2 shown]
	v_mov_b32_e32 v16, v30
	v_mov_b32_e32 v17, v27
	;; [unrolled: 1-line block ×3, first 2 shown]
.LBB161_7:                              ; =>This Inner Loop Header: Depth=1
	v_add_co_u32_e32 v17, vcc, 0x200, v17
	s_xor_b64 s[4:5], vcc, -1
	s_and_b64 s[4:5], exec, s[4:5]
	ds_write_b64 v16, v[10:11]
	ds_write2_b64 v18, v[12:13], v[14:15] offset1:1
	v_add_u32_e32 v18, 0x2000, v18
	s_or_b64 s[56:57], s[4:5], s[56:57]
	v_add_u32_e32 v16, 0x1000, v16
	s_andn2_b64 exec, exec, s[56:57]
	s_cbranch_execnz .LBB161_7
; %bb.8:
	s_or_b64 exec, exec, s[56:57]
	s_waitcnt lgkmcnt(0)
	s_barrier
	s_load_dwordx2 s[4:5], s[44:45], 0x0
	s_mov_b32 s9, 0
	s_waitcnt lgkmcnt(0)
	s_lshl_b64 s[4:5], s[4:5], 3
	s_add_u32 s6, s46, s4
	s_addc_u32 s7, s47, s5
	s_lshl_b64 s[4:5], s[8:9], 3
	s_add_u32 s4, s6, s4
	s_addc_u32 s5, s7, s5
	s_load_dwordx2 s[44:45], s[4:5], 0x0
	s_and_b64 vcc, exec, s[54:55]
	s_cbranch_vccz .LBB161_28
; %bb.9:
	s_waitcnt lgkmcnt(0)
	s_lshl_b64 s[4:5], s[44:45], 3
	s_add_u32 s4, s24, s4
	s_addc_u32 s5, s25, s5
	s_load_dwordx4 s[48:51], s[4:5], 0x0
	v_lshrrev_b32_e32 v10, 5, v0
	v_subrev_co_u32_e32 v10, vcc, s36, v10
	v_subb_co_u32_e64 v11, s[6:7], 0, 0, vcc
	s_waitcnt lgkmcnt(0)
	s_sub_u32 s4, s50, s36
	v_mov_b32_e32 v12, s49
	v_add_co_u32_e32 v10, vcc, s48, v10
	s_subb_u32 s5, s51, 0
	v_addc_co_u32_e32 v11, vcc, v12, v11, vcc
	v_cmp_gt_i64_e32 vcc, s[4:5], v[10:11]
	s_and_saveexec_b64 s[6:7], vcc
	s_cbranch_execz .LBB161_27
; %bb.10:
	v_and_b32_e32 v12, 31, v0
	v_subrev_co_u32_e32 v31, vcc, s37, v12
	s_mov_b32 s8, 0
	v_subb_co_u32_e64 v32, s[10:11], 0, 0, vcc
	s_mov_b32 s33, s36
	s_mov_b32 s58, s37
	s_mov_b64 s[10:11], 0
	v_mov_b32_e32 v33, s27
	v_mov_b32_e32 v34, s9
	;; [unrolled: 1-line block ×4, first 2 shown]
	s_movk_i32 s27, 0x89
	s_branch .LBB161_12
.LBB161_11:                             ;   in Loop: Header=BB161_12 Depth=1
	s_or_b64 exec, exec, s[8:9]
	v_add_co_u32_e32 v10, vcc, 16, v10
	v_addc_co_u32_e32 v11, vcc, 0, v11, vcc
	v_cmp_le_i64_e32 vcc, s[4:5], v[10:11]
	s_or_b64 s[10:11], vcc, s[10:11]
	s_andn2_b64 exec, exec, s[10:11]
	s_cbranch_execz .LBB161_27
.LBB161_12:                             ; =>This Loop Header: Depth=1
                                        ;     Child Loop BB161_15 Depth 2
                                        ;       Child Loop BB161_17 Depth 3
	v_lshlrev_b64 v[12:13], 3, v[10:11]
	v_add_co_u32_e32 v12, vcc, s26, v12
	v_addc_co_u32_e32 v13, vcc, v33, v13, vcc
	global_load_dwordx2 v[12:13], v[12:13], off
	s_waitcnt vmcnt(0)
	v_subrev_co_u32_e32 v12, vcc, s33, v12
	v_subb_co_u32_e32 v13, vcc, v13, v34, vcc
	v_lshlrev_b64 v[12:13], 3, v[12:13]
	v_add_co_u32_e32 v12, vcc, s30, v12
	v_addc_co_u32_e32 v13, vcc, v35, v13, vcc
	global_load_dwordx4 v[14:17], v[12:13], off
	s_waitcnt vmcnt(0)
	v_subrev_co_u32_e32 v12, vcc, s58, v16
	v_subb_co_u32_e32 v13, vcc, v17, v36, vcc
	v_add_co_u32_e32 v14, vcc, v14, v31
	v_addc_co_u32_e32 v15, vcc, v15, v32, vcc
	v_cmp_lt_i64_e32 vcc, v[14:15], v[12:13]
	s_and_saveexec_b64 s[8:9], vcc
	s_cbranch_execz .LBB161_11
; %bb.13:                               ;   in Loop: Header=BB161_12 Depth=1
	v_lshlrev_b64 v[16:17], 4, v[10:11]
	v_mov_b32_e32 v18, s29
	v_add_co_u32_e32 v16, vcc, s28, v16
	v_addc_co_u32_e32 v17, vcc, v18, v17, vcc
	global_load_dwordx4 v[20:23], v[16:17], off
	s_mov_b64 s[24:25], 0
	s_waitcnt vmcnt(0)
	v_mul_f64 v[16:17], v[22:23], -v[8:9]
	v_mul_f64 v[18:19], v[6:7], v[22:23]
	v_fmac_f64_e32 v[16:17], v[6:7], v[20:21]
	v_fmac_f64_e32 v[18:19], v[8:9], v[20:21]
	s_branch .LBB161_15
.LBB161_14:                             ;   in Loop: Header=BB161_15 Depth=2
	s_or_b64 exec, exec, s[36:37]
	v_add_co_u32_e32 v14, vcc, 32, v14
	v_addc_co_u32_e32 v15, vcc, 0, v15, vcc
	v_cmp_ge_i64_e32 vcc, v[14:15], v[12:13]
	s_or_b64 s[24:25], vcc, s[24:25]
	s_andn2_b64 exec, exec, s[24:25]
	s_cbranch_execz .LBB161_11
.LBB161_15:                             ;   Parent Loop BB161_12 Depth=1
                                        ; =>  This Loop Header: Depth=2
                                        ;       Child Loop BB161_17 Depth 3
	v_lshlrev_b64 v[20:21], 3, v[14:15]
	v_mov_b32_e32 v22, s13
	v_add_co_u32_e32 v20, vcc, s12, v20
	v_addc_co_u32_e32 v21, vcc, v22, v21, vcc
	v_lshlrev_b64 v[22:23], 4, v[14:15]
	v_mov_b32_e32 v24, s15
	v_add_co_u32_e32 v22, vcc, s14, v22
	global_load_dwordx2 v[20:21], v[20:21], off
	v_addc_co_u32_e32 v23, vcc, v24, v23, vcc
	global_load_dwordx4 v[38:41], v[22:23], off
	s_mov_b64 s[36:37], 0
	s_waitcnt vmcnt(1)
	v_subrev_co_u32_e32 v20, vcc, s58, v20
	v_mul_lo_u32 v26, v20, s27
	s_waitcnt vmcnt(0)
	v_mul_f64 v[22:23], v[40:41], -v[18:19]
	v_mul_f64 v[24:25], v[16:17], v[40:41]
	v_subb_co_u32_e32 v21, vcc, v21, v36, vcc
	v_fmac_f64_e32 v[22:23], v[16:17], v[38:39]
	v_fmac_f64_e32 v[24:25], v[18:19], v[38:39]
	v_and_b32_e32 v26, 0x3ff, v26
	s_branch .LBB161_17
.LBB161_16:                             ;   in Loop: Header=BB161_17 Depth=3
	s_or_b64 exec, exec, s[46:47]
	s_xor_b64 s[46:47], s[48:49], -1
	s_and_b64 s[46:47], exec, s[46:47]
	s_or_b64 s[36:37], s[46:47], s[36:37]
	s_andn2_b64 exec, exec, s[36:37]
	s_cbranch_execz .LBB161_14
.LBB161_17:                             ;   Parent Loop BB161_12 Depth=1
                                        ;     Parent Loop BB161_15 Depth=2
                                        ; =>    This Inner Loop Header: Depth=3
	v_lshl_add_u32 v37, v26, 3, 0
	ds_read_b64 v[28:29], v37
                                        ; implicit-def: $sgpr48_sgpr49
	s_waitcnt lgkmcnt(0)
	v_cmp_ne_u64_e32 vcc, v[28:29], v[20:21]
	s_and_saveexec_b64 s[46:47], vcc
	s_xor_b64 s[46:47], exec, s[46:47]
	s_cbranch_execz .LBB161_25
; %bb.18:                               ;   in Loop: Header=BB161_17 Depth=3
	v_cmp_ne_u64_e32 vcc, s[34:35], v[28:29]
                                        ; implicit-def: $sgpr48_sgpr49
	s_and_saveexec_b64 s[50:51], vcc
	s_xor_b64 s[50:51], exec, s[50:51]
; %bb.19:                               ;   in Loop: Header=BB161_17 Depth=3
	v_add_u32_e32 v26, 1, v26
	v_and_b32_e32 v26, 0x3ff, v26
	s_mov_b64 s[48:49], -1
                                        ; implicit-def: $vgpr37
; %bb.20:                               ;   in Loop: Header=BB161_17 Depth=3
	s_andn2_saveexec_b64 s[50:51], s[50:51]
	s_cbranch_execz .LBB161_24
; %bb.21:                               ;   in Loop: Header=BB161_17 Depth=3
	v_pk_mov_b32 v[28:29], s[34:35], s[34:35] op_sel:[0,1]
	ds_cmpst_rtn_b64 v[28:29], v37, v[28:29], v[20:21]
	s_mov_b64 s[54:55], -1
	s_waitcnt lgkmcnt(0)
	v_cmp_eq_u64_e32 vcc, s[34:35], v[28:29]
	s_and_saveexec_b64 s[56:57], vcc
	s_cbranch_execz .LBB161_23
; %bb.22:                               ;   in Loop: Header=BB161_17 Depth=3
	v_lshl_add_u32 v28, v26, 3, v37
	ds_add_f64 v28, v[22:23] offset:8192
	ds_add_f64 v28, v[24:25] offset:8200
	s_xor_b64 s[54:55], exec, -1
.LBB161_23:                             ;   in Loop: Header=BB161_17 Depth=3
	s_or_b64 exec, exec, s[56:57]
	s_andn2_b64 s[48:49], s[48:49], exec
	s_and_b64 s[54:55], s[54:55], exec
	s_or_b64 s[48:49], s[48:49], s[54:55]
.LBB161_24:                             ;   in Loop: Header=BB161_17 Depth=3
	s_or_b64 exec, exec, s[50:51]
	s_and_b64 s[48:49], s[48:49], exec
                                        ; implicit-def: $vgpr37
.LBB161_25:                             ;   in Loop: Header=BB161_17 Depth=3
	s_andn2_saveexec_b64 s[46:47], s[46:47]
	s_cbranch_execz .LBB161_16
; %bb.26:                               ;   in Loop: Header=BB161_17 Depth=3
	v_lshl_add_u32 v28, v26, 3, v37
	ds_add_f64 v28, v[22:23] offset:8192
	ds_add_f64 v28, v[24:25] offset:8200
	s_andn2_b64 s[48:49], s[48:49], exec
	s_branch .LBB161_16
.LBB161_27:
	s_or_b64 exec, exec, s[6:7]
.LBB161_28:
	s_andn2_b64 vcc, exec, s[52:53]
	s_cbranch_vccnz .LBB161_45
; %bb.29:
	s_waitcnt lgkmcnt(0)
	s_lshl_b64 s[4:5], s[44:45], 3
	s_add_u32 s4, s16, s4
	s_addc_u32 s5, s17, s5
	s_load_dwordx4 s[12:15], s[4:5], 0x0
	s_waitcnt vmcnt(0)
	v_subrev_co_u32_e32 v6, vcc, s39, v0
	v_subb_co_u32_e64 v7, s[6:7], 0, 0, vcc
	s_waitcnt lgkmcnt(0)
	s_sub_u32 s4, s14, s39
	v_mov_b32_e32 v8, s13
	v_add_co_u32_e32 v6, vcc, s12, v6
	s_subb_u32 s5, s15, 0
	v_addc_co_u32_e32 v7, vcc, v8, v7, vcc
	s_mov_b32 s10, 0
	v_cmp_gt_i64_e32 vcc, s[4:5], v[6:7]
	s_and_saveexec_b64 s[6:7], vcc
	s_cbranch_execz .LBB161_44
; %bb.30:
	s_mov_b32 s28, s39
	s_mov_b64 s[8:9], 0
	v_mov_b32_e32 v15, s19
	v_mov_b32_e32 v18, s10
	;; [unrolled: 1-line block ×3, first 2 shown]
	s_movk_i32 s19, 0x89
	s_branch .LBB161_32
.LBB161_31:                             ;   in Loop: Header=BB161_32 Depth=1
	s_or_b64 exec, exec, s[10:11]
	v_add_co_u32_e32 v6, vcc, 0x200, v6
	v_addc_co_u32_e32 v7, vcc, 0, v7, vcc
	v_cmp_le_i64_e32 vcc, s[4:5], v[6:7]
	s_or_b64 s[8:9], vcc, s[8:9]
	s_andn2_b64 exec, exec, s[8:9]
	s_cbranch_execz .LBB161_44
.LBB161_32:                             ; =>This Loop Header: Depth=1
                                        ;     Child Loop BB161_34 Depth 2
	v_lshlrev_b64 v[8:9], 3, v[6:7]
	v_add_co_u32_e32 v8, vcc, s18, v8
	v_addc_co_u32_e32 v9, vcc, v15, v9, vcc
	v_lshlrev_b64 v[10:11], 4, v[6:7]
	v_add_co_u32_e32 v10, vcc, s20, v10
	global_load_dwordx2 v[8:9], v[8:9], off
	v_addc_co_u32_e32 v11, vcc, v19, v11, vcc
	global_load_dwordx4 v[20:23], v[10:11], off
	s_mov_b64 s[10:11], 0
	s_waitcnt vmcnt(1)
	v_subrev_co_u32_e32 v8, vcc, s28, v8
	v_mul_lo_u32 v14, v8, s19
	s_waitcnt vmcnt(0)
	v_mul_f64 v[10:11], v[22:23], -v[2:3]
	v_mul_f64 v[12:13], v[4:5], v[22:23]
	v_subb_co_u32_e32 v9, vcc, v9, v18, vcc
	v_fmac_f64_e32 v[10:11], v[4:5], v[20:21]
	v_fmac_f64_e32 v[12:13], v[2:3], v[20:21]
	v_and_b32_e32 v14, 0x3ff, v14
	s_branch .LBB161_34
.LBB161_33:                             ;   in Loop: Header=BB161_34 Depth=2
	s_or_b64 exec, exec, s[12:13]
	s_xor_b64 s[12:13], s[14:15], -1
	s_and_b64 s[12:13], exec, s[12:13]
	s_or_b64 s[10:11], s[12:13], s[10:11]
	s_andn2_b64 exec, exec, s[10:11]
	s_cbranch_execz .LBB161_31
.LBB161_34:                             ;   Parent Loop BB161_32 Depth=1
                                        ; =>  This Inner Loop Header: Depth=2
	v_lshl_add_u32 v20, v14, 3, 0
	ds_read_b64 v[16:17], v20
                                        ; implicit-def: $sgpr14_sgpr15
	s_waitcnt lgkmcnt(0)
	v_cmp_ne_u64_e32 vcc, v[16:17], v[8:9]
	s_and_saveexec_b64 s[12:13], vcc
	s_xor_b64 s[12:13], exec, s[12:13]
	s_cbranch_execz .LBB161_42
; %bb.35:                               ;   in Loop: Header=BB161_34 Depth=2
	v_cmp_ne_u64_e32 vcc, s[34:35], v[16:17]
                                        ; implicit-def: $sgpr14_sgpr15
	s_and_saveexec_b64 s[16:17], vcc
	s_xor_b64 s[16:17], exec, s[16:17]
; %bb.36:                               ;   in Loop: Header=BB161_34 Depth=2
	v_add_u32_e32 v14, 1, v14
	v_and_b32_e32 v14, 0x3ff, v14
	s_mov_b64 s[14:15], -1
                                        ; implicit-def: $vgpr20
; %bb.37:                               ;   in Loop: Header=BB161_34 Depth=2
	s_andn2_saveexec_b64 s[16:17], s[16:17]
	s_cbranch_execz .LBB161_41
; %bb.38:                               ;   in Loop: Header=BB161_34 Depth=2
	v_pk_mov_b32 v[16:17], s[34:35], s[34:35] op_sel:[0,1]
	ds_cmpst_rtn_b64 v[16:17], v20, v[16:17], v[8:9]
	s_mov_b64 s[24:25], -1
	s_waitcnt lgkmcnt(0)
	v_cmp_eq_u64_e32 vcc, s[34:35], v[16:17]
	s_and_saveexec_b64 s[26:27], vcc
	s_cbranch_execz .LBB161_40
; %bb.39:                               ;   in Loop: Header=BB161_34 Depth=2
	v_lshl_add_u32 v16, v14, 3, v20
	ds_add_f64 v16, v[10:11] offset:8192
	ds_add_f64 v16, v[12:13] offset:8200
	s_xor_b64 s[24:25], exec, -1
.LBB161_40:                             ;   in Loop: Header=BB161_34 Depth=2
	s_or_b64 exec, exec, s[26:27]
	s_andn2_b64 s[14:15], s[14:15], exec
	s_and_b64 s[24:25], s[24:25], exec
	s_or_b64 s[14:15], s[14:15], s[24:25]
.LBB161_41:                             ;   in Loop: Header=BB161_34 Depth=2
	s_or_b64 exec, exec, s[16:17]
	s_and_b64 s[14:15], s[14:15], exec
                                        ; implicit-def: $vgpr20
.LBB161_42:                             ;   in Loop: Header=BB161_34 Depth=2
	s_andn2_saveexec_b64 s[12:13], s[12:13]
	s_cbranch_execz .LBB161_33
; %bb.43:                               ;   in Loop: Header=BB161_34 Depth=2
	v_lshl_add_u32 v16, v14, 3, v20
	ds_add_f64 v16, v[10:11] offset:8192
	ds_add_f64 v16, v[12:13] offset:8200
	s_andn2_b64 s[14:15], s[14:15], exec
	s_branch .LBB161_33
.LBB161_44:
	s_or_b64 exec, exec, s[6:7]
.LBB161_45:
	s_waitcnt vmcnt(0)
	v_mbcnt_lo_u32_b32 v2, -1, 0
	v_mbcnt_hi_u32_b32 v2, -1, v2
	v_sub_u32_e32 v2, 63, v2
	v_lshrrev_b64 v[4:5], v2, -1
	v_lshrrev_b32_e32 v2, 3, v0
	v_and_b32_e32 v2, 56, v2
	s_movk_i32 s4, 0x1ff
	s_movk_i32 s8, 0x7f
	s_movk_i32 s10, 0xbf
	s_movk_i32 s12, 0xff
	s_movk_i32 s14, 0x13f
	s_movk_i32 s16, 0x17f
	s_movk_i32 s18, 0x1bf
	v_mov_b32_e32 v3, 0
	v_add_u32_e32 v12, 0, v2
	v_cmp_eq_u32_e64 s[4:5], s4, v0
	v_cmp_lt_u32_e64 s[6:7], 63, v0
	v_cmp_lt_u32_e64 s[8:9], s8, v0
	;; [unrolled: 1-line block ×7, first 2 shown]
	s_mov_b64 s[20:21], 0
	v_pk_mov_b32 v[6:7], 0, 0
	s_waitcnt lgkmcnt(0)
	s_barrier
	s_branch .LBB161_47
.LBB161_46:                             ;   in Loop: Header=BB161_47 Depth=1
	s_or_b64 exec, exec, s[24:25]
	s_waitcnt lgkmcnt(0)
	s_barrier
	ds_read_b64 v[8:9], v3 offset:24632
	v_add_u32_e32 v1, 0x2000, v1
	v_add_u32_e32 v30, 0x1000, v30
	s_waitcnt lgkmcnt(0)
	v_add_co_u32_e32 v6, vcc, v8, v6
	v_addc_co_u32_e32 v7, vcc, v9, v7, vcc
	v_add_co_u32_e32 v27, vcc, 0x200, v27
	s_xor_b64 s[24:25], vcc, -1
	s_and_b64 s[24:25], exec, s[24:25]
	s_or_b64 s[20:21], s[24:25], s[20:21]
	s_andn2_b64 exec, exec, s[20:21]
	s_cbranch_execz .LBB161_65
.LBB161_47:                             ; =>This Inner Loop Header: Depth=1
	ds_read2_b64 v[14:17], v1 offset1:1
	ds_read_b64 v[10:11], v30
	s_waitcnt lgkmcnt(1)
	buffer_store_dword v17, off, s[0:3], 0 offset:12
	buffer_store_dword v16, off, s[0:3], 0 offset:8
	;; [unrolled: 1-line block ×3, first 2 shown]
	buffer_store_dword v14, off, s[0:3], 0
	s_waitcnt lgkmcnt(0)
	v_cmp_gt_i64_e32 vcc, s[34:35], v[10:11]
	v_and_b32_e32 v9, vcc_lo, v4
	s_bcnt1_i32_b64 s24, vcc
	v_and_b32_e32 v8, vcc_hi, v5
	v_bcnt_u32_b32 v9, v9, 0
	v_mov_b32_e32 v2, s24
	v_bcnt_u32_b32 v8, v8, v9
	s_barrier
	ds_write_b64 v12, v[2:3] offset:24576
	s_waitcnt lgkmcnt(0)
	s_barrier
	s_and_saveexec_b64 s[24:25], s[6:7]
	s_cbranch_execnz .LBB161_56
; %bb.48:                               ;   in Loop: Header=BB161_47 Depth=1
	s_or_b64 exec, exec, s[24:25]
	s_and_saveexec_b64 s[24:25], s[8:9]
	s_cbranch_execnz .LBB161_57
.LBB161_49:                             ;   in Loop: Header=BB161_47 Depth=1
	s_or_b64 exec, exec, s[24:25]
	s_and_saveexec_b64 s[24:25], s[10:11]
	s_cbranch_execnz .LBB161_58
.LBB161_50:                             ;   in Loop: Header=BB161_47 Depth=1
	s_or_b64 exec, exec, s[24:25]
	s_and_saveexec_b64 s[24:25], s[12:13]
	s_cbranch_execnz .LBB161_59
.LBB161_51:                             ;   in Loop: Header=BB161_47 Depth=1
	s_or_b64 exec, exec, s[24:25]
	s_and_saveexec_b64 s[24:25], s[14:15]
	s_cbranch_execnz .LBB161_60
.LBB161_52:                             ;   in Loop: Header=BB161_47 Depth=1
	s_or_b64 exec, exec, s[24:25]
	s_and_saveexec_b64 s[24:25], s[16:17]
	s_cbranch_execnz .LBB161_61
.LBB161_53:                             ;   in Loop: Header=BB161_47 Depth=1
	s_or_b64 exec, exec, s[24:25]
	s_and_saveexec_b64 s[24:25], s[18:19]
	s_cbranch_execnz .LBB161_62
.LBB161_54:                             ;   in Loop: Header=BB161_47 Depth=1
	s_or_b64 exec, exec, s[24:25]
	v_ashrrev_i32_e32 v9, 31, v8
	s_and_saveexec_b64 s[24:25], vcc
	s_cbranch_execnz .LBB161_63
.LBB161_55:                             ;   in Loop: Header=BB161_47 Depth=1
	s_or_b64 exec, exec, s[24:25]
	s_and_saveexec_b64 s[24:25], s[4:5]
	s_cbranch_execz .LBB161_46
	s_branch .LBB161_64
.LBB161_56:                             ;   in Loop: Header=BB161_47 Depth=1
	ds_read_b32 v2, v3 offset:24576
	s_waitcnt lgkmcnt(0)
	v_add_u32_e32 v8, v2, v8
	s_or_b64 exec, exec, s[24:25]
	s_and_saveexec_b64 s[24:25], s[8:9]
	s_cbranch_execz .LBB161_49
.LBB161_57:                             ;   in Loop: Header=BB161_47 Depth=1
	ds_read_b32 v2, v3 offset:24584
	s_waitcnt lgkmcnt(0)
	v_add_u32_e32 v8, v8, v2
	s_or_b64 exec, exec, s[24:25]
	s_and_saveexec_b64 s[24:25], s[10:11]
	s_cbranch_execz .LBB161_50
.LBB161_58:                             ;   in Loop: Header=BB161_47 Depth=1
	ds_read_b32 v2, v3 offset:24592
	s_waitcnt lgkmcnt(0)
	v_add_u32_e32 v8, v8, v2
	s_or_b64 exec, exec, s[24:25]
	s_and_saveexec_b64 s[24:25], s[12:13]
	s_cbranch_execz .LBB161_51
.LBB161_59:                             ;   in Loop: Header=BB161_47 Depth=1
	ds_read_b32 v2, v3 offset:24600
	s_waitcnt lgkmcnt(0)
	v_add_u32_e32 v8, v8, v2
	s_or_b64 exec, exec, s[24:25]
	s_and_saveexec_b64 s[24:25], s[14:15]
	s_cbranch_execz .LBB161_52
.LBB161_60:                             ;   in Loop: Header=BB161_47 Depth=1
	ds_read_b32 v2, v3 offset:24608
	s_waitcnt lgkmcnt(0)
	v_add_u32_e32 v8, v8, v2
	s_or_b64 exec, exec, s[24:25]
	s_and_saveexec_b64 s[24:25], s[16:17]
	s_cbranch_execz .LBB161_53
.LBB161_61:                             ;   in Loop: Header=BB161_47 Depth=1
	ds_read_b32 v2, v3 offset:24616
	s_waitcnt lgkmcnt(0)
	v_add_u32_e32 v8, v8, v2
	s_or_b64 exec, exec, s[24:25]
	s_and_saveexec_b64 s[24:25], s[18:19]
	s_cbranch_execz .LBB161_54
.LBB161_62:                             ;   in Loop: Header=BB161_47 Depth=1
	ds_read_b32 v2, v3 offset:24624
	s_waitcnt lgkmcnt(0)
	v_add_u32_e32 v8, v8, v2
	s_or_b64 exec, exec, s[24:25]
	v_ashrrev_i32_e32 v9, 31, v8
	s_and_saveexec_b64 s[24:25], vcc
	s_cbranch_execz .LBB161_55
.LBB161_63:                             ;   in Loop: Header=BB161_47 Depth=1
	buffer_load_dword v14, off, s[0:3], 0
	buffer_load_dword v15, off, s[0:3], 0 offset:4
	buffer_load_dword v16, off, s[0:3], 0 offset:8
	;; [unrolled: 1-line block ×3, first 2 shown]
	v_add3_u32 v2, v6, -1, v8
	v_lshl_add_u32 v13, v2, 3, 0
	v_lshl_add_u32 v2, v2, 4, 0
	v_add_u32_e32 v2, 0x2000, v2
	ds_write_b64 v13, v[10:11]
	s_waitcnt vmcnt(0)
	ds_write2_b64 v2, v[14:15], v[16:17] offset1:1
	s_or_b64 exec, exec, s[24:25]
	s_and_saveexec_b64 s[24:25], s[4:5]
	s_cbranch_execz .LBB161_46
.LBB161_64:                             ;   in Loop: Header=BB161_47 Depth=1
	ds_write_b64 v3, v[8:9] offset:24632
	s_branch .LBB161_46
.LBB161_65:
	s_or_b64 exec, exec, s[20:21]
	s_lshl_b64 s[4:5], s[44:45], 3
	s_add_u32 s4, s22, s4
	s_addc_u32 s5, s23, s5
	s_load_dwordx4 s[4:7], s[4:5], 0x0
	v_mov_b32_e32 v1, 0
	s_waitcnt lgkmcnt(0)
	s_sub_u32 s8, s6, s4
	s_subb_u32 s9, s7, s5
	v_cmp_gt_i64_e32 vcc, s[8:9], v[0:1]
	s_and_saveexec_b64 s[10:11], vcc
	s_cbranch_execz .LBB161_75
; %bb.66:
	s_sub_u32 s10, s4, s38
	s_subb_u32 s11, s5, 0
	s_and_b32 s12, s8, 7
	s_sub_u32 s4, s4, s6
	s_mov_b32 s20, 0
	s_subb_u32 s5, s5, s7
	s_mov_b32 s13, s20
	s_and_b32 s6, s8, -8
	v_cmp_lt_u64_e64 s[4:5], s[4:5], -7
	s_cmp_lg_u64 s[12:13], 0
	v_cndmask_b32_e64 v2, 0, 1, s[4:5]
	s_mov_b32 s7, s9
	s_mov_b64 s[14:15], 0
	s_cselect_b64 s[16:17], -1, 0
	v_cmp_ne_u32_e64 s[4:5], 1, v2
	s_movk_i32 s21, 0x2000
	s_branch .LBB161_68
.LBB161_67:                             ;   in Loop: Header=BB161_68 Depth=1
	v_lshlrev_b32_e32 v7, 3, v0
	v_add3_u32 v8, v6, v7, s21
	v_mov_b32_e32 v6, s20
	s_waitcnt lgkmcnt(0)
	v_add_co_u32_e32 v2, vcc, s38, v2
	v_addc_co_u32_e32 v3, vcc, v3, v6, vcc
	v_lshlrev_b64 v[6:7], 3, v[4:5]
	v_mov_b32_e32 v9, s41
	v_add_co_u32_e32 v6, vcc, s40, v6
	v_addc_co_u32_e32 v7, vcc, v9, v7, vcc
	global_store_dwordx2 v[6:7], v[2:3], off
	v_lshlrev_b64 v[2:3], 4, v[4:5]
	v_mov_b32_e32 v4, s43
	v_add_co_u32_e32 v6, vcc, s42, v2
	v_addc_co_u32_e32 v7, vcc, v4, v3, vcc
	ds_read2_b64 v[2:5], v8 offset1:1
	v_add_co_u32_e32 v0, vcc, 0x200, v0
	v_addc_co_u32_e32 v1, vcc, 0, v1, vcc
	v_cmp_le_i64_e32 vcc, s[8:9], v[0:1]
	s_or_b64 s[14:15], vcc, s[14:15]
	s_waitcnt lgkmcnt(0)
	global_store_dwordx4 v[6:7], v[2:5], off
	s_andn2_b64 exec, exec, s[14:15]
	s_cbranch_execz .LBB161_75
.LBB161_68:                             ; =>This Loop Header: Depth=1
                                        ;     Child Loop BB161_70 Depth 2
                                        ;     Child Loop BB161_74 Depth 2
	v_lshl_add_u32 v6, v0, 3, 0
	ds_read_b64 v[2:3], v6
	s_and_b64 vcc, exec, s[4:5]
	v_pk_mov_b32 v[4:5], s[10:11], s[10:11] op_sel:[0,1]
	s_mov_b64 s[18:19], 0
	s_cbranch_vccnz .LBB161_72
; %bb.69:                               ;   in Loop: Header=BB161_68 Depth=1
	s_mov_b32 s22, 0
	v_pk_mov_b32 v[4:5], s[10:11], s[10:11] op_sel:[0,1]
.LBB161_70:                             ;   Parent Loop BB161_68 Depth=1
                                        ; =>  This Inner Loop Header: Depth=2
	v_mov_b32_e32 v7, s22
	ds_read2_b64 v[8:11], v7 offset1:1
	ds_read2_b64 v[12:15], v7 offset0:2 offset1:3
	ds_read2_b64 v[16:19], v7 offset0:4 offset1:5
	;; [unrolled: 1-line block ×3, first 2 shown]
	s_add_u32 s18, s18, 8
	s_waitcnt lgkmcnt(3)
	v_cmp_gt_i64_e32 vcc, v[2:3], v[8:9]
	v_cndmask_b32_e64 v7, 0, 1, vcc
	v_cmp_gt_i64_e32 vcc, v[2:3], v[10:11]
	v_cndmask_b32_e64 v8, 0, 1, vcc
	s_waitcnt lgkmcnt(2)
	v_cmp_gt_i64_e32 vcc, v[2:3], v[12:13]
	v_cndmask_b32_e64 v9, 0, 1, vcc
	v_cmp_gt_i64_e32 vcc, v[2:3], v[14:15]
	v_cndmask_b32_e64 v10, 0, 1, vcc
	;; [unrolled: 5-line block ×4, first 2 shown]
	v_add_co_u32_e32 v4, vcc, v4, v7
	v_addc_co_u32_e32 v5, vcc, 0, v5, vcc
	v_add_co_u32_e32 v4, vcc, v4, v8
	v_addc_co_u32_e32 v5, vcc, 0, v5, vcc
	;; [unrolled: 2-line block ×7, first 2 shown]
	s_addc_u32 s19, s19, 0
	s_add_i32 s22, s22, 64
	v_add_co_u32_e32 v4, vcc, v4, v14
	s_cmp_eq_u64 s[6:7], s[18:19]
	v_addc_co_u32_e32 v5, vcc, 0, v5, vcc
	s_cbranch_scc0 .LBB161_70
; %bb.71:                               ;   in Loop: Header=BB161_68 Depth=1
	s_mov_b64 s[18:19], s[6:7]
.LBB161_72:                             ;   in Loop: Header=BB161_68 Depth=1
	s_andn2_b64 vcc, exec, s[16:17]
	s_cbranch_vccnz .LBB161_67
; %bb.73:                               ;   in Loop: Header=BB161_68 Depth=1
	s_lshl_b32 s18, s18, 3
	s_add_i32 s22, s18, 0
	s_mov_b64 s[18:19], s[12:13]
.LBB161_74:                             ;   Parent Loop BB161_68 Depth=1
                                        ; =>  This Inner Loop Header: Depth=2
	v_mov_b32_e32 v7, s22
	ds_read_b64 v[8:9], v7
	s_add_i32 s22, s22, 8
	s_add_u32 s18, s18, -1
	s_addc_u32 s19, s19, -1
	s_cmp_lg_u64 s[18:19], 0
	s_waitcnt lgkmcnt(0)
	v_cmp_gt_i64_e32 vcc, v[2:3], v[8:9]
	v_cndmask_b32_e64 v7, 0, 1, vcc
	v_add_co_u32_e32 v4, vcc, v4, v7
	v_addc_co_u32_e32 v5, vcc, 0, v5, vcc
	s_cbranch_scc1 .LBB161_74
	s_branch .LBB161_67
.LBB161_75:
	s_endpgm
	.section	.rodata,"a",@progbits
	.p2align	6, 0x0
	.amdhsa_kernel _ZN9rocsparseL26csrgemm_fill_block_per_rowILj512ELj32ELj1024ELj137ELj64Ell21rocsparse_complex_numIdEEEvT5_PKS3_S5_NS_24const_host_device_scalarIT6_EEPKT4_S5_PKS7_SB_S5_SD_S8_SB_S5_SD_SB_PS3_PS7_21rocsparse_index_base_SG_SG_SG_bbb
		.amdhsa_group_segment_fixed_size 0
		.amdhsa_private_segment_fixed_size 40
		.amdhsa_kernarg_size 172
		.amdhsa_user_sgpr_count 8
		.amdhsa_user_sgpr_private_segment_buffer 1
		.amdhsa_user_sgpr_dispatch_ptr 0
		.amdhsa_user_sgpr_queue_ptr 0
		.amdhsa_user_sgpr_kernarg_segment_ptr 1
		.amdhsa_user_sgpr_dispatch_id 0
		.amdhsa_user_sgpr_flat_scratch_init 1
		.amdhsa_user_sgpr_kernarg_preload_length 0
		.amdhsa_user_sgpr_kernarg_preload_offset 0
		.amdhsa_user_sgpr_private_segment_size 0
		.amdhsa_uses_dynamic_stack 0
		.amdhsa_system_sgpr_private_segment_wavefront_offset 1
		.amdhsa_system_sgpr_workgroup_id_x 1
		.amdhsa_system_sgpr_workgroup_id_y 0
		.amdhsa_system_sgpr_workgroup_id_z 0
		.amdhsa_system_sgpr_workgroup_info 0
		.amdhsa_system_vgpr_workitem_id 0
		.amdhsa_next_free_vgpr 42
		.amdhsa_next_free_sgpr 60
		.amdhsa_accum_offset 44
		.amdhsa_reserve_vcc 1
		.amdhsa_reserve_flat_scratch 1
		.amdhsa_float_round_mode_32 0
		.amdhsa_float_round_mode_16_64 0
		.amdhsa_float_denorm_mode_32 3
		.amdhsa_float_denorm_mode_16_64 3
		.amdhsa_dx10_clamp 1
		.amdhsa_ieee_mode 1
		.amdhsa_fp16_overflow 0
		.amdhsa_tg_split 0
		.amdhsa_exception_fp_ieee_invalid_op 0
		.amdhsa_exception_fp_denorm_src 0
		.amdhsa_exception_fp_ieee_div_zero 0
		.amdhsa_exception_fp_ieee_overflow 0
		.amdhsa_exception_fp_ieee_underflow 0
		.amdhsa_exception_fp_ieee_inexact 0
		.amdhsa_exception_int_div_zero 0
	.end_amdhsa_kernel
	.section	.text._ZN9rocsparseL26csrgemm_fill_block_per_rowILj512ELj32ELj1024ELj137ELj64Ell21rocsparse_complex_numIdEEEvT5_PKS3_S5_NS_24const_host_device_scalarIT6_EEPKT4_S5_PKS7_SB_S5_SD_S8_SB_S5_SD_SB_PS3_PS7_21rocsparse_index_base_SG_SG_SG_bbb,"axG",@progbits,_ZN9rocsparseL26csrgemm_fill_block_per_rowILj512ELj32ELj1024ELj137ELj64Ell21rocsparse_complex_numIdEEEvT5_PKS3_S5_NS_24const_host_device_scalarIT6_EEPKT4_S5_PKS7_SB_S5_SD_S8_SB_S5_SD_SB_PS3_PS7_21rocsparse_index_base_SG_SG_SG_bbb,comdat
.Lfunc_end161:
	.size	_ZN9rocsparseL26csrgemm_fill_block_per_rowILj512ELj32ELj1024ELj137ELj64Ell21rocsparse_complex_numIdEEEvT5_PKS3_S5_NS_24const_host_device_scalarIT6_EEPKT4_S5_PKS7_SB_S5_SD_S8_SB_S5_SD_SB_PS3_PS7_21rocsparse_index_base_SG_SG_SG_bbb, .Lfunc_end161-_ZN9rocsparseL26csrgemm_fill_block_per_rowILj512ELj32ELj1024ELj137ELj64Ell21rocsparse_complex_numIdEEEvT5_PKS3_S5_NS_24const_host_device_scalarIT6_EEPKT4_S5_PKS7_SB_S5_SD_S8_SB_S5_SD_SB_PS3_PS7_21rocsparse_index_base_SG_SG_SG_bbb
                                        ; -- End function
	.section	.AMDGPU.csdata,"",@progbits
; Kernel info:
; codeLenInByte = 3188
; NumSgprs: 66
; NumVgprs: 42
; NumAgprs: 0
; TotalNumVgprs: 42
; ScratchSize: 40
; MemoryBound: 0
; FloatMode: 240
; IeeeMode: 1
; LDSByteSize: 0 bytes/workgroup (compile time only)
; SGPRBlocks: 8
; VGPRBlocks: 5
; NumSGPRsForWavesPerEU: 66
; NumVGPRsForWavesPerEU: 42
; AccumOffset: 44
; Occupancy: 8
; WaveLimiterHint : 1
; COMPUTE_PGM_RSRC2:SCRATCH_EN: 1
; COMPUTE_PGM_RSRC2:USER_SGPR: 8
; COMPUTE_PGM_RSRC2:TRAP_HANDLER: 0
; COMPUTE_PGM_RSRC2:TGID_X_EN: 1
; COMPUTE_PGM_RSRC2:TGID_Y_EN: 0
; COMPUTE_PGM_RSRC2:TGID_Z_EN: 0
; COMPUTE_PGM_RSRC2:TIDIG_COMP_CNT: 0
; COMPUTE_PGM_RSRC3_GFX90A:ACCUM_OFFSET: 10
; COMPUTE_PGM_RSRC3_GFX90A:TG_SPLIT: 0
	.section	.text._ZN9rocsparseL26csrgemm_fill_block_per_rowILj1024ELj32ELj2048ELj137ELj32Ell21rocsparse_complex_numIdEEEvT5_PKS3_S5_NS_24const_host_device_scalarIT6_EEPKT4_S5_PKS7_SB_S5_SD_S8_SB_S5_SD_SB_PS3_PS7_21rocsparse_index_base_SG_SG_SG_bbb,"axG",@progbits,_ZN9rocsparseL26csrgemm_fill_block_per_rowILj1024ELj32ELj2048ELj137ELj32Ell21rocsparse_complex_numIdEEEvT5_PKS3_S5_NS_24const_host_device_scalarIT6_EEPKT4_S5_PKS7_SB_S5_SD_S8_SB_S5_SD_SB_PS3_PS7_21rocsparse_index_base_SG_SG_SG_bbb,comdat
	.globl	_ZN9rocsparseL26csrgemm_fill_block_per_rowILj1024ELj32ELj2048ELj137ELj32Ell21rocsparse_complex_numIdEEEvT5_PKS3_S5_NS_24const_host_device_scalarIT6_EEPKT4_S5_PKS7_SB_S5_SD_S8_SB_S5_SD_SB_PS3_PS7_21rocsparse_index_base_SG_SG_SG_bbb ; -- Begin function _ZN9rocsparseL26csrgemm_fill_block_per_rowILj1024ELj32ELj2048ELj137ELj32Ell21rocsparse_complex_numIdEEEvT5_PKS3_S5_NS_24const_host_device_scalarIT6_EEPKT4_S5_PKS7_SB_S5_SD_S8_SB_S5_SD_SB_PS3_PS7_21rocsparse_index_base_SG_SG_SG_bbb
	.p2align	8
	.type	_ZN9rocsparseL26csrgemm_fill_block_per_rowILj1024ELj32ELj2048ELj137ELj32Ell21rocsparse_complex_numIdEEEvT5_PKS3_S5_NS_24const_host_device_scalarIT6_EEPKT4_S5_PKS7_SB_S5_SD_S8_SB_S5_SD_SB_PS3_PS7_21rocsparse_index_base_SG_SG_SG_bbb,@function
_ZN9rocsparseL26csrgemm_fill_block_per_rowILj1024ELj32ELj2048ELj137ELj32Ell21rocsparse_complex_numIdEEEvT5_PKS3_S5_NS_24const_host_device_scalarIT6_EEPKT4_S5_PKS7_SB_S5_SD_S8_SB_S5_SD_SB_PS3_PS7_21rocsparse_index_base_SG_SG_SG_bbb: ; @_ZN9rocsparseL26csrgemm_fill_block_per_rowILj1024ELj32ELj2048ELj137ELj32Ell21rocsparse_complex_numIdEEEvT5_PKS3_S5_NS_24const_host_device_scalarIT6_EEPKT4_S5_PKS7_SB_S5_SD_S8_SB_S5_SD_SB_PS3_PS7_21rocsparse_index_base_SG_SG_SG_bbb
; %bb.0:
	s_add_u32 flat_scratch_lo, s6, s9
	s_addc_u32 flat_scratch_hi, s7, 0
	s_load_dwordx4 s[12:15], s[4:5], 0x18
	s_load_dwordx4 s[28:31], s[4:5], 0x58
	s_add_u32 s0, s0, s9
	s_load_dword s9, s[4:5], 0xa8
	s_load_dwordx4 s[72:75], s[4:5], 0x98
	s_addc_u32 s1, s1, 0
	s_waitcnt lgkmcnt(0)
	v_mov_b32_e32 v1, s13
	buffer_store_dword v1, off, s[0:3], 0 offset:20
	s_bitcmp1_b32 s9, 0
	s_cselect_b64 s[36:37], -1, 0
	s_bitcmp1_b32 s9, 16
	v_mov_b32_e32 v1, s12
	s_cselect_b64 s[6:7], -1, 0
	buffer_store_dword v1, off, s[0:3], 0 offset:16
	v_mov_b32_e32 v1, s29
	buffer_store_dword v1, off, s[0:3], 0 offset:28
	v_mov_b32_e32 v1, s28
	s_xor_b64 s[10:11], s[6:7], -1
	buffer_store_dword v1, off, s[0:3], 0 offset:24
	v_pk_mov_b32 v[2:3], 0, 0
	v_cndmask_b32_e64 v1, 0, 1, s[10:11]
	s_bitcmp0_b32 s9, 0
	v_cmp_ne_u32_e64 s[10:11], 1, v1
	v_pk_mov_b32 v[6:7], v[2:3], v[2:3] op_sel:[0,1]
	v_pk_mov_b32 v[8:9], v[2:3], v[2:3] op_sel:[0,1]
	s_cbranch_scc1 .LBB162_3
; %bb.1:
	s_mov_b64 s[16:17], src_private_base
	s_and_b64 s[18:19], s[6:7], exec
	s_cselect_b32 s16, s17, s13
	v_mov_b32_e32 v1, 16
	v_mov_b32_e32 v4, s12
	v_cndmask_b32_e64 v4, v4, v1, s[6:7]
	v_mov_b32_e32 v5, s16
	flat_load_dwordx2 v[6:7], v[4:5]
	s_and_b64 vcc, exec, s[10:11]
	v_pk_mov_b32 v[8:9], s[14:15], s[14:15] op_sel:[0,1]
	s_cbranch_vccnz .LBB162_3
; %bb.2:
	v_pk_mov_b32 v[4:5], s[12:13], s[12:13] op_sel:[0,1]
	flat_load_dwordx2 v[8:9], v[4:5] offset:8
.LBB162_3:
	s_load_dwordx4 s[76:79], s[4:5], 0x88
	s_load_dwordx8 s[64:71], s[4:5], 0x68
	s_load_dwordx4 s[20:23], s[4:5], 0x48
	s_load_dwordx4 s[24:27], s[4:5], 0x8
	s_load_dwordx8 s[12:19], s[4:5], 0x28
	s_bitcmp1_b32 s9, 8
	s_cselect_b64 s[34:35], -1, 0
	s_bfe_u32 s9, s9, 0x10008
	s_mov_b64 s[38:39], 0
	s_cmp_eq_u32 s9, 0
	v_pk_mov_b32 v[4:5], v[2:3], v[2:3] op_sel:[0,1]
	s_cbranch_scc1 .LBB162_6
; %bb.4:
	s_mov_b64 s[40:41], src_private_base
	s_and_b64 s[42:43], s[6:7], exec
	s_cselect_b32 s9, s41, s29
	v_mov_b32_e32 v1, 24
	v_mov_b32_e32 v2, s28
	v_cndmask_b32_e64 v2, v2, v1, s[6:7]
	v_mov_b32_e32 v3, s9
	flat_load_dwordx2 v[4:5], v[2:3]
	s_and_b64 vcc, exec, s[10:11]
	v_pk_mov_b32 v[2:3], s[30:31], s[30:31] op_sel:[0,1]
	s_cbranch_vccnz .LBB162_6
; %bb.5:
	v_pk_mov_b32 v[2:3], s[28:29], s[28:29] op_sel:[0,1]
	flat_load_dwordx2 v[2:3], v[2:3] offset:8
.LBB162_6:
	s_load_dwordx2 s[80:81], s[4:5], 0x0
	s_mov_b32 s4, 0
	v_lshl_add_u32 v1, v0, 4, 0
	v_add_u32_e32 v1, 0x4000, v1
	v_or_b32_e32 v27, 0xfffffc00, v0
	v_lshl_add_u32 v30, v0, 3, 0
	s_mov_b32 s5, s4
	s_mov_b32 s6, s4
	;; [unrolled: 1-line block ×3, first 2 shown]
	s_waitcnt lgkmcnt(0)
	v_pk_mov_b32 v[10:11], s[80:81], s[80:81] op_sel:[0,1]
	v_pk_mov_b32 v[12:13], s[4:5], s[4:5] op_sel:[0,1]
	;; [unrolled: 1-line block ×3, first 2 shown]
	v_mov_b32_e32 v16, v30
	v_mov_b32_e32 v17, v27
	;; [unrolled: 1-line block ×3, first 2 shown]
.LBB162_7:                              ; =>This Inner Loop Header: Depth=1
	v_add_co_u32_e32 v17, vcc, 0x400, v17
	s_xor_b64 s[4:5], vcc, -1
	s_and_b64 s[4:5], exec, s[4:5]
	ds_write_b64 v16, v[10:11]
	ds_write2_b64 v18, v[12:13], v[14:15] offset1:1
	v_add_u32_e32 v18, 0x4000, v18
	s_or_b64 s[38:39], s[4:5], s[38:39]
	v_add_u32_e32 v16, 0x2000, v16
	s_andn2_b64 exec, exec, s[38:39]
	s_cbranch_execnz .LBB162_7
; %bb.8:
	s_or_b64 exec, exec, s[38:39]
	s_waitcnt lgkmcnt(0)
	s_barrier
	s_load_dwordx2 s[4:5], s[24:25], 0x0
	s_mov_b32 s9, 0
	v_lshrrev_b32_e32 v31, 5, v0
	s_waitcnt lgkmcnt(0)
	s_lshl_b64 s[4:5], s[4:5], 3
	s_add_u32 s6, s26, s4
	s_addc_u32 s7, s27, s5
	s_lshl_b64 s[4:5], s[8:9], 3
	s_add_u32 s4, s6, s4
	s_addc_u32 s5, s7, s5
	s_load_dwordx2 s[82:83], s[4:5], 0x0
	s_and_b64 vcc, exec, s[36:37]
	s_cbranch_vccz .LBB162_28
; %bb.9:
	s_waitcnt lgkmcnt(0)
	s_lshl_b64 s[4:5], s[82:83], 3
	s_add_u32 s4, s12, s4
	s_addc_u32 s5, s13, s5
	s_load_dwordx4 s[24:27], s[4:5], 0x0
	v_subrev_co_u32_e32 v10, vcc, s72, v31
	v_subb_co_u32_e64 v11, s[6:7], 0, 0, vcc
	s_waitcnt lgkmcnt(0)
	s_sub_u32 s4, s26, s72
	v_mov_b32_e32 v12, s25
	v_add_co_u32_e32 v10, vcc, s24, v10
	s_subb_u32 s5, s27, 0
	v_addc_co_u32_e32 v11, vcc, v12, v11, vcc
	v_cmp_gt_i64_e32 vcc, s[4:5], v[10:11]
	s_and_saveexec_b64 s[6:7], vcc
	s_cbranch_execz .LBB162_27
; %bb.10:
	v_and_b32_e32 v12, 31, v0
	v_subrev_co_u32_e32 v32, vcc, s73, v12
	s_mov_b32 s8, 0
	v_subb_co_u32_e64 v33, s[10:11], 0, 0, vcc
	s_mov_b32 s33, s72
	s_mov_b32 s40, s73
	s_mov_b64 s[10:11], 0
	v_mov_b32_e32 v34, s15
	v_mov_b32_e32 v35, s9
	;; [unrolled: 1-line block ×4, first 2 shown]
	s_movk_i32 s15, 0x89
	s_branch .LBB162_12
.LBB162_11:                             ;   in Loop: Header=BB162_12 Depth=1
	s_or_b64 exec, exec, s[8:9]
	v_add_co_u32_e32 v10, vcc, 32, v10
	v_addc_co_u32_e32 v11, vcc, 0, v11, vcc
	v_cmp_le_i64_e32 vcc, s[4:5], v[10:11]
	s_or_b64 s[10:11], vcc, s[10:11]
	s_andn2_b64 exec, exec, s[10:11]
	s_cbranch_execz .LBB162_27
.LBB162_12:                             ; =>This Loop Header: Depth=1
                                        ;     Child Loop BB162_15 Depth 2
                                        ;       Child Loop BB162_17 Depth 3
	v_lshlrev_b64 v[12:13], 3, v[10:11]
	v_add_co_u32_e32 v12, vcc, s14, v12
	v_addc_co_u32_e32 v13, vcc, v34, v13, vcc
	global_load_dwordx2 v[12:13], v[12:13], off
	s_waitcnt vmcnt(0)
	v_subrev_co_u32_e32 v12, vcc, s33, v12
	v_subb_co_u32_e32 v13, vcc, v13, v35, vcc
	v_lshlrev_b64 v[12:13], 3, v[12:13]
	v_add_co_u32_e32 v12, vcc, s18, v12
	v_addc_co_u32_e32 v13, vcc, v36, v13, vcc
	global_load_dwordx4 v[14:17], v[12:13], off
	s_waitcnt vmcnt(0)
	v_subrev_co_u32_e32 v12, vcc, s40, v16
	v_subb_co_u32_e32 v13, vcc, v17, v37, vcc
	v_add_co_u32_e32 v14, vcc, v14, v32
	v_addc_co_u32_e32 v15, vcc, v15, v33, vcc
	v_cmp_lt_i64_e32 vcc, v[14:15], v[12:13]
	s_and_saveexec_b64 s[8:9], vcc
	s_cbranch_execz .LBB162_11
; %bb.13:                               ;   in Loop: Header=BB162_12 Depth=1
	v_lshlrev_b64 v[16:17], 4, v[10:11]
	v_mov_b32_e32 v18, s17
	v_add_co_u32_e32 v16, vcc, s16, v16
	v_addc_co_u32_e32 v17, vcc, v18, v17, vcc
	global_load_dwordx4 v[20:23], v[16:17], off
	s_mov_b64 s[12:13], 0
	s_waitcnt vmcnt(0)
	v_mul_f64 v[16:17], v[22:23], -v[8:9]
	v_mul_f64 v[18:19], v[6:7], v[22:23]
	v_fmac_f64_e32 v[16:17], v[6:7], v[20:21]
	v_fmac_f64_e32 v[18:19], v[8:9], v[20:21]
	s_branch .LBB162_15
.LBB162_14:                             ;   in Loop: Header=BB162_15 Depth=2
	s_or_b64 exec, exec, s[24:25]
	v_add_co_u32_e32 v14, vcc, 32, v14
	v_addc_co_u32_e32 v15, vcc, 0, v15, vcc
	v_cmp_ge_i64_e32 vcc, v[14:15], v[12:13]
	s_or_b64 s[12:13], vcc, s[12:13]
	s_andn2_b64 exec, exec, s[12:13]
	s_cbranch_execz .LBB162_11
.LBB162_15:                             ;   Parent Loop BB162_12 Depth=1
                                        ; =>  This Loop Header: Depth=2
                                        ;       Child Loop BB162_17 Depth 3
	v_lshlrev_b64 v[20:21], 3, v[14:15]
	v_mov_b32_e32 v22, s21
	v_add_co_u32_e32 v20, vcc, s20, v20
	v_addc_co_u32_e32 v21, vcc, v22, v21, vcc
	v_lshlrev_b64 v[22:23], 4, v[14:15]
	v_mov_b32_e32 v24, s23
	v_add_co_u32_e32 v22, vcc, s22, v22
	global_load_dwordx2 v[20:21], v[20:21], off
	v_addc_co_u32_e32 v23, vcc, v24, v23, vcc
	global_load_dwordx4 v[38:41], v[22:23], off
	s_mov_b64 s[24:25], 0
	s_waitcnt vmcnt(1)
	v_subrev_co_u32_e32 v20, vcc, s40, v20
	v_mul_lo_u32 v26, v20, s15
	s_waitcnt vmcnt(0)
	v_mul_f64 v[22:23], v[40:41], -v[18:19]
	v_mul_f64 v[24:25], v[16:17], v[40:41]
	v_subb_co_u32_e32 v21, vcc, v21, v37, vcc
	v_fmac_f64_e32 v[22:23], v[16:17], v[38:39]
	v_fmac_f64_e32 v[24:25], v[18:19], v[38:39]
	v_and_b32_e32 v26, 0x7ff, v26
	s_branch .LBB162_17
.LBB162_16:                             ;   in Loop: Header=BB162_17 Depth=3
	s_or_b64 exec, exec, s[26:27]
	s_xor_b64 s[26:27], s[28:29], -1
	s_and_b64 s[26:27], exec, s[26:27]
	s_or_b64 s[24:25], s[26:27], s[24:25]
	s_andn2_b64 exec, exec, s[24:25]
	s_cbranch_execz .LBB162_14
.LBB162_17:                             ;   Parent Loop BB162_12 Depth=1
                                        ;     Parent Loop BB162_15 Depth=2
                                        ; =>    This Inner Loop Header: Depth=3
	v_lshl_add_u32 v38, v26, 3, 0
	ds_read_b64 v[28:29], v38
                                        ; implicit-def: $sgpr28_sgpr29
	s_waitcnt lgkmcnt(0)
	v_cmp_ne_u64_e32 vcc, v[28:29], v[20:21]
	s_and_saveexec_b64 s[26:27], vcc
	s_xor_b64 s[26:27], exec, s[26:27]
	s_cbranch_execz .LBB162_25
; %bb.18:                               ;   in Loop: Header=BB162_17 Depth=3
	v_cmp_ne_u64_e32 vcc, s[80:81], v[28:29]
                                        ; implicit-def: $sgpr28_sgpr29
	s_and_saveexec_b64 s[30:31], vcc
	s_xor_b64 s[30:31], exec, s[30:31]
; %bb.19:                               ;   in Loop: Header=BB162_17 Depth=3
	v_add_u32_e32 v26, 1, v26
	v_and_b32_e32 v26, 0x7ff, v26
	s_mov_b64 s[28:29], -1
                                        ; implicit-def: $vgpr38
; %bb.20:                               ;   in Loop: Header=BB162_17 Depth=3
	s_andn2_saveexec_b64 s[30:31], s[30:31]
	s_cbranch_execz .LBB162_24
; %bb.21:                               ;   in Loop: Header=BB162_17 Depth=3
	v_pk_mov_b32 v[28:29], s[80:81], s[80:81] op_sel:[0,1]
	ds_cmpst_rtn_b64 v[28:29], v38, v[28:29], v[20:21]
	s_mov_b64 s[36:37], -1
	s_waitcnt lgkmcnt(0)
	v_cmp_eq_u64_e32 vcc, s[80:81], v[28:29]
	s_and_saveexec_b64 s[38:39], vcc
	s_cbranch_execz .LBB162_23
; %bb.22:                               ;   in Loop: Header=BB162_17 Depth=3
	v_lshl_add_u32 v28, v26, 3, v38
	ds_add_f64 v28, v[22:23] offset:16384
	ds_add_f64 v28, v[24:25] offset:16392
	s_xor_b64 s[36:37], exec, -1
.LBB162_23:                             ;   in Loop: Header=BB162_17 Depth=3
	s_or_b64 exec, exec, s[38:39]
	s_andn2_b64 s[28:29], s[28:29], exec
	s_and_b64 s[36:37], s[36:37], exec
	s_or_b64 s[28:29], s[28:29], s[36:37]
.LBB162_24:                             ;   in Loop: Header=BB162_17 Depth=3
	s_or_b64 exec, exec, s[30:31]
	s_and_b64 s[28:29], s[28:29], exec
                                        ; implicit-def: $vgpr38
.LBB162_25:                             ;   in Loop: Header=BB162_17 Depth=3
	s_andn2_saveexec_b64 s[26:27], s[26:27]
	s_cbranch_execz .LBB162_16
; %bb.26:                               ;   in Loop: Header=BB162_17 Depth=3
	v_lshl_add_u32 v28, v26, 3, v38
	ds_add_f64 v28, v[22:23] offset:16384
	ds_add_f64 v28, v[24:25] offset:16392
	s_andn2_b64 s[28:29], s[28:29], exec
	s_branch .LBB162_16
.LBB162_27:
	s_or_b64 exec, exec, s[6:7]
.LBB162_28:
	s_andn2_b64 vcc, exec, s[34:35]
	s_cbranch_vccnz .LBB162_45
; %bb.29:
	s_waitcnt lgkmcnt(0)
	s_lshl_b64 s[4:5], s[82:83], 3
	s_add_u32 s4, s64, s4
	s_addc_u32 s5, s65, s5
	s_load_dwordx4 s[12:15], s[4:5], 0x0
	s_waitcnt vmcnt(0)
	v_subrev_co_u32_e32 v6, vcc, s75, v0
	v_subb_co_u32_e64 v7, s[6:7], 0, 0, vcc
	s_waitcnt lgkmcnt(0)
	s_sub_u32 s4, s14, s75
	v_mov_b32_e32 v8, s13
	v_add_co_u32_e32 v6, vcc, s12, v6
	s_subb_u32 s5, s15, 0
	v_addc_co_u32_e32 v7, vcc, v8, v7, vcc
	s_mov_b32 s10, 0
	v_cmp_gt_i64_e32 vcc, s[4:5], v[6:7]
	s_and_saveexec_b64 s[6:7], vcc
	s_cbranch_execz .LBB162_44
; %bb.30:
	s_mov_b32 s22, s75
	s_mov_b64 s[8:9], 0
	v_mov_b32_e32 v15, s67
	v_mov_b32_e32 v18, s10
	;; [unrolled: 1-line block ×3, first 2 shown]
	s_movk_i32 s23, 0x89
	s_branch .LBB162_32
.LBB162_31:                             ;   in Loop: Header=BB162_32 Depth=1
	s_or_b64 exec, exec, s[10:11]
	v_add_co_u32_e32 v6, vcc, 0x400, v6
	v_addc_co_u32_e32 v7, vcc, 0, v7, vcc
	v_cmp_le_i64_e32 vcc, s[4:5], v[6:7]
	s_or_b64 s[8:9], vcc, s[8:9]
	s_andn2_b64 exec, exec, s[8:9]
	s_cbranch_execz .LBB162_44
.LBB162_32:                             ; =>This Loop Header: Depth=1
                                        ;     Child Loop BB162_34 Depth 2
	v_lshlrev_b64 v[8:9], 3, v[6:7]
	v_add_co_u32_e32 v8, vcc, s66, v8
	v_addc_co_u32_e32 v9, vcc, v15, v9, vcc
	v_lshlrev_b64 v[10:11], 4, v[6:7]
	v_add_co_u32_e32 v10, vcc, s68, v10
	global_load_dwordx2 v[8:9], v[8:9], off
	v_addc_co_u32_e32 v11, vcc, v19, v11, vcc
	global_load_dwordx4 v[20:23], v[10:11], off
	s_mov_b64 s[10:11], 0
	s_waitcnt vmcnt(1)
	v_subrev_co_u32_e32 v8, vcc, s22, v8
	v_mul_lo_u32 v14, v8, s23
	s_waitcnt vmcnt(0)
	v_mul_f64 v[10:11], v[22:23], -v[2:3]
	v_mul_f64 v[12:13], v[4:5], v[22:23]
	v_subb_co_u32_e32 v9, vcc, v9, v18, vcc
	v_fmac_f64_e32 v[10:11], v[4:5], v[20:21]
	v_fmac_f64_e32 v[12:13], v[2:3], v[20:21]
	v_and_b32_e32 v14, 0x7ff, v14
	s_branch .LBB162_34
.LBB162_33:                             ;   in Loop: Header=BB162_34 Depth=2
	s_or_b64 exec, exec, s[12:13]
	s_xor_b64 s[12:13], s[14:15], -1
	s_and_b64 s[12:13], exec, s[12:13]
	s_or_b64 s[10:11], s[12:13], s[10:11]
	s_andn2_b64 exec, exec, s[10:11]
	s_cbranch_execz .LBB162_31
.LBB162_34:                             ;   Parent Loop BB162_32 Depth=1
                                        ; =>  This Inner Loop Header: Depth=2
	v_lshl_add_u32 v20, v14, 3, 0
	ds_read_b64 v[16:17], v20
                                        ; implicit-def: $sgpr14_sgpr15
	s_waitcnt lgkmcnt(0)
	v_cmp_ne_u64_e32 vcc, v[16:17], v[8:9]
	s_and_saveexec_b64 s[12:13], vcc
	s_xor_b64 s[12:13], exec, s[12:13]
	s_cbranch_execz .LBB162_42
; %bb.35:                               ;   in Loop: Header=BB162_34 Depth=2
	v_cmp_ne_u64_e32 vcc, s[80:81], v[16:17]
                                        ; implicit-def: $sgpr14_sgpr15
	s_and_saveexec_b64 s[16:17], vcc
	s_xor_b64 s[16:17], exec, s[16:17]
; %bb.36:                               ;   in Loop: Header=BB162_34 Depth=2
	v_add_u32_e32 v14, 1, v14
	v_and_b32_e32 v14, 0x7ff, v14
	s_mov_b64 s[14:15], -1
                                        ; implicit-def: $vgpr20
; %bb.37:                               ;   in Loop: Header=BB162_34 Depth=2
	s_andn2_saveexec_b64 s[16:17], s[16:17]
	s_cbranch_execz .LBB162_41
; %bb.38:                               ;   in Loop: Header=BB162_34 Depth=2
	v_pk_mov_b32 v[16:17], s[80:81], s[80:81] op_sel:[0,1]
	ds_cmpst_rtn_b64 v[16:17], v20, v[16:17], v[8:9]
	s_mov_b64 s[18:19], -1
	s_waitcnt lgkmcnt(0)
	v_cmp_eq_u64_e32 vcc, s[80:81], v[16:17]
	s_and_saveexec_b64 s[20:21], vcc
	s_cbranch_execz .LBB162_40
; %bb.39:                               ;   in Loop: Header=BB162_34 Depth=2
	v_lshl_add_u32 v16, v14, 3, v20
	ds_add_f64 v16, v[10:11] offset:16384
	ds_add_f64 v16, v[12:13] offset:16392
	s_xor_b64 s[18:19], exec, -1
.LBB162_40:                             ;   in Loop: Header=BB162_34 Depth=2
	s_or_b64 exec, exec, s[20:21]
	s_andn2_b64 s[14:15], s[14:15], exec
	s_and_b64 s[18:19], s[18:19], exec
	s_or_b64 s[14:15], s[14:15], s[18:19]
.LBB162_41:                             ;   in Loop: Header=BB162_34 Depth=2
	s_or_b64 exec, exec, s[16:17]
	s_and_b64 s[14:15], s[14:15], exec
                                        ; implicit-def: $vgpr20
.LBB162_42:                             ;   in Loop: Header=BB162_34 Depth=2
	s_andn2_saveexec_b64 s[12:13], s[12:13]
	s_cbranch_execz .LBB162_33
; %bb.43:                               ;   in Loop: Header=BB162_34 Depth=2
	v_lshl_add_u32 v16, v14, 3, v20
	ds_add_f64 v16, v[10:11] offset:16384
	ds_add_f64 v16, v[12:13] offset:16392
	s_andn2_b64 s[14:15], s[14:15], exec
	s_branch .LBB162_33
.LBB162_44:
	s_or_b64 exec, exec, s[6:7]
.LBB162_45:
	s_movk_i32 s33, 0x1bf
	v_cmp_lt_u32_e64 s[34:35], s33, v0
	s_movk_i32 s33, 0x1df
	v_cmp_lt_u32_e64 s[36:37], s33, v0
	;; [unrolled: 2-line block ×14, first 2 shown]
	s_movk_i32 s33, 0x37f
	s_waitcnt vmcnt(0)
	v_mbcnt_lo_u32_b32 v2, -1, 0
	v_cmp_lt_u32_e64 s[62:63], s33, v0
	s_movk_i32 s33, 0x39f
	v_mbcnt_hi_u32_b32 v2, -1, v2
	v_cmp_lt_u32_e64 s[64:65], s33, v0
	s_movk_i32 s33, 0x3bf
	v_sub_u32_e32 v2, 63, v2
	s_movk_i32 s4, 0x3ff
	s_movk_i32 s10, 0x5f
	;; [unrolled: 1-line block ×12, first 2 shown]
	v_cmp_lt_u32_e64 s[66:67], s33, v0
	s_movk_i32 s33, 0x3df
	v_mov_b32_e32 v3, 0
	v_lshrrev_b64 v[4:5], v2, -1
	v_lshl_add_u32 v12, v31, 3, 0
	v_cmp_eq_u32_e64 s[4:5], s4, v0
	v_cmp_lt_u32_e64 s[6:7], 31, v0
	v_cmp_lt_u32_e64 s[8:9], 63, v0
	;; [unrolled: 1-line block ×14, first 2 shown]
	s_mov_b64 s[72:73], 0
	v_pk_mov_b32 v[6:7], 0, 0
	s_waitcnt lgkmcnt(0)
	s_barrier
	s_branch .LBB162_47
.LBB162_46:                             ;   in Loop: Header=BB162_47 Depth=1
	s_or_b64 exec, exec, s[84:85]
	s_waitcnt lgkmcnt(0)
	s_barrier
	ds_read_b64 v[8:9], v3 offset:49400
	v_add_u32_e32 v1, 0x4000, v1
	v_add_u32_e32 v30, 0x2000, v30
	s_waitcnt lgkmcnt(0)
	v_add_co_u32_e32 v6, vcc, v8, v6
	v_addc_co_u32_e32 v7, vcc, v9, v7, vcc
	v_add_co_u32_e32 v27, vcc, 0x400, v27
	s_xor_b64 s[84:85], vcc, -1
	s_and_b64 s[84:85], exec, s[84:85]
	s_or_b64 s[72:73], s[84:85], s[72:73]
	s_andn2_b64 exec, exec, s[72:73]
	s_cbranch_execz .LBB162_113
.LBB162_47:                             ; =>This Inner Loop Header: Depth=1
	ds_read2_b64 v[14:17], v1 offset1:1
	ds_read_b64 v[10:11], v30
	s_waitcnt lgkmcnt(1)
	buffer_store_dword v17, off, s[0:3], 0 offset:12
	buffer_store_dword v16, off, s[0:3], 0 offset:8
	;; [unrolled: 1-line block ×3, first 2 shown]
	buffer_store_dword v14, off, s[0:3], 0
	s_waitcnt lgkmcnt(0)
	v_cmp_gt_i64_e32 vcc, s[80:81], v[10:11]
	v_and_b32_e32 v9, vcc_lo, v4
	s_bcnt1_i32_b64 s33, vcc
	v_and_b32_e32 v8, vcc_hi, v5
	v_bcnt_u32_b32 v9, v9, 0
	v_mov_b32_e32 v2, s33
	v_bcnt_u32_b32 v8, v8, v9
	s_barrier
	ds_write_b64 v12, v[2:3] offset:49152
	s_waitcnt lgkmcnt(0)
	s_barrier
	s_and_saveexec_b64 s[84:85], s[6:7]
	s_cbranch_execnz .LBB162_80
; %bb.48:                               ;   in Loop: Header=BB162_47 Depth=1
	s_or_b64 exec, exec, s[84:85]
	s_and_saveexec_b64 s[84:85], s[8:9]
	s_cbranch_execnz .LBB162_81
.LBB162_49:                             ;   in Loop: Header=BB162_47 Depth=1
	s_or_b64 exec, exec, s[84:85]
	s_and_saveexec_b64 s[84:85], s[10:11]
	s_cbranch_execnz .LBB162_82
.LBB162_50:                             ;   in Loop: Header=BB162_47 Depth=1
	s_or_b64 exec, exec, s[84:85]
	s_and_saveexec_b64 s[84:85], s[12:13]
	s_cbranch_execnz .LBB162_83
.LBB162_51:                             ;   in Loop: Header=BB162_47 Depth=1
	s_or_b64 exec, exec, s[84:85]
	s_and_saveexec_b64 s[84:85], s[14:15]
	s_cbranch_execnz .LBB162_84
.LBB162_52:                             ;   in Loop: Header=BB162_47 Depth=1
	s_or_b64 exec, exec, s[84:85]
	s_and_saveexec_b64 s[84:85], s[16:17]
	s_cbranch_execnz .LBB162_85
.LBB162_53:                             ;   in Loop: Header=BB162_47 Depth=1
	s_or_b64 exec, exec, s[84:85]
	s_and_saveexec_b64 s[84:85], s[18:19]
	s_cbranch_execnz .LBB162_86
.LBB162_54:                             ;   in Loop: Header=BB162_47 Depth=1
	s_or_b64 exec, exec, s[84:85]
	s_and_saveexec_b64 s[84:85], s[20:21]
	s_cbranch_execnz .LBB162_87
.LBB162_55:                             ;   in Loop: Header=BB162_47 Depth=1
	s_or_b64 exec, exec, s[84:85]
	s_and_saveexec_b64 s[84:85], s[22:23]
	s_cbranch_execnz .LBB162_88
.LBB162_56:                             ;   in Loop: Header=BB162_47 Depth=1
	s_or_b64 exec, exec, s[84:85]
	s_and_saveexec_b64 s[84:85], s[24:25]
	s_cbranch_execnz .LBB162_89
.LBB162_57:                             ;   in Loop: Header=BB162_47 Depth=1
	s_or_b64 exec, exec, s[84:85]
	s_and_saveexec_b64 s[84:85], s[26:27]
	s_cbranch_execnz .LBB162_90
.LBB162_58:                             ;   in Loop: Header=BB162_47 Depth=1
	s_or_b64 exec, exec, s[84:85]
	s_and_saveexec_b64 s[84:85], s[28:29]
	s_cbranch_execnz .LBB162_91
.LBB162_59:                             ;   in Loop: Header=BB162_47 Depth=1
	s_or_b64 exec, exec, s[84:85]
	s_and_saveexec_b64 s[84:85], s[30:31]
	s_cbranch_execnz .LBB162_92
.LBB162_60:                             ;   in Loop: Header=BB162_47 Depth=1
	s_or_b64 exec, exec, s[84:85]
	s_and_saveexec_b64 s[84:85], s[34:35]
	s_cbranch_execnz .LBB162_93
.LBB162_61:                             ;   in Loop: Header=BB162_47 Depth=1
	s_or_b64 exec, exec, s[84:85]
	s_and_saveexec_b64 s[84:85], s[36:37]
	s_cbranch_execnz .LBB162_94
.LBB162_62:                             ;   in Loop: Header=BB162_47 Depth=1
	s_or_b64 exec, exec, s[84:85]
	s_and_saveexec_b64 s[84:85], s[38:39]
	s_cbranch_execnz .LBB162_95
.LBB162_63:                             ;   in Loop: Header=BB162_47 Depth=1
	s_or_b64 exec, exec, s[84:85]
	s_and_saveexec_b64 s[84:85], s[40:41]
	s_cbranch_execnz .LBB162_96
.LBB162_64:                             ;   in Loop: Header=BB162_47 Depth=1
	s_or_b64 exec, exec, s[84:85]
	s_and_saveexec_b64 s[84:85], s[42:43]
	s_cbranch_execnz .LBB162_97
.LBB162_65:                             ;   in Loop: Header=BB162_47 Depth=1
	s_or_b64 exec, exec, s[84:85]
	s_and_saveexec_b64 s[84:85], s[44:45]
	s_cbranch_execnz .LBB162_98
.LBB162_66:                             ;   in Loop: Header=BB162_47 Depth=1
	s_or_b64 exec, exec, s[84:85]
	s_and_saveexec_b64 s[84:85], s[46:47]
	s_cbranch_execnz .LBB162_99
.LBB162_67:                             ;   in Loop: Header=BB162_47 Depth=1
	s_or_b64 exec, exec, s[84:85]
	s_and_saveexec_b64 s[84:85], s[48:49]
	s_cbranch_execnz .LBB162_100
.LBB162_68:                             ;   in Loop: Header=BB162_47 Depth=1
	s_or_b64 exec, exec, s[84:85]
	s_and_saveexec_b64 s[84:85], s[50:51]
	s_cbranch_execnz .LBB162_101
.LBB162_69:                             ;   in Loop: Header=BB162_47 Depth=1
	s_or_b64 exec, exec, s[84:85]
	s_and_saveexec_b64 s[84:85], s[52:53]
	s_cbranch_execnz .LBB162_102
.LBB162_70:                             ;   in Loop: Header=BB162_47 Depth=1
	s_or_b64 exec, exec, s[84:85]
	s_and_saveexec_b64 s[84:85], s[54:55]
	s_cbranch_execnz .LBB162_103
.LBB162_71:                             ;   in Loop: Header=BB162_47 Depth=1
	s_or_b64 exec, exec, s[84:85]
	s_and_saveexec_b64 s[84:85], s[56:57]
	s_cbranch_execnz .LBB162_104
.LBB162_72:                             ;   in Loop: Header=BB162_47 Depth=1
	s_or_b64 exec, exec, s[84:85]
	s_and_saveexec_b64 s[84:85], s[58:59]
	s_cbranch_execnz .LBB162_105
.LBB162_73:                             ;   in Loop: Header=BB162_47 Depth=1
	s_or_b64 exec, exec, s[84:85]
	s_and_saveexec_b64 s[84:85], s[60:61]
	s_cbranch_execnz .LBB162_106
.LBB162_74:                             ;   in Loop: Header=BB162_47 Depth=1
	s_or_b64 exec, exec, s[84:85]
	s_and_saveexec_b64 s[84:85], s[62:63]
	s_cbranch_execnz .LBB162_107
.LBB162_75:                             ;   in Loop: Header=BB162_47 Depth=1
	s_or_b64 exec, exec, s[84:85]
	s_and_saveexec_b64 s[84:85], s[64:65]
	s_cbranch_execnz .LBB162_108
.LBB162_76:                             ;   in Loop: Header=BB162_47 Depth=1
	s_or_b64 exec, exec, s[84:85]
	s_and_saveexec_b64 s[84:85], s[66:67]
	s_cbranch_execnz .LBB162_109
.LBB162_77:                             ;   in Loop: Header=BB162_47 Depth=1
	s_or_b64 exec, exec, s[84:85]
	s_and_saveexec_b64 s[84:85], s[68:69]
	s_cbranch_execnz .LBB162_110
.LBB162_78:                             ;   in Loop: Header=BB162_47 Depth=1
	s_or_b64 exec, exec, s[84:85]
	v_ashrrev_i32_e32 v9, 31, v8
	s_and_saveexec_b64 s[84:85], vcc
	s_cbranch_execnz .LBB162_111
.LBB162_79:                             ;   in Loop: Header=BB162_47 Depth=1
	s_or_b64 exec, exec, s[84:85]
	s_and_saveexec_b64 s[84:85], s[4:5]
	s_cbranch_execz .LBB162_46
	s_branch .LBB162_112
.LBB162_80:                             ;   in Loop: Header=BB162_47 Depth=1
	ds_read_b32 v2, v3 offset:49152
	s_waitcnt lgkmcnt(0)
	v_add_u32_e32 v8, v2, v8
	s_or_b64 exec, exec, s[84:85]
	s_and_saveexec_b64 s[84:85], s[8:9]
	s_cbranch_execz .LBB162_49
.LBB162_81:                             ;   in Loop: Header=BB162_47 Depth=1
	ds_read_b32 v2, v3 offset:49160
	s_waitcnt lgkmcnt(0)
	v_add_u32_e32 v8, v8, v2
	s_or_b64 exec, exec, s[84:85]
	s_and_saveexec_b64 s[84:85], s[10:11]
	s_cbranch_execz .LBB162_50
.LBB162_82:                             ;   in Loop: Header=BB162_47 Depth=1
	ds_read_b32 v2, v3 offset:49168
	s_waitcnt lgkmcnt(0)
	v_add_u32_e32 v8, v8, v2
	s_or_b64 exec, exec, s[84:85]
	s_and_saveexec_b64 s[84:85], s[12:13]
	s_cbranch_execz .LBB162_51
.LBB162_83:                             ;   in Loop: Header=BB162_47 Depth=1
	ds_read_b32 v2, v3 offset:49176
	s_waitcnt lgkmcnt(0)
	v_add_u32_e32 v8, v8, v2
	s_or_b64 exec, exec, s[84:85]
	s_and_saveexec_b64 s[84:85], s[14:15]
	s_cbranch_execz .LBB162_52
.LBB162_84:                             ;   in Loop: Header=BB162_47 Depth=1
	ds_read_b32 v2, v3 offset:49184
	s_waitcnt lgkmcnt(0)
	v_add_u32_e32 v8, v8, v2
	s_or_b64 exec, exec, s[84:85]
	s_and_saveexec_b64 s[84:85], s[16:17]
	s_cbranch_execz .LBB162_53
.LBB162_85:                             ;   in Loop: Header=BB162_47 Depth=1
	ds_read_b32 v2, v3 offset:49192
	s_waitcnt lgkmcnt(0)
	v_add_u32_e32 v8, v8, v2
	s_or_b64 exec, exec, s[84:85]
	s_and_saveexec_b64 s[84:85], s[18:19]
	s_cbranch_execz .LBB162_54
.LBB162_86:                             ;   in Loop: Header=BB162_47 Depth=1
	ds_read_b32 v2, v3 offset:49200
	s_waitcnt lgkmcnt(0)
	v_add_u32_e32 v8, v8, v2
	s_or_b64 exec, exec, s[84:85]
	s_and_saveexec_b64 s[84:85], s[20:21]
	s_cbranch_execz .LBB162_55
.LBB162_87:                             ;   in Loop: Header=BB162_47 Depth=1
	ds_read_b32 v2, v3 offset:49208
	s_waitcnt lgkmcnt(0)
	v_add_u32_e32 v8, v8, v2
	s_or_b64 exec, exec, s[84:85]
	s_and_saveexec_b64 s[84:85], s[22:23]
	s_cbranch_execz .LBB162_56
.LBB162_88:                             ;   in Loop: Header=BB162_47 Depth=1
	ds_read_b32 v2, v3 offset:49216
	s_waitcnt lgkmcnt(0)
	v_add_u32_e32 v8, v8, v2
	s_or_b64 exec, exec, s[84:85]
	s_and_saveexec_b64 s[84:85], s[24:25]
	s_cbranch_execz .LBB162_57
.LBB162_89:                             ;   in Loop: Header=BB162_47 Depth=1
	ds_read_b32 v2, v3 offset:49224
	s_waitcnt lgkmcnt(0)
	v_add_u32_e32 v8, v8, v2
	s_or_b64 exec, exec, s[84:85]
	s_and_saveexec_b64 s[84:85], s[26:27]
	s_cbranch_execz .LBB162_58
.LBB162_90:                             ;   in Loop: Header=BB162_47 Depth=1
	ds_read_b32 v2, v3 offset:49232
	s_waitcnt lgkmcnt(0)
	v_add_u32_e32 v8, v8, v2
	s_or_b64 exec, exec, s[84:85]
	s_and_saveexec_b64 s[84:85], s[28:29]
	s_cbranch_execz .LBB162_59
.LBB162_91:                             ;   in Loop: Header=BB162_47 Depth=1
	ds_read_b32 v2, v3 offset:49240
	s_waitcnt lgkmcnt(0)
	v_add_u32_e32 v8, v8, v2
	s_or_b64 exec, exec, s[84:85]
	s_and_saveexec_b64 s[84:85], s[30:31]
	s_cbranch_execz .LBB162_60
.LBB162_92:                             ;   in Loop: Header=BB162_47 Depth=1
	ds_read_b32 v2, v3 offset:49248
	s_waitcnt lgkmcnt(0)
	v_add_u32_e32 v8, v8, v2
	s_or_b64 exec, exec, s[84:85]
	s_and_saveexec_b64 s[84:85], s[34:35]
	s_cbranch_execz .LBB162_61
.LBB162_93:                             ;   in Loop: Header=BB162_47 Depth=1
	ds_read_b32 v2, v3 offset:49256
	s_waitcnt lgkmcnt(0)
	v_add_u32_e32 v8, v8, v2
	s_or_b64 exec, exec, s[84:85]
	s_and_saveexec_b64 s[84:85], s[36:37]
	s_cbranch_execz .LBB162_62
.LBB162_94:                             ;   in Loop: Header=BB162_47 Depth=1
	ds_read_b32 v2, v3 offset:49264
	s_waitcnt lgkmcnt(0)
	v_add_u32_e32 v8, v8, v2
	s_or_b64 exec, exec, s[84:85]
	s_and_saveexec_b64 s[84:85], s[38:39]
	s_cbranch_execz .LBB162_63
.LBB162_95:                             ;   in Loop: Header=BB162_47 Depth=1
	ds_read_b32 v2, v3 offset:49272
	s_waitcnt lgkmcnt(0)
	v_add_u32_e32 v8, v8, v2
	s_or_b64 exec, exec, s[84:85]
	s_and_saveexec_b64 s[84:85], s[40:41]
	s_cbranch_execz .LBB162_64
.LBB162_96:                             ;   in Loop: Header=BB162_47 Depth=1
	ds_read_b32 v2, v3 offset:49280
	s_waitcnt lgkmcnt(0)
	v_add_u32_e32 v8, v8, v2
	s_or_b64 exec, exec, s[84:85]
	s_and_saveexec_b64 s[84:85], s[42:43]
	s_cbranch_execz .LBB162_65
.LBB162_97:                             ;   in Loop: Header=BB162_47 Depth=1
	ds_read_b32 v2, v3 offset:49288
	s_waitcnt lgkmcnt(0)
	v_add_u32_e32 v8, v8, v2
	s_or_b64 exec, exec, s[84:85]
	s_and_saveexec_b64 s[84:85], s[44:45]
	s_cbranch_execz .LBB162_66
.LBB162_98:                             ;   in Loop: Header=BB162_47 Depth=1
	ds_read_b32 v2, v3 offset:49296
	s_waitcnt lgkmcnt(0)
	v_add_u32_e32 v8, v8, v2
	s_or_b64 exec, exec, s[84:85]
	s_and_saveexec_b64 s[84:85], s[46:47]
	s_cbranch_execz .LBB162_67
.LBB162_99:                             ;   in Loop: Header=BB162_47 Depth=1
	ds_read_b32 v2, v3 offset:49304
	s_waitcnt lgkmcnt(0)
	v_add_u32_e32 v8, v8, v2
	s_or_b64 exec, exec, s[84:85]
	s_and_saveexec_b64 s[84:85], s[48:49]
	s_cbranch_execz .LBB162_68
.LBB162_100:                            ;   in Loop: Header=BB162_47 Depth=1
	ds_read_b32 v2, v3 offset:49312
	s_waitcnt lgkmcnt(0)
	v_add_u32_e32 v8, v8, v2
	s_or_b64 exec, exec, s[84:85]
	s_and_saveexec_b64 s[84:85], s[50:51]
	s_cbranch_execz .LBB162_69
.LBB162_101:                            ;   in Loop: Header=BB162_47 Depth=1
	ds_read_b32 v2, v3 offset:49320
	s_waitcnt lgkmcnt(0)
	v_add_u32_e32 v8, v8, v2
	s_or_b64 exec, exec, s[84:85]
	s_and_saveexec_b64 s[84:85], s[52:53]
	s_cbranch_execz .LBB162_70
.LBB162_102:                            ;   in Loop: Header=BB162_47 Depth=1
	ds_read_b32 v2, v3 offset:49328
	s_waitcnt lgkmcnt(0)
	v_add_u32_e32 v8, v8, v2
	s_or_b64 exec, exec, s[84:85]
	s_and_saveexec_b64 s[84:85], s[54:55]
	s_cbranch_execz .LBB162_71
.LBB162_103:                            ;   in Loop: Header=BB162_47 Depth=1
	ds_read_b32 v2, v3 offset:49336
	s_waitcnt lgkmcnt(0)
	v_add_u32_e32 v8, v8, v2
	s_or_b64 exec, exec, s[84:85]
	s_and_saveexec_b64 s[84:85], s[56:57]
	s_cbranch_execz .LBB162_72
.LBB162_104:                            ;   in Loop: Header=BB162_47 Depth=1
	ds_read_b32 v2, v3 offset:49344
	s_waitcnt lgkmcnt(0)
	v_add_u32_e32 v8, v8, v2
	s_or_b64 exec, exec, s[84:85]
	s_and_saveexec_b64 s[84:85], s[58:59]
	s_cbranch_execz .LBB162_73
.LBB162_105:                            ;   in Loop: Header=BB162_47 Depth=1
	ds_read_b32 v2, v3 offset:49352
	s_waitcnt lgkmcnt(0)
	v_add_u32_e32 v8, v8, v2
	s_or_b64 exec, exec, s[84:85]
	s_and_saveexec_b64 s[84:85], s[60:61]
	s_cbranch_execz .LBB162_74
.LBB162_106:                            ;   in Loop: Header=BB162_47 Depth=1
	ds_read_b32 v2, v3 offset:49360
	s_waitcnt lgkmcnt(0)
	v_add_u32_e32 v8, v8, v2
	s_or_b64 exec, exec, s[84:85]
	s_and_saveexec_b64 s[84:85], s[62:63]
	s_cbranch_execz .LBB162_75
.LBB162_107:                            ;   in Loop: Header=BB162_47 Depth=1
	ds_read_b32 v2, v3 offset:49368
	s_waitcnt lgkmcnt(0)
	v_add_u32_e32 v8, v8, v2
	s_or_b64 exec, exec, s[84:85]
	s_and_saveexec_b64 s[84:85], s[64:65]
	s_cbranch_execz .LBB162_76
.LBB162_108:                            ;   in Loop: Header=BB162_47 Depth=1
	ds_read_b32 v2, v3 offset:49376
	s_waitcnt lgkmcnt(0)
	v_add_u32_e32 v8, v8, v2
	s_or_b64 exec, exec, s[84:85]
	s_and_saveexec_b64 s[84:85], s[66:67]
	s_cbranch_execz .LBB162_77
.LBB162_109:                            ;   in Loop: Header=BB162_47 Depth=1
	ds_read_b32 v2, v3 offset:49384
	s_waitcnt lgkmcnt(0)
	v_add_u32_e32 v8, v8, v2
	s_or_b64 exec, exec, s[84:85]
	s_and_saveexec_b64 s[84:85], s[68:69]
	s_cbranch_execz .LBB162_78
.LBB162_110:                            ;   in Loop: Header=BB162_47 Depth=1
	ds_read_b32 v2, v3 offset:49392
	s_waitcnt lgkmcnt(0)
	v_add_u32_e32 v8, v8, v2
	s_or_b64 exec, exec, s[84:85]
	v_ashrrev_i32_e32 v9, 31, v8
	s_and_saveexec_b64 s[84:85], vcc
	s_cbranch_execz .LBB162_79
.LBB162_111:                            ;   in Loop: Header=BB162_47 Depth=1
	buffer_load_dword v14, off, s[0:3], 0
	buffer_load_dword v15, off, s[0:3], 0 offset:4
	buffer_load_dword v16, off, s[0:3], 0 offset:8
	;; [unrolled: 1-line block ×3, first 2 shown]
	v_add3_u32 v2, v6, -1, v8
	v_lshl_add_u32 v13, v2, 3, 0
	v_lshl_add_u32 v2, v2, 4, 0
	v_add_u32_e32 v2, 0x4000, v2
	ds_write_b64 v13, v[10:11]
	s_waitcnt vmcnt(0)
	ds_write2_b64 v2, v[14:15], v[16:17] offset1:1
	s_or_b64 exec, exec, s[84:85]
	s_and_saveexec_b64 s[84:85], s[4:5]
	s_cbranch_execz .LBB162_46
.LBB162_112:                            ;   in Loop: Header=BB162_47 Depth=1
	ds_write_b64 v3, v[8:9] offset:49400
	s_branch .LBB162_46
.LBB162_113:
	s_or_b64 exec, exec, s[72:73]
	s_lshl_b64 s[4:5], s[82:83], 3
	s_add_u32 s4, s70, s4
	s_addc_u32 s5, s71, s5
	s_load_dwordx4 s[4:7], s[4:5], 0x0
	v_mov_b32_e32 v1, 0
	s_waitcnt lgkmcnt(0)
	s_sub_u32 s8, s6, s4
	s_subb_u32 s9, s7, s5
	v_cmp_gt_i64_e32 vcc, s[8:9], v[0:1]
	s_and_saveexec_b64 s[10:11], vcc
	s_cbranch_execz .LBB162_123
; %bb.114:
	s_sub_u32 s10, s4, s74
	s_subb_u32 s11, s5, 0
	s_and_b32 s12, s8, 7
	s_sub_u32 s4, s4, s6
	s_mov_b32 s20, 0
	s_subb_u32 s5, s5, s7
	s_mov_b32 s13, s20
	s_and_b32 s6, s8, -8
	v_cmp_lt_u64_e64 s[4:5], s[4:5], -7
	s_cmp_lg_u64 s[12:13], 0
	v_cndmask_b32_e64 v2, 0, 1, s[4:5]
	s_mov_b32 s7, s9
	s_mov_b64 s[14:15], 0
	s_cselect_b64 s[16:17], -1, 0
	v_cmp_ne_u32_e64 s[4:5], 1, v2
	s_movk_i32 s21, 0x4000
	s_branch .LBB162_116
.LBB162_115:                            ;   in Loop: Header=BB162_116 Depth=1
	v_lshlrev_b32_e32 v7, 3, v0
	v_add3_u32 v8, v6, v7, s21
	v_mov_b32_e32 v6, s20
	s_waitcnt lgkmcnt(0)
	v_add_co_u32_e32 v2, vcc, s74, v2
	v_addc_co_u32_e32 v3, vcc, v3, v6, vcc
	v_lshlrev_b64 v[6:7], 3, v[4:5]
	v_mov_b32_e32 v9, s77
	v_add_co_u32_e32 v6, vcc, s76, v6
	v_addc_co_u32_e32 v7, vcc, v9, v7, vcc
	global_store_dwordx2 v[6:7], v[2:3], off
	v_lshlrev_b64 v[2:3], 4, v[4:5]
	v_mov_b32_e32 v4, s79
	v_add_co_u32_e32 v6, vcc, s78, v2
	v_addc_co_u32_e32 v7, vcc, v4, v3, vcc
	ds_read2_b64 v[2:5], v8 offset1:1
	v_add_co_u32_e32 v0, vcc, 0x400, v0
	v_addc_co_u32_e32 v1, vcc, 0, v1, vcc
	v_cmp_le_i64_e32 vcc, s[8:9], v[0:1]
	s_or_b64 s[14:15], vcc, s[14:15]
	s_waitcnt lgkmcnt(0)
	global_store_dwordx4 v[6:7], v[2:5], off
	s_andn2_b64 exec, exec, s[14:15]
	s_cbranch_execz .LBB162_123
.LBB162_116:                            ; =>This Loop Header: Depth=1
                                        ;     Child Loop BB162_118 Depth 2
                                        ;     Child Loop BB162_122 Depth 2
	v_lshl_add_u32 v6, v0, 3, 0
	ds_read_b64 v[2:3], v6
	s_and_b64 vcc, exec, s[4:5]
	v_pk_mov_b32 v[4:5], s[10:11], s[10:11] op_sel:[0,1]
	s_mov_b64 s[18:19], 0
	s_cbranch_vccnz .LBB162_120
; %bb.117:                              ;   in Loop: Header=BB162_116 Depth=1
	s_mov_b32 s22, 0
	v_pk_mov_b32 v[4:5], s[10:11], s[10:11] op_sel:[0,1]
.LBB162_118:                            ;   Parent Loop BB162_116 Depth=1
                                        ; =>  This Inner Loop Header: Depth=2
	v_mov_b32_e32 v7, s22
	ds_read2_b64 v[8:11], v7 offset1:1
	ds_read2_b64 v[12:15], v7 offset0:2 offset1:3
	ds_read2_b64 v[16:19], v7 offset0:4 offset1:5
	;; [unrolled: 1-line block ×3, first 2 shown]
	s_add_u32 s18, s18, 8
	s_waitcnt lgkmcnt(3)
	v_cmp_gt_i64_e32 vcc, v[2:3], v[8:9]
	v_cndmask_b32_e64 v7, 0, 1, vcc
	v_cmp_gt_i64_e32 vcc, v[2:3], v[10:11]
	v_cndmask_b32_e64 v8, 0, 1, vcc
	s_waitcnt lgkmcnt(2)
	v_cmp_gt_i64_e32 vcc, v[2:3], v[12:13]
	v_cndmask_b32_e64 v9, 0, 1, vcc
	v_cmp_gt_i64_e32 vcc, v[2:3], v[14:15]
	v_cndmask_b32_e64 v10, 0, 1, vcc
	;; [unrolled: 5-line block ×4, first 2 shown]
	v_add_co_u32_e32 v4, vcc, v4, v7
	v_addc_co_u32_e32 v5, vcc, 0, v5, vcc
	v_add_co_u32_e32 v4, vcc, v4, v8
	v_addc_co_u32_e32 v5, vcc, 0, v5, vcc
	;; [unrolled: 2-line block ×7, first 2 shown]
	s_addc_u32 s19, s19, 0
	s_add_i32 s22, s22, 64
	v_add_co_u32_e32 v4, vcc, v4, v14
	s_cmp_eq_u64 s[6:7], s[18:19]
	v_addc_co_u32_e32 v5, vcc, 0, v5, vcc
	s_cbranch_scc0 .LBB162_118
; %bb.119:                              ;   in Loop: Header=BB162_116 Depth=1
	s_mov_b64 s[18:19], s[6:7]
.LBB162_120:                            ;   in Loop: Header=BB162_116 Depth=1
	s_andn2_b64 vcc, exec, s[16:17]
	s_cbranch_vccnz .LBB162_115
; %bb.121:                              ;   in Loop: Header=BB162_116 Depth=1
	s_lshl_b32 s18, s18, 3
	s_add_i32 s22, s18, 0
	s_mov_b64 s[18:19], s[12:13]
.LBB162_122:                            ;   Parent Loop BB162_116 Depth=1
                                        ; =>  This Inner Loop Header: Depth=2
	v_mov_b32_e32 v7, s22
	ds_read_b64 v[8:9], v7
	s_add_i32 s22, s22, 8
	s_add_u32 s18, s18, -1
	s_addc_u32 s19, s19, -1
	s_cmp_lg_u64 s[18:19], 0
	s_waitcnt lgkmcnt(0)
	v_cmp_gt_i64_e32 vcc, v[2:3], v[8:9]
	v_cndmask_b32_e64 v7, 0, 1, vcc
	v_add_co_u32_e32 v4, vcc, v4, v7
	v_addc_co_u32_e32 v5, vcc, 0, v5, vcc
	s_cbranch_scc1 .LBB162_122
	s_branch .LBB162_115
.LBB162_123:
	s_endpgm
	.section	.rodata,"a",@progbits
	.p2align	6, 0x0
	.amdhsa_kernel _ZN9rocsparseL26csrgemm_fill_block_per_rowILj1024ELj32ELj2048ELj137ELj32Ell21rocsparse_complex_numIdEEEvT5_PKS3_S5_NS_24const_host_device_scalarIT6_EEPKT4_S5_PKS7_SB_S5_SD_S8_SB_S5_SD_SB_PS3_PS7_21rocsparse_index_base_SG_SG_SG_bbb
		.amdhsa_group_segment_fixed_size 0
		.amdhsa_private_segment_fixed_size 40
		.amdhsa_kernarg_size 172
		.amdhsa_user_sgpr_count 8
		.amdhsa_user_sgpr_private_segment_buffer 1
		.amdhsa_user_sgpr_dispatch_ptr 0
		.amdhsa_user_sgpr_queue_ptr 0
		.amdhsa_user_sgpr_kernarg_segment_ptr 1
		.amdhsa_user_sgpr_dispatch_id 0
		.amdhsa_user_sgpr_flat_scratch_init 1
		.amdhsa_user_sgpr_kernarg_preload_length 0
		.amdhsa_user_sgpr_kernarg_preload_offset 0
		.amdhsa_user_sgpr_private_segment_size 0
		.amdhsa_uses_dynamic_stack 0
		.amdhsa_system_sgpr_private_segment_wavefront_offset 1
		.amdhsa_system_sgpr_workgroup_id_x 1
		.amdhsa_system_sgpr_workgroup_id_y 0
		.amdhsa_system_sgpr_workgroup_id_z 0
		.amdhsa_system_sgpr_workgroup_info 0
		.amdhsa_system_vgpr_workitem_id 0
		.amdhsa_next_free_vgpr 42
		.amdhsa_next_free_sgpr 86
		.amdhsa_accum_offset 44
		.amdhsa_reserve_vcc 1
		.amdhsa_reserve_flat_scratch 1
		.amdhsa_float_round_mode_32 0
		.amdhsa_float_round_mode_16_64 0
		.amdhsa_float_denorm_mode_32 3
		.amdhsa_float_denorm_mode_16_64 3
		.amdhsa_dx10_clamp 1
		.amdhsa_ieee_mode 1
		.amdhsa_fp16_overflow 0
		.amdhsa_tg_split 0
		.amdhsa_exception_fp_ieee_invalid_op 0
		.amdhsa_exception_fp_denorm_src 0
		.amdhsa_exception_fp_ieee_div_zero 0
		.amdhsa_exception_fp_ieee_overflow 0
		.amdhsa_exception_fp_ieee_underflow 0
		.amdhsa_exception_fp_ieee_inexact 0
		.amdhsa_exception_int_div_zero 0
	.end_amdhsa_kernel
	.section	.text._ZN9rocsparseL26csrgemm_fill_block_per_rowILj1024ELj32ELj2048ELj137ELj32Ell21rocsparse_complex_numIdEEEvT5_PKS3_S5_NS_24const_host_device_scalarIT6_EEPKT4_S5_PKS7_SB_S5_SD_S8_SB_S5_SD_SB_PS3_PS7_21rocsparse_index_base_SG_SG_SG_bbb,"axG",@progbits,_ZN9rocsparseL26csrgemm_fill_block_per_rowILj1024ELj32ELj2048ELj137ELj32Ell21rocsparse_complex_numIdEEEvT5_PKS3_S5_NS_24const_host_device_scalarIT6_EEPKT4_S5_PKS7_SB_S5_SD_S8_SB_S5_SD_SB_PS3_PS7_21rocsparse_index_base_SG_SG_SG_bbb,comdat
.Lfunc_end162:
	.size	_ZN9rocsparseL26csrgemm_fill_block_per_rowILj1024ELj32ELj2048ELj137ELj32Ell21rocsparse_complex_numIdEEEvT5_PKS3_S5_NS_24const_host_device_scalarIT6_EEPKT4_S5_PKS7_SB_S5_SD_S8_SB_S5_SD_SB_PS3_PS7_21rocsparse_index_base_SG_SG_SG_bbb, .Lfunc_end162-_ZN9rocsparseL26csrgemm_fill_block_per_rowILj1024ELj32ELj2048ELj137ELj32Ell21rocsparse_complex_numIdEEEvT5_PKS3_S5_NS_24const_host_device_scalarIT6_EEPKT4_S5_PKS7_SB_S5_SD_S8_SB_S5_SD_SB_PS3_PS7_21rocsparse_index_base_SG_SG_SG_bbb
                                        ; -- End function
	.section	.AMDGPU.csdata,"",@progbits
; Kernel info:
; codeLenInByte = 4428
; NumSgprs: 92
; NumVgprs: 42
; NumAgprs: 0
; TotalNumVgprs: 42
; ScratchSize: 40
; MemoryBound: 0
; FloatMode: 240
; IeeeMode: 1
; LDSByteSize: 0 bytes/workgroup (compile time only)
; SGPRBlocks: 11
; VGPRBlocks: 5
; NumSGPRsForWavesPerEU: 92
; NumVGPRsForWavesPerEU: 42
; AccumOffset: 44
; Occupancy: 8
; WaveLimiterHint : 1
; COMPUTE_PGM_RSRC2:SCRATCH_EN: 1
; COMPUTE_PGM_RSRC2:USER_SGPR: 8
; COMPUTE_PGM_RSRC2:TRAP_HANDLER: 0
; COMPUTE_PGM_RSRC2:TGID_X_EN: 1
; COMPUTE_PGM_RSRC2:TGID_Y_EN: 0
; COMPUTE_PGM_RSRC2:TGID_Z_EN: 0
; COMPUTE_PGM_RSRC2:TIDIG_COMP_CNT: 0
; COMPUTE_PGM_RSRC3_GFX90A:ACCUM_OFFSET: 10
; COMPUTE_PGM_RSRC3_GFX90A:TG_SPLIT: 0
	.section	.text._ZN9rocsparseL26csrgemm_fill_block_per_rowILj1024ELj32ELj2048ELj137ELj64Ell21rocsparse_complex_numIdEEEvT5_PKS3_S5_NS_24const_host_device_scalarIT6_EEPKT4_S5_PKS7_SB_S5_SD_S8_SB_S5_SD_SB_PS3_PS7_21rocsparse_index_base_SG_SG_SG_bbb,"axG",@progbits,_ZN9rocsparseL26csrgemm_fill_block_per_rowILj1024ELj32ELj2048ELj137ELj64Ell21rocsparse_complex_numIdEEEvT5_PKS3_S5_NS_24const_host_device_scalarIT6_EEPKT4_S5_PKS7_SB_S5_SD_S8_SB_S5_SD_SB_PS3_PS7_21rocsparse_index_base_SG_SG_SG_bbb,comdat
	.globl	_ZN9rocsparseL26csrgemm_fill_block_per_rowILj1024ELj32ELj2048ELj137ELj64Ell21rocsparse_complex_numIdEEEvT5_PKS3_S5_NS_24const_host_device_scalarIT6_EEPKT4_S5_PKS7_SB_S5_SD_S8_SB_S5_SD_SB_PS3_PS7_21rocsparse_index_base_SG_SG_SG_bbb ; -- Begin function _ZN9rocsparseL26csrgemm_fill_block_per_rowILj1024ELj32ELj2048ELj137ELj64Ell21rocsparse_complex_numIdEEEvT5_PKS3_S5_NS_24const_host_device_scalarIT6_EEPKT4_S5_PKS7_SB_S5_SD_S8_SB_S5_SD_SB_PS3_PS7_21rocsparse_index_base_SG_SG_SG_bbb
	.p2align	8
	.type	_ZN9rocsparseL26csrgemm_fill_block_per_rowILj1024ELj32ELj2048ELj137ELj64Ell21rocsparse_complex_numIdEEEvT5_PKS3_S5_NS_24const_host_device_scalarIT6_EEPKT4_S5_PKS7_SB_S5_SD_S8_SB_S5_SD_SB_PS3_PS7_21rocsparse_index_base_SG_SG_SG_bbb,@function
_ZN9rocsparseL26csrgemm_fill_block_per_rowILj1024ELj32ELj2048ELj137ELj64Ell21rocsparse_complex_numIdEEEvT5_PKS3_S5_NS_24const_host_device_scalarIT6_EEPKT4_S5_PKS7_SB_S5_SD_S8_SB_S5_SD_SB_PS3_PS7_21rocsparse_index_base_SG_SG_SG_bbb: ; @_ZN9rocsparseL26csrgemm_fill_block_per_rowILj1024ELj32ELj2048ELj137ELj64Ell21rocsparse_complex_numIdEEEvT5_PKS3_S5_NS_24const_host_device_scalarIT6_EEPKT4_S5_PKS7_SB_S5_SD_S8_SB_S5_SD_SB_PS3_PS7_21rocsparse_index_base_SG_SG_SG_bbb
; %bb.0:
	s_add_u32 flat_scratch_lo, s6, s9
	s_addc_u32 flat_scratch_hi, s7, 0
	s_load_dwordx4 s[12:15], s[4:5], 0x18
	s_load_dwordx4 s[28:31], s[4:5], 0x58
	s_add_u32 s0, s0, s9
	s_load_dword s9, s[4:5], 0xa8
	s_load_dwordx4 s[44:47], s[4:5], 0x98
	s_addc_u32 s1, s1, 0
	s_waitcnt lgkmcnt(0)
	v_mov_b32_e32 v1, s13
	buffer_store_dword v1, off, s[0:3], 0 offset:20
	s_bitcmp1_b32 s9, 0
	s_cselect_b64 s[56:57], -1, 0
	s_bitcmp1_b32 s9, 16
	v_mov_b32_e32 v1, s12
	s_cselect_b64 s[6:7], -1, 0
	buffer_store_dword v1, off, s[0:3], 0 offset:16
	v_mov_b32_e32 v1, s29
	buffer_store_dword v1, off, s[0:3], 0 offset:28
	v_mov_b32_e32 v1, s28
	s_xor_b64 s[10:11], s[6:7], -1
	buffer_store_dword v1, off, s[0:3], 0 offset:24
	v_pk_mov_b32 v[2:3], 0, 0
	v_cndmask_b32_e64 v1, 0, 1, s[10:11]
	s_bitcmp0_b32 s9, 0
	v_cmp_ne_u32_e64 s[10:11], 1, v1
	v_pk_mov_b32 v[6:7], v[2:3], v[2:3] op_sel:[0,1]
	v_pk_mov_b32 v[8:9], v[2:3], v[2:3] op_sel:[0,1]
	s_cbranch_scc1 .LBB163_3
; %bb.1:
	s_mov_b64 s[16:17], src_private_base
	s_and_b64 s[18:19], s[6:7], exec
	s_cselect_b32 s16, s17, s13
	v_mov_b32_e32 v1, 16
	v_mov_b32_e32 v4, s12
	v_cndmask_b32_e64 v4, v4, v1, s[6:7]
	v_mov_b32_e32 v5, s16
	flat_load_dwordx2 v[6:7], v[4:5]
	s_and_b64 vcc, exec, s[10:11]
	v_pk_mov_b32 v[8:9], s[14:15], s[14:15] op_sel:[0,1]
	s_cbranch_vccnz .LBB163_3
; %bb.2:
	v_pk_mov_b32 v[4:5], s[12:13], s[12:13] op_sel:[0,1]
	flat_load_dwordx2 v[8:9], v[4:5] offset:8
.LBB163_3:
	s_load_dwordx4 s[48:51], s[4:5], 0x88
	s_load_dwordx8 s[36:43], s[4:5], 0x68
	s_load_dwordx4 s[20:23], s[4:5], 0x48
	s_load_dwordx4 s[24:27], s[4:5], 0x8
	s_load_dwordx8 s[12:19], s[4:5], 0x28
	s_bitcmp1_b32 s9, 8
	s_cselect_b64 s[34:35], -1, 0
	s_bfe_u32 s9, s9, 0x10008
	s_mov_b64 s[54:55], 0
	s_cmp_eq_u32 s9, 0
	v_pk_mov_b32 v[4:5], v[2:3], v[2:3] op_sel:[0,1]
	s_cbranch_scc1 .LBB163_6
; %bb.4:
	s_mov_b64 s[52:53], src_private_base
	s_and_b64 s[58:59], s[6:7], exec
	s_cselect_b32 s9, s53, s29
	v_mov_b32_e32 v1, 24
	v_mov_b32_e32 v2, s28
	v_cndmask_b32_e64 v2, v2, v1, s[6:7]
	v_mov_b32_e32 v3, s9
	flat_load_dwordx2 v[4:5], v[2:3]
	s_and_b64 vcc, exec, s[10:11]
	v_pk_mov_b32 v[2:3], s[30:31], s[30:31] op_sel:[0,1]
	s_cbranch_vccnz .LBB163_6
; %bb.5:
	v_pk_mov_b32 v[2:3], s[28:29], s[28:29] op_sel:[0,1]
	flat_load_dwordx2 v[2:3], v[2:3] offset:8
.LBB163_6:
	s_load_dwordx2 s[52:53], s[4:5], 0x0
	s_mov_b32 s4, 0
	v_lshl_add_u32 v1, v0, 4, 0
	v_add_u32_e32 v1, 0x4000, v1
	v_or_b32_e32 v27, 0xfffffc00, v0
	v_lshl_add_u32 v30, v0, 3, 0
	s_mov_b32 s5, s4
	s_mov_b32 s6, s4
	;; [unrolled: 1-line block ×3, first 2 shown]
	s_waitcnt lgkmcnt(0)
	v_pk_mov_b32 v[10:11], s[52:53], s[52:53] op_sel:[0,1]
	v_pk_mov_b32 v[12:13], s[4:5], s[4:5] op_sel:[0,1]
	;; [unrolled: 1-line block ×3, first 2 shown]
	v_mov_b32_e32 v16, v30
	v_mov_b32_e32 v17, v27
	;; [unrolled: 1-line block ×3, first 2 shown]
.LBB163_7:                              ; =>This Inner Loop Header: Depth=1
	v_add_co_u32_e32 v17, vcc, 0x400, v17
	s_xor_b64 s[4:5], vcc, -1
	s_and_b64 s[4:5], exec, s[4:5]
	ds_write_b64 v16, v[10:11]
	ds_write2_b64 v18, v[12:13], v[14:15] offset1:1
	v_add_u32_e32 v18, 0x4000, v18
	s_or_b64 s[54:55], s[4:5], s[54:55]
	v_add_u32_e32 v16, 0x2000, v16
	s_andn2_b64 exec, exec, s[54:55]
	s_cbranch_execnz .LBB163_7
; %bb.8:
	s_or_b64 exec, exec, s[54:55]
	s_waitcnt lgkmcnt(0)
	s_barrier
	s_load_dwordx2 s[4:5], s[24:25], 0x0
	s_mov_b32 s9, 0
	s_waitcnt lgkmcnt(0)
	s_lshl_b64 s[4:5], s[4:5], 3
	s_add_u32 s6, s26, s4
	s_addc_u32 s7, s27, s5
	s_lshl_b64 s[4:5], s[8:9], 3
	s_add_u32 s4, s6, s4
	s_addc_u32 s5, s7, s5
	s_load_dwordx2 s[54:55], s[4:5], 0x0
	s_and_b64 vcc, exec, s[56:57]
	s_cbranch_vccz .LBB163_28
; %bb.9:
	s_waitcnt lgkmcnt(0)
	s_lshl_b64 s[4:5], s[54:55], 3
	s_add_u32 s4, s12, s4
	s_addc_u32 s5, s13, s5
	s_load_dwordx4 s[24:27], s[4:5], 0x0
	v_lshrrev_b32_e32 v10, 5, v0
	v_subrev_co_u32_e32 v10, vcc, s44, v10
	v_subb_co_u32_e64 v11, s[6:7], 0, 0, vcc
	s_waitcnt lgkmcnt(0)
	s_sub_u32 s4, s26, s44
	v_mov_b32_e32 v12, s25
	v_add_co_u32_e32 v10, vcc, s24, v10
	s_subb_u32 s5, s27, 0
	v_addc_co_u32_e32 v11, vcc, v12, v11, vcc
	v_cmp_gt_i64_e32 vcc, s[4:5], v[10:11]
	s_and_saveexec_b64 s[6:7], vcc
	s_cbranch_execz .LBB163_27
; %bb.10:
	v_and_b32_e32 v12, 31, v0
	v_subrev_co_u32_e32 v31, vcc, s45, v12
	s_mov_b32 s8, 0
	v_subb_co_u32_e64 v32, s[10:11], 0, 0, vcc
	s_mov_b32 s33, s44
	s_mov_b32 s58, s45
	s_mov_b64 s[10:11], 0
	v_mov_b32_e32 v33, s15
	v_mov_b32_e32 v34, s9
	;; [unrolled: 1-line block ×4, first 2 shown]
	s_movk_i32 s15, 0x89
	s_branch .LBB163_12
.LBB163_11:                             ;   in Loop: Header=BB163_12 Depth=1
	s_or_b64 exec, exec, s[8:9]
	v_add_co_u32_e32 v10, vcc, 32, v10
	v_addc_co_u32_e32 v11, vcc, 0, v11, vcc
	v_cmp_le_i64_e32 vcc, s[4:5], v[10:11]
	s_or_b64 s[10:11], vcc, s[10:11]
	s_andn2_b64 exec, exec, s[10:11]
	s_cbranch_execz .LBB163_27
.LBB163_12:                             ; =>This Loop Header: Depth=1
                                        ;     Child Loop BB163_15 Depth 2
                                        ;       Child Loop BB163_17 Depth 3
	v_lshlrev_b64 v[12:13], 3, v[10:11]
	v_add_co_u32_e32 v12, vcc, s14, v12
	v_addc_co_u32_e32 v13, vcc, v33, v13, vcc
	global_load_dwordx2 v[12:13], v[12:13], off
	s_waitcnt vmcnt(0)
	v_subrev_co_u32_e32 v12, vcc, s33, v12
	v_subb_co_u32_e32 v13, vcc, v13, v34, vcc
	v_lshlrev_b64 v[12:13], 3, v[12:13]
	v_add_co_u32_e32 v12, vcc, s18, v12
	v_addc_co_u32_e32 v13, vcc, v35, v13, vcc
	global_load_dwordx4 v[14:17], v[12:13], off
	s_waitcnt vmcnt(0)
	v_subrev_co_u32_e32 v12, vcc, s58, v16
	v_subb_co_u32_e32 v13, vcc, v17, v36, vcc
	v_add_co_u32_e32 v14, vcc, v14, v31
	v_addc_co_u32_e32 v15, vcc, v15, v32, vcc
	v_cmp_lt_i64_e32 vcc, v[14:15], v[12:13]
	s_and_saveexec_b64 s[8:9], vcc
	s_cbranch_execz .LBB163_11
; %bb.13:                               ;   in Loop: Header=BB163_12 Depth=1
	v_lshlrev_b64 v[16:17], 4, v[10:11]
	v_mov_b32_e32 v18, s17
	v_add_co_u32_e32 v16, vcc, s16, v16
	v_addc_co_u32_e32 v17, vcc, v18, v17, vcc
	global_load_dwordx4 v[20:23], v[16:17], off
	s_mov_b64 s[12:13], 0
	s_waitcnt vmcnt(0)
	v_mul_f64 v[16:17], v[22:23], -v[8:9]
	v_mul_f64 v[18:19], v[6:7], v[22:23]
	v_fmac_f64_e32 v[16:17], v[6:7], v[20:21]
	v_fmac_f64_e32 v[18:19], v[8:9], v[20:21]
	s_branch .LBB163_15
.LBB163_14:                             ;   in Loop: Header=BB163_15 Depth=2
	s_or_b64 exec, exec, s[24:25]
	v_add_co_u32_e32 v14, vcc, 32, v14
	v_addc_co_u32_e32 v15, vcc, 0, v15, vcc
	v_cmp_ge_i64_e32 vcc, v[14:15], v[12:13]
	s_or_b64 s[12:13], vcc, s[12:13]
	s_andn2_b64 exec, exec, s[12:13]
	s_cbranch_execz .LBB163_11
.LBB163_15:                             ;   Parent Loop BB163_12 Depth=1
                                        ; =>  This Loop Header: Depth=2
                                        ;       Child Loop BB163_17 Depth 3
	v_lshlrev_b64 v[20:21], 3, v[14:15]
	v_mov_b32_e32 v22, s21
	v_add_co_u32_e32 v20, vcc, s20, v20
	v_addc_co_u32_e32 v21, vcc, v22, v21, vcc
	v_lshlrev_b64 v[22:23], 4, v[14:15]
	v_mov_b32_e32 v24, s23
	v_add_co_u32_e32 v22, vcc, s22, v22
	global_load_dwordx2 v[20:21], v[20:21], off
	v_addc_co_u32_e32 v23, vcc, v24, v23, vcc
	global_load_dwordx4 v[38:41], v[22:23], off
	s_mov_b64 s[24:25], 0
	s_waitcnt vmcnt(1)
	v_subrev_co_u32_e32 v20, vcc, s58, v20
	v_mul_lo_u32 v26, v20, s15
	s_waitcnt vmcnt(0)
	v_mul_f64 v[22:23], v[40:41], -v[18:19]
	v_mul_f64 v[24:25], v[16:17], v[40:41]
	v_subb_co_u32_e32 v21, vcc, v21, v36, vcc
	v_fmac_f64_e32 v[22:23], v[16:17], v[38:39]
	v_fmac_f64_e32 v[24:25], v[18:19], v[38:39]
	v_and_b32_e32 v26, 0x7ff, v26
	s_branch .LBB163_17
.LBB163_16:                             ;   in Loop: Header=BB163_17 Depth=3
	s_or_b64 exec, exec, s[26:27]
	s_xor_b64 s[26:27], s[28:29], -1
	s_and_b64 s[26:27], exec, s[26:27]
	s_or_b64 s[24:25], s[26:27], s[24:25]
	s_andn2_b64 exec, exec, s[24:25]
	s_cbranch_execz .LBB163_14
.LBB163_17:                             ;   Parent Loop BB163_12 Depth=1
                                        ;     Parent Loop BB163_15 Depth=2
                                        ; =>    This Inner Loop Header: Depth=3
	v_lshl_add_u32 v37, v26, 3, 0
	ds_read_b64 v[28:29], v37
                                        ; implicit-def: $sgpr28_sgpr29
	s_waitcnt lgkmcnt(0)
	v_cmp_ne_u64_e32 vcc, v[28:29], v[20:21]
	s_and_saveexec_b64 s[26:27], vcc
	s_xor_b64 s[26:27], exec, s[26:27]
	s_cbranch_execz .LBB163_25
; %bb.18:                               ;   in Loop: Header=BB163_17 Depth=3
	v_cmp_ne_u64_e32 vcc, s[52:53], v[28:29]
                                        ; implicit-def: $sgpr28_sgpr29
	s_and_saveexec_b64 s[30:31], vcc
	s_xor_b64 s[30:31], exec, s[30:31]
; %bb.19:                               ;   in Loop: Header=BB163_17 Depth=3
	v_add_u32_e32 v26, 1, v26
	v_and_b32_e32 v26, 0x7ff, v26
	s_mov_b64 s[28:29], -1
                                        ; implicit-def: $vgpr37
; %bb.20:                               ;   in Loop: Header=BB163_17 Depth=3
	s_andn2_saveexec_b64 s[30:31], s[30:31]
	s_cbranch_execz .LBB163_24
; %bb.21:                               ;   in Loop: Header=BB163_17 Depth=3
	v_pk_mov_b32 v[28:29], s[52:53], s[52:53] op_sel:[0,1]
	ds_cmpst_rtn_b64 v[28:29], v37, v[28:29], v[20:21]
	s_mov_b64 s[44:45], -1
	s_waitcnt lgkmcnt(0)
	v_cmp_eq_u64_e32 vcc, s[52:53], v[28:29]
	s_and_saveexec_b64 s[56:57], vcc
	s_cbranch_execz .LBB163_23
; %bb.22:                               ;   in Loop: Header=BB163_17 Depth=3
	v_lshl_add_u32 v28, v26, 3, v37
	ds_add_f64 v28, v[22:23] offset:16384
	ds_add_f64 v28, v[24:25] offset:16392
	s_xor_b64 s[44:45], exec, -1
.LBB163_23:                             ;   in Loop: Header=BB163_17 Depth=3
	s_or_b64 exec, exec, s[56:57]
	s_andn2_b64 s[28:29], s[28:29], exec
	s_and_b64 s[44:45], s[44:45], exec
	s_or_b64 s[28:29], s[28:29], s[44:45]
.LBB163_24:                             ;   in Loop: Header=BB163_17 Depth=3
	s_or_b64 exec, exec, s[30:31]
	s_and_b64 s[28:29], s[28:29], exec
                                        ; implicit-def: $vgpr37
.LBB163_25:                             ;   in Loop: Header=BB163_17 Depth=3
	s_andn2_saveexec_b64 s[26:27], s[26:27]
	s_cbranch_execz .LBB163_16
; %bb.26:                               ;   in Loop: Header=BB163_17 Depth=3
	v_lshl_add_u32 v28, v26, 3, v37
	ds_add_f64 v28, v[22:23] offset:16384
	ds_add_f64 v28, v[24:25] offset:16392
	s_andn2_b64 s[28:29], s[28:29], exec
	s_branch .LBB163_16
.LBB163_27:
	s_or_b64 exec, exec, s[6:7]
.LBB163_28:
	s_andn2_b64 vcc, exec, s[34:35]
	s_cbranch_vccnz .LBB163_45
; %bb.29:
	s_waitcnt lgkmcnt(0)
	s_lshl_b64 s[4:5], s[54:55], 3
	s_add_u32 s4, s36, s4
	s_addc_u32 s5, s37, s5
	s_load_dwordx4 s[12:15], s[4:5], 0x0
	s_waitcnt vmcnt(0)
	v_subrev_co_u32_e32 v6, vcc, s47, v0
	v_subb_co_u32_e64 v7, s[6:7], 0, 0, vcc
	s_waitcnt lgkmcnt(0)
	s_sub_u32 s4, s14, s47
	v_mov_b32_e32 v8, s13
	v_add_co_u32_e32 v6, vcc, s12, v6
	s_subb_u32 s5, s15, 0
	v_addc_co_u32_e32 v7, vcc, v8, v7, vcc
	s_mov_b32 s10, 0
	v_cmp_gt_i64_e32 vcc, s[4:5], v[6:7]
	s_and_saveexec_b64 s[6:7], vcc
	s_cbranch_execz .LBB163_44
; %bb.30:
	s_mov_b32 s22, s47
	s_mov_b64 s[8:9], 0
	v_mov_b32_e32 v15, s39
	v_mov_b32_e32 v18, s10
	;; [unrolled: 1-line block ×3, first 2 shown]
	s_movk_i32 s23, 0x89
	s_branch .LBB163_32
.LBB163_31:                             ;   in Loop: Header=BB163_32 Depth=1
	s_or_b64 exec, exec, s[10:11]
	v_add_co_u32_e32 v6, vcc, 0x400, v6
	v_addc_co_u32_e32 v7, vcc, 0, v7, vcc
	v_cmp_le_i64_e32 vcc, s[4:5], v[6:7]
	s_or_b64 s[8:9], vcc, s[8:9]
	s_andn2_b64 exec, exec, s[8:9]
	s_cbranch_execz .LBB163_44
.LBB163_32:                             ; =>This Loop Header: Depth=1
                                        ;     Child Loop BB163_34 Depth 2
	v_lshlrev_b64 v[8:9], 3, v[6:7]
	v_add_co_u32_e32 v8, vcc, s38, v8
	v_addc_co_u32_e32 v9, vcc, v15, v9, vcc
	v_lshlrev_b64 v[10:11], 4, v[6:7]
	v_add_co_u32_e32 v10, vcc, s40, v10
	global_load_dwordx2 v[8:9], v[8:9], off
	v_addc_co_u32_e32 v11, vcc, v19, v11, vcc
	global_load_dwordx4 v[20:23], v[10:11], off
	s_mov_b64 s[10:11], 0
	s_waitcnt vmcnt(1)
	v_subrev_co_u32_e32 v8, vcc, s22, v8
	v_mul_lo_u32 v14, v8, s23
	s_waitcnt vmcnt(0)
	v_mul_f64 v[10:11], v[22:23], -v[2:3]
	v_mul_f64 v[12:13], v[4:5], v[22:23]
	v_subb_co_u32_e32 v9, vcc, v9, v18, vcc
	v_fmac_f64_e32 v[10:11], v[4:5], v[20:21]
	v_fmac_f64_e32 v[12:13], v[2:3], v[20:21]
	v_and_b32_e32 v14, 0x7ff, v14
	s_branch .LBB163_34
.LBB163_33:                             ;   in Loop: Header=BB163_34 Depth=2
	s_or_b64 exec, exec, s[12:13]
	s_xor_b64 s[12:13], s[14:15], -1
	s_and_b64 s[12:13], exec, s[12:13]
	s_or_b64 s[10:11], s[12:13], s[10:11]
	s_andn2_b64 exec, exec, s[10:11]
	s_cbranch_execz .LBB163_31
.LBB163_34:                             ;   Parent Loop BB163_32 Depth=1
                                        ; =>  This Inner Loop Header: Depth=2
	v_lshl_add_u32 v20, v14, 3, 0
	ds_read_b64 v[16:17], v20
                                        ; implicit-def: $sgpr14_sgpr15
	s_waitcnt lgkmcnt(0)
	v_cmp_ne_u64_e32 vcc, v[16:17], v[8:9]
	s_and_saveexec_b64 s[12:13], vcc
	s_xor_b64 s[12:13], exec, s[12:13]
	s_cbranch_execz .LBB163_42
; %bb.35:                               ;   in Loop: Header=BB163_34 Depth=2
	v_cmp_ne_u64_e32 vcc, s[52:53], v[16:17]
                                        ; implicit-def: $sgpr14_sgpr15
	s_and_saveexec_b64 s[16:17], vcc
	s_xor_b64 s[16:17], exec, s[16:17]
; %bb.36:                               ;   in Loop: Header=BB163_34 Depth=2
	v_add_u32_e32 v14, 1, v14
	v_and_b32_e32 v14, 0x7ff, v14
	s_mov_b64 s[14:15], -1
                                        ; implicit-def: $vgpr20
; %bb.37:                               ;   in Loop: Header=BB163_34 Depth=2
	s_andn2_saveexec_b64 s[16:17], s[16:17]
	s_cbranch_execz .LBB163_41
; %bb.38:                               ;   in Loop: Header=BB163_34 Depth=2
	v_pk_mov_b32 v[16:17], s[52:53], s[52:53] op_sel:[0,1]
	ds_cmpst_rtn_b64 v[16:17], v20, v[16:17], v[8:9]
	s_mov_b64 s[18:19], -1
	s_waitcnt lgkmcnt(0)
	v_cmp_eq_u64_e32 vcc, s[52:53], v[16:17]
	s_and_saveexec_b64 s[20:21], vcc
	s_cbranch_execz .LBB163_40
; %bb.39:                               ;   in Loop: Header=BB163_34 Depth=2
	v_lshl_add_u32 v16, v14, 3, v20
	ds_add_f64 v16, v[10:11] offset:16384
	ds_add_f64 v16, v[12:13] offset:16392
	s_xor_b64 s[18:19], exec, -1
.LBB163_40:                             ;   in Loop: Header=BB163_34 Depth=2
	s_or_b64 exec, exec, s[20:21]
	s_andn2_b64 s[14:15], s[14:15], exec
	s_and_b64 s[18:19], s[18:19], exec
	s_or_b64 s[14:15], s[14:15], s[18:19]
.LBB163_41:                             ;   in Loop: Header=BB163_34 Depth=2
	s_or_b64 exec, exec, s[16:17]
	s_and_b64 s[14:15], s[14:15], exec
                                        ; implicit-def: $vgpr20
.LBB163_42:                             ;   in Loop: Header=BB163_34 Depth=2
	s_andn2_saveexec_b64 s[12:13], s[12:13]
	s_cbranch_execz .LBB163_33
; %bb.43:                               ;   in Loop: Header=BB163_34 Depth=2
	v_lshl_add_u32 v16, v14, 3, v20
	ds_add_f64 v16, v[10:11] offset:16384
	ds_add_f64 v16, v[12:13] offset:16392
	s_andn2_b64 s[14:15], s[14:15], exec
	s_branch .LBB163_33
.LBB163_44:
	s_or_b64 exec, exec, s[6:7]
.LBB163_45:
	s_waitcnt vmcnt(0)
	v_mbcnt_lo_u32_b32 v2, -1, 0
	v_mbcnt_hi_u32_b32 v2, -1, v2
	v_sub_u32_e32 v2, 63, v2
	v_lshrrev_b64 v[4:5], v2, -1
	v_lshrrev_b32_e32 v2, 3, v0
	s_movk_i32 s33, 0x37f
	v_and_b32_e32 v2, 0x78, v2
	s_movk_i32 s4, 0x3ff
	s_movk_i32 s8, 0x7f
	;; [unrolled: 1-line block ×13, first 2 shown]
	v_cmp_lt_u32_e64 s[34:35], s33, v0
	s_movk_i32 s33, 0x3bf
	v_mov_b32_e32 v3, 0
	v_add_u32_e32 v12, 0, v2
	v_cmp_eq_u32_e64 s[4:5], s4, v0
	v_cmp_lt_u32_e64 s[6:7], 63, v0
	v_cmp_lt_u32_e64 s[8:9], s8, v0
	;; [unrolled: 1-line block ×14, first 2 shown]
	s_mov_b64 s[38:39], 0
	v_pk_mov_b32 v[6:7], 0, 0
	s_waitcnt lgkmcnt(0)
	s_barrier
	s_branch .LBB163_47
.LBB163_46:                             ;   in Loop: Header=BB163_47 Depth=1
	s_or_b64 exec, exec, s[40:41]
	s_waitcnt lgkmcnt(0)
	s_barrier
	ds_read_b64 v[8:9], v3 offset:49272
	v_add_u32_e32 v1, 0x4000, v1
	v_add_u32_e32 v30, 0x2000, v30
	s_waitcnt lgkmcnt(0)
	v_add_co_u32_e32 v6, vcc, v8, v6
	v_addc_co_u32_e32 v7, vcc, v9, v7, vcc
	v_add_co_u32_e32 v27, vcc, 0x400, v27
	s_xor_b64 s[40:41], vcc, -1
	s_and_b64 s[40:41], exec, s[40:41]
	s_or_b64 s[38:39], s[40:41], s[38:39]
	s_andn2_b64 exec, exec, s[38:39]
	s_cbranch_execz .LBB163_81
.LBB163_47:                             ; =>This Inner Loop Header: Depth=1
	ds_read2_b64 v[14:17], v1 offset1:1
	ds_read_b64 v[10:11], v30
	s_waitcnt lgkmcnt(1)
	buffer_store_dword v17, off, s[0:3], 0 offset:12
	buffer_store_dword v16, off, s[0:3], 0 offset:8
	;; [unrolled: 1-line block ×3, first 2 shown]
	buffer_store_dword v14, off, s[0:3], 0
	s_waitcnt lgkmcnt(0)
	v_cmp_gt_i64_e32 vcc, s[52:53], v[10:11]
	v_and_b32_e32 v9, vcc_lo, v4
	s_bcnt1_i32_b64 s33, vcc
	v_and_b32_e32 v8, vcc_hi, v5
	v_bcnt_u32_b32 v9, v9, 0
	v_mov_b32_e32 v2, s33
	v_bcnt_u32_b32 v8, v8, v9
	s_barrier
	ds_write_b64 v12, v[2:3] offset:49152
	s_waitcnt lgkmcnt(0)
	s_barrier
	s_and_saveexec_b64 s[40:41], s[6:7]
	s_cbranch_execnz .LBB163_64
; %bb.48:                               ;   in Loop: Header=BB163_47 Depth=1
	s_or_b64 exec, exec, s[40:41]
	s_and_saveexec_b64 s[40:41], s[8:9]
	s_cbranch_execnz .LBB163_65
.LBB163_49:                             ;   in Loop: Header=BB163_47 Depth=1
	s_or_b64 exec, exec, s[40:41]
	s_and_saveexec_b64 s[40:41], s[10:11]
	s_cbranch_execnz .LBB163_66
.LBB163_50:                             ;   in Loop: Header=BB163_47 Depth=1
	s_or_b64 exec, exec, s[40:41]
	s_and_saveexec_b64 s[40:41], s[12:13]
	s_cbranch_execnz .LBB163_67
.LBB163_51:                             ;   in Loop: Header=BB163_47 Depth=1
	s_or_b64 exec, exec, s[40:41]
	s_and_saveexec_b64 s[40:41], s[14:15]
	s_cbranch_execnz .LBB163_68
.LBB163_52:                             ;   in Loop: Header=BB163_47 Depth=1
	s_or_b64 exec, exec, s[40:41]
	s_and_saveexec_b64 s[40:41], s[16:17]
	s_cbranch_execnz .LBB163_69
.LBB163_53:                             ;   in Loop: Header=BB163_47 Depth=1
	s_or_b64 exec, exec, s[40:41]
	s_and_saveexec_b64 s[40:41], s[18:19]
	s_cbranch_execnz .LBB163_70
.LBB163_54:                             ;   in Loop: Header=BB163_47 Depth=1
	s_or_b64 exec, exec, s[40:41]
	s_and_saveexec_b64 s[40:41], s[20:21]
	s_cbranch_execnz .LBB163_71
.LBB163_55:                             ;   in Loop: Header=BB163_47 Depth=1
	s_or_b64 exec, exec, s[40:41]
	s_and_saveexec_b64 s[40:41], s[22:23]
	s_cbranch_execnz .LBB163_72
.LBB163_56:                             ;   in Loop: Header=BB163_47 Depth=1
	s_or_b64 exec, exec, s[40:41]
	s_and_saveexec_b64 s[40:41], s[24:25]
	s_cbranch_execnz .LBB163_73
.LBB163_57:                             ;   in Loop: Header=BB163_47 Depth=1
	s_or_b64 exec, exec, s[40:41]
	s_and_saveexec_b64 s[40:41], s[26:27]
	s_cbranch_execnz .LBB163_74
.LBB163_58:                             ;   in Loop: Header=BB163_47 Depth=1
	s_or_b64 exec, exec, s[40:41]
	s_and_saveexec_b64 s[40:41], s[28:29]
	s_cbranch_execnz .LBB163_75
.LBB163_59:                             ;   in Loop: Header=BB163_47 Depth=1
	s_or_b64 exec, exec, s[40:41]
	s_and_saveexec_b64 s[40:41], s[30:31]
	s_cbranch_execnz .LBB163_76
.LBB163_60:                             ;   in Loop: Header=BB163_47 Depth=1
	s_or_b64 exec, exec, s[40:41]
	s_and_saveexec_b64 s[40:41], s[34:35]
	s_cbranch_execnz .LBB163_77
.LBB163_61:                             ;   in Loop: Header=BB163_47 Depth=1
	s_or_b64 exec, exec, s[40:41]
	s_and_saveexec_b64 s[40:41], s[36:37]
	s_cbranch_execnz .LBB163_78
.LBB163_62:                             ;   in Loop: Header=BB163_47 Depth=1
	s_or_b64 exec, exec, s[40:41]
	v_ashrrev_i32_e32 v9, 31, v8
	s_and_saveexec_b64 s[40:41], vcc
	s_cbranch_execnz .LBB163_79
.LBB163_63:                             ;   in Loop: Header=BB163_47 Depth=1
	s_or_b64 exec, exec, s[40:41]
	s_and_saveexec_b64 s[40:41], s[4:5]
	s_cbranch_execz .LBB163_46
	s_branch .LBB163_80
.LBB163_64:                             ;   in Loop: Header=BB163_47 Depth=1
	ds_read_b32 v2, v3 offset:49152
	s_waitcnt lgkmcnt(0)
	v_add_u32_e32 v8, v2, v8
	s_or_b64 exec, exec, s[40:41]
	s_and_saveexec_b64 s[40:41], s[8:9]
	s_cbranch_execz .LBB163_49
.LBB163_65:                             ;   in Loop: Header=BB163_47 Depth=1
	ds_read_b32 v2, v3 offset:49160
	s_waitcnt lgkmcnt(0)
	v_add_u32_e32 v8, v8, v2
	s_or_b64 exec, exec, s[40:41]
	s_and_saveexec_b64 s[40:41], s[10:11]
	s_cbranch_execz .LBB163_50
.LBB163_66:                             ;   in Loop: Header=BB163_47 Depth=1
	ds_read_b32 v2, v3 offset:49168
	s_waitcnt lgkmcnt(0)
	v_add_u32_e32 v8, v8, v2
	s_or_b64 exec, exec, s[40:41]
	s_and_saveexec_b64 s[40:41], s[12:13]
	s_cbranch_execz .LBB163_51
.LBB163_67:                             ;   in Loop: Header=BB163_47 Depth=1
	ds_read_b32 v2, v3 offset:49176
	s_waitcnt lgkmcnt(0)
	v_add_u32_e32 v8, v8, v2
	s_or_b64 exec, exec, s[40:41]
	s_and_saveexec_b64 s[40:41], s[14:15]
	s_cbranch_execz .LBB163_52
.LBB163_68:                             ;   in Loop: Header=BB163_47 Depth=1
	ds_read_b32 v2, v3 offset:49184
	s_waitcnt lgkmcnt(0)
	v_add_u32_e32 v8, v8, v2
	s_or_b64 exec, exec, s[40:41]
	s_and_saveexec_b64 s[40:41], s[16:17]
	s_cbranch_execz .LBB163_53
.LBB163_69:                             ;   in Loop: Header=BB163_47 Depth=1
	ds_read_b32 v2, v3 offset:49192
	s_waitcnt lgkmcnt(0)
	v_add_u32_e32 v8, v8, v2
	s_or_b64 exec, exec, s[40:41]
	s_and_saveexec_b64 s[40:41], s[18:19]
	s_cbranch_execz .LBB163_54
.LBB163_70:                             ;   in Loop: Header=BB163_47 Depth=1
	ds_read_b32 v2, v3 offset:49200
	s_waitcnt lgkmcnt(0)
	v_add_u32_e32 v8, v8, v2
	s_or_b64 exec, exec, s[40:41]
	s_and_saveexec_b64 s[40:41], s[20:21]
	s_cbranch_execz .LBB163_55
.LBB163_71:                             ;   in Loop: Header=BB163_47 Depth=1
	ds_read_b32 v2, v3 offset:49208
	s_waitcnt lgkmcnt(0)
	v_add_u32_e32 v8, v8, v2
	s_or_b64 exec, exec, s[40:41]
	s_and_saveexec_b64 s[40:41], s[22:23]
	s_cbranch_execz .LBB163_56
.LBB163_72:                             ;   in Loop: Header=BB163_47 Depth=1
	ds_read_b32 v2, v3 offset:49216
	s_waitcnt lgkmcnt(0)
	v_add_u32_e32 v8, v8, v2
	s_or_b64 exec, exec, s[40:41]
	s_and_saveexec_b64 s[40:41], s[24:25]
	s_cbranch_execz .LBB163_57
.LBB163_73:                             ;   in Loop: Header=BB163_47 Depth=1
	ds_read_b32 v2, v3 offset:49224
	s_waitcnt lgkmcnt(0)
	v_add_u32_e32 v8, v8, v2
	s_or_b64 exec, exec, s[40:41]
	s_and_saveexec_b64 s[40:41], s[26:27]
	s_cbranch_execz .LBB163_58
.LBB163_74:                             ;   in Loop: Header=BB163_47 Depth=1
	ds_read_b32 v2, v3 offset:49232
	s_waitcnt lgkmcnt(0)
	v_add_u32_e32 v8, v8, v2
	s_or_b64 exec, exec, s[40:41]
	s_and_saveexec_b64 s[40:41], s[28:29]
	s_cbranch_execz .LBB163_59
.LBB163_75:                             ;   in Loop: Header=BB163_47 Depth=1
	ds_read_b32 v2, v3 offset:49240
	s_waitcnt lgkmcnt(0)
	v_add_u32_e32 v8, v8, v2
	s_or_b64 exec, exec, s[40:41]
	s_and_saveexec_b64 s[40:41], s[30:31]
	s_cbranch_execz .LBB163_60
.LBB163_76:                             ;   in Loop: Header=BB163_47 Depth=1
	ds_read_b32 v2, v3 offset:49248
	s_waitcnt lgkmcnt(0)
	v_add_u32_e32 v8, v8, v2
	s_or_b64 exec, exec, s[40:41]
	s_and_saveexec_b64 s[40:41], s[34:35]
	s_cbranch_execz .LBB163_61
.LBB163_77:                             ;   in Loop: Header=BB163_47 Depth=1
	ds_read_b32 v2, v3 offset:49256
	s_waitcnt lgkmcnt(0)
	v_add_u32_e32 v8, v8, v2
	s_or_b64 exec, exec, s[40:41]
	s_and_saveexec_b64 s[40:41], s[36:37]
	s_cbranch_execz .LBB163_62
.LBB163_78:                             ;   in Loop: Header=BB163_47 Depth=1
	ds_read_b32 v2, v3 offset:49264
	s_waitcnt lgkmcnt(0)
	v_add_u32_e32 v8, v8, v2
	s_or_b64 exec, exec, s[40:41]
	v_ashrrev_i32_e32 v9, 31, v8
	s_and_saveexec_b64 s[40:41], vcc
	s_cbranch_execz .LBB163_63
.LBB163_79:                             ;   in Loop: Header=BB163_47 Depth=1
	buffer_load_dword v14, off, s[0:3], 0
	buffer_load_dword v15, off, s[0:3], 0 offset:4
	buffer_load_dword v16, off, s[0:3], 0 offset:8
	;; [unrolled: 1-line block ×3, first 2 shown]
	v_add3_u32 v2, v6, -1, v8
	v_lshl_add_u32 v13, v2, 3, 0
	v_lshl_add_u32 v2, v2, 4, 0
	v_add_u32_e32 v2, 0x4000, v2
	ds_write_b64 v13, v[10:11]
	s_waitcnt vmcnt(0)
	ds_write2_b64 v2, v[14:15], v[16:17] offset1:1
	s_or_b64 exec, exec, s[40:41]
	s_and_saveexec_b64 s[40:41], s[4:5]
	s_cbranch_execz .LBB163_46
.LBB163_80:                             ;   in Loop: Header=BB163_47 Depth=1
	ds_write_b64 v3, v[8:9] offset:49272
	s_branch .LBB163_46
.LBB163_81:
	s_or_b64 exec, exec, s[38:39]
	s_lshl_b64 s[4:5], s[54:55], 3
	s_add_u32 s4, s42, s4
	s_addc_u32 s5, s43, s5
	s_load_dwordx4 s[4:7], s[4:5], 0x0
	v_mov_b32_e32 v1, 0
	s_waitcnt lgkmcnt(0)
	s_sub_u32 s8, s6, s4
	s_subb_u32 s9, s7, s5
	v_cmp_gt_i64_e32 vcc, s[8:9], v[0:1]
	s_and_saveexec_b64 s[10:11], vcc
	s_cbranch_execz .LBB163_91
; %bb.82:
	s_sub_u32 s10, s4, s46
	s_subb_u32 s11, s5, 0
	s_and_b32 s12, s8, 7
	s_sub_u32 s4, s4, s6
	s_mov_b32 s20, 0
	s_subb_u32 s5, s5, s7
	s_mov_b32 s13, s20
	s_and_b32 s6, s8, -8
	v_cmp_lt_u64_e64 s[4:5], s[4:5], -7
	s_cmp_lg_u64 s[12:13], 0
	v_cndmask_b32_e64 v2, 0, 1, s[4:5]
	s_mov_b32 s7, s9
	s_mov_b64 s[14:15], 0
	s_cselect_b64 s[16:17], -1, 0
	v_cmp_ne_u32_e64 s[4:5], 1, v2
	s_movk_i32 s21, 0x4000
	s_branch .LBB163_84
.LBB163_83:                             ;   in Loop: Header=BB163_84 Depth=1
	v_lshlrev_b32_e32 v7, 3, v0
	v_add3_u32 v8, v6, v7, s21
	v_mov_b32_e32 v6, s20
	s_waitcnt lgkmcnt(0)
	v_add_co_u32_e32 v2, vcc, s46, v2
	v_addc_co_u32_e32 v3, vcc, v3, v6, vcc
	v_lshlrev_b64 v[6:7], 3, v[4:5]
	v_mov_b32_e32 v9, s49
	v_add_co_u32_e32 v6, vcc, s48, v6
	v_addc_co_u32_e32 v7, vcc, v9, v7, vcc
	global_store_dwordx2 v[6:7], v[2:3], off
	v_lshlrev_b64 v[2:3], 4, v[4:5]
	v_mov_b32_e32 v4, s51
	v_add_co_u32_e32 v6, vcc, s50, v2
	v_addc_co_u32_e32 v7, vcc, v4, v3, vcc
	ds_read2_b64 v[2:5], v8 offset1:1
	v_add_co_u32_e32 v0, vcc, 0x400, v0
	v_addc_co_u32_e32 v1, vcc, 0, v1, vcc
	v_cmp_le_i64_e32 vcc, s[8:9], v[0:1]
	s_or_b64 s[14:15], vcc, s[14:15]
	s_waitcnt lgkmcnt(0)
	global_store_dwordx4 v[6:7], v[2:5], off
	s_andn2_b64 exec, exec, s[14:15]
	s_cbranch_execz .LBB163_91
.LBB163_84:                             ; =>This Loop Header: Depth=1
                                        ;     Child Loop BB163_86 Depth 2
                                        ;     Child Loop BB163_90 Depth 2
	v_lshl_add_u32 v6, v0, 3, 0
	ds_read_b64 v[2:3], v6
	s_and_b64 vcc, exec, s[4:5]
	v_pk_mov_b32 v[4:5], s[10:11], s[10:11] op_sel:[0,1]
	s_mov_b64 s[18:19], 0
	s_cbranch_vccnz .LBB163_88
; %bb.85:                               ;   in Loop: Header=BB163_84 Depth=1
	s_mov_b32 s22, 0
	v_pk_mov_b32 v[4:5], s[10:11], s[10:11] op_sel:[0,1]
.LBB163_86:                             ;   Parent Loop BB163_84 Depth=1
                                        ; =>  This Inner Loop Header: Depth=2
	v_mov_b32_e32 v7, s22
	ds_read2_b64 v[8:11], v7 offset1:1
	ds_read2_b64 v[12:15], v7 offset0:2 offset1:3
	ds_read2_b64 v[16:19], v7 offset0:4 offset1:5
	;; [unrolled: 1-line block ×3, first 2 shown]
	s_add_u32 s18, s18, 8
	s_waitcnt lgkmcnt(3)
	v_cmp_gt_i64_e32 vcc, v[2:3], v[8:9]
	v_cndmask_b32_e64 v7, 0, 1, vcc
	v_cmp_gt_i64_e32 vcc, v[2:3], v[10:11]
	v_cndmask_b32_e64 v8, 0, 1, vcc
	s_waitcnt lgkmcnt(2)
	v_cmp_gt_i64_e32 vcc, v[2:3], v[12:13]
	v_cndmask_b32_e64 v9, 0, 1, vcc
	v_cmp_gt_i64_e32 vcc, v[2:3], v[14:15]
	v_cndmask_b32_e64 v10, 0, 1, vcc
	;; [unrolled: 5-line block ×4, first 2 shown]
	v_add_co_u32_e32 v4, vcc, v4, v7
	v_addc_co_u32_e32 v5, vcc, 0, v5, vcc
	v_add_co_u32_e32 v4, vcc, v4, v8
	v_addc_co_u32_e32 v5, vcc, 0, v5, vcc
	;; [unrolled: 2-line block ×7, first 2 shown]
	s_addc_u32 s19, s19, 0
	s_add_i32 s22, s22, 64
	v_add_co_u32_e32 v4, vcc, v4, v14
	s_cmp_eq_u64 s[6:7], s[18:19]
	v_addc_co_u32_e32 v5, vcc, 0, v5, vcc
	s_cbranch_scc0 .LBB163_86
; %bb.87:                               ;   in Loop: Header=BB163_84 Depth=1
	s_mov_b64 s[18:19], s[6:7]
.LBB163_88:                             ;   in Loop: Header=BB163_84 Depth=1
	s_andn2_b64 vcc, exec, s[16:17]
	s_cbranch_vccnz .LBB163_83
; %bb.89:                               ;   in Loop: Header=BB163_84 Depth=1
	s_lshl_b32 s18, s18, 3
	s_add_i32 s22, s18, 0
	s_mov_b64 s[18:19], s[12:13]
.LBB163_90:                             ;   Parent Loop BB163_84 Depth=1
                                        ; =>  This Inner Loop Header: Depth=2
	v_mov_b32_e32 v7, s22
	ds_read_b64 v[8:9], v7
	s_add_i32 s22, s22, 8
	s_add_u32 s18, s18, -1
	s_addc_u32 s19, s19, -1
	s_cmp_lg_u64 s[18:19], 0
	s_waitcnt lgkmcnt(0)
	v_cmp_gt_i64_e32 vcc, v[2:3], v[8:9]
	v_cndmask_b32_e64 v7, 0, 1, vcc
	v_add_co_u32_e32 v4, vcc, v4, v7
	v_addc_co_u32_e32 v5, vcc, 0, v5, vcc
	s_cbranch_scc1 .LBB163_90
	s_branch .LBB163_83
.LBB163_91:
	s_endpgm
	.section	.rodata,"a",@progbits
	.p2align	6, 0x0
	.amdhsa_kernel _ZN9rocsparseL26csrgemm_fill_block_per_rowILj1024ELj32ELj2048ELj137ELj64Ell21rocsparse_complex_numIdEEEvT5_PKS3_S5_NS_24const_host_device_scalarIT6_EEPKT4_S5_PKS7_SB_S5_SD_S8_SB_S5_SD_SB_PS3_PS7_21rocsparse_index_base_SG_SG_SG_bbb
		.amdhsa_group_segment_fixed_size 0
		.amdhsa_private_segment_fixed_size 40
		.amdhsa_kernarg_size 172
		.amdhsa_user_sgpr_count 8
		.amdhsa_user_sgpr_private_segment_buffer 1
		.amdhsa_user_sgpr_dispatch_ptr 0
		.amdhsa_user_sgpr_queue_ptr 0
		.amdhsa_user_sgpr_kernarg_segment_ptr 1
		.amdhsa_user_sgpr_dispatch_id 0
		.amdhsa_user_sgpr_flat_scratch_init 1
		.amdhsa_user_sgpr_kernarg_preload_length 0
		.amdhsa_user_sgpr_kernarg_preload_offset 0
		.amdhsa_user_sgpr_private_segment_size 0
		.amdhsa_uses_dynamic_stack 0
		.amdhsa_system_sgpr_private_segment_wavefront_offset 1
		.amdhsa_system_sgpr_workgroup_id_x 1
		.amdhsa_system_sgpr_workgroup_id_y 0
		.amdhsa_system_sgpr_workgroup_id_z 0
		.amdhsa_system_sgpr_workgroup_info 0
		.amdhsa_system_vgpr_workitem_id 0
		.amdhsa_next_free_vgpr 42
		.amdhsa_next_free_sgpr 60
		.amdhsa_accum_offset 44
		.amdhsa_reserve_vcc 1
		.amdhsa_reserve_flat_scratch 1
		.amdhsa_float_round_mode_32 0
		.amdhsa_float_round_mode_16_64 0
		.amdhsa_float_denorm_mode_32 3
		.amdhsa_float_denorm_mode_16_64 3
		.amdhsa_dx10_clamp 1
		.amdhsa_ieee_mode 1
		.amdhsa_fp16_overflow 0
		.amdhsa_tg_split 0
		.amdhsa_exception_fp_ieee_invalid_op 0
		.amdhsa_exception_fp_denorm_src 0
		.amdhsa_exception_fp_ieee_div_zero 0
		.amdhsa_exception_fp_ieee_overflow 0
		.amdhsa_exception_fp_ieee_underflow 0
		.amdhsa_exception_fp_ieee_inexact 0
		.amdhsa_exception_int_div_zero 0
	.end_amdhsa_kernel
	.section	.text._ZN9rocsparseL26csrgemm_fill_block_per_rowILj1024ELj32ELj2048ELj137ELj64Ell21rocsparse_complex_numIdEEEvT5_PKS3_S5_NS_24const_host_device_scalarIT6_EEPKT4_S5_PKS7_SB_S5_SD_S8_SB_S5_SD_SB_PS3_PS7_21rocsparse_index_base_SG_SG_SG_bbb,"axG",@progbits,_ZN9rocsparseL26csrgemm_fill_block_per_rowILj1024ELj32ELj2048ELj137ELj64Ell21rocsparse_complex_numIdEEEvT5_PKS3_S5_NS_24const_host_device_scalarIT6_EEPKT4_S5_PKS7_SB_S5_SD_S8_SB_S5_SD_SB_PS3_PS7_21rocsparse_index_base_SG_SG_SG_bbb,comdat
.Lfunc_end163:
	.size	_ZN9rocsparseL26csrgemm_fill_block_per_rowILj1024ELj32ELj2048ELj137ELj64Ell21rocsparse_complex_numIdEEEvT5_PKS3_S5_NS_24const_host_device_scalarIT6_EEPKT4_S5_PKS7_SB_S5_SD_S8_SB_S5_SD_SB_PS3_PS7_21rocsparse_index_base_SG_SG_SG_bbb, .Lfunc_end163-_ZN9rocsparseL26csrgemm_fill_block_per_rowILj1024ELj32ELj2048ELj137ELj64Ell21rocsparse_complex_numIdEEEvT5_PKS3_S5_NS_24const_host_device_scalarIT6_EEPKT4_S5_PKS7_SB_S5_SD_S8_SB_S5_SD_SB_PS3_PS7_21rocsparse_index_base_SG_SG_SG_bbb
                                        ; -- End function
	.section	.AMDGPU.csdata,"",@progbits
; Kernel info:
; codeLenInByte = 3608
; NumSgprs: 66
; NumVgprs: 42
; NumAgprs: 0
; TotalNumVgprs: 42
; ScratchSize: 40
; MemoryBound: 0
; FloatMode: 240
; IeeeMode: 1
; LDSByteSize: 0 bytes/workgroup (compile time only)
; SGPRBlocks: 8
; VGPRBlocks: 5
; NumSGPRsForWavesPerEU: 66
; NumVGPRsForWavesPerEU: 42
; AccumOffset: 44
; Occupancy: 8
; WaveLimiterHint : 1
; COMPUTE_PGM_RSRC2:SCRATCH_EN: 1
; COMPUTE_PGM_RSRC2:USER_SGPR: 8
; COMPUTE_PGM_RSRC2:TRAP_HANDLER: 0
; COMPUTE_PGM_RSRC2:TGID_X_EN: 1
; COMPUTE_PGM_RSRC2:TGID_Y_EN: 0
; COMPUTE_PGM_RSRC2:TGID_Z_EN: 0
; COMPUTE_PGM_RSRC2:TIDIG_COMP_CNT: 0
; COMPUTE_PGM_RSRC3_GFX90A:ACCUM_OFFSET: 10
; COMPUTE_PGM_RSRC3_GFX90A:TG_SPLIT: 0
	.section	.text._ZN9rocsparseL26csrgemm_fill_block_per_rowILj1024ELj64ELj4096ELj137ELj32Ell21rocsparse_complex_numIdEEEvT5_PKS3_S5_NS_24const_host_device_scalarIT6_EEPKT4_S5_PKS7_SB_S5_SD_S8_SB_S5_SD_SB_PS3_PS7_21rocsparse_index_base_SG_SG_SG_bbb,"axG",@progbits,_ZN9rocsparseL26csrgemm_fill_block_per_rowILj1024ELj64ELj4096ELj137ELj32Ell21rocsparse_complex_numIdEEEvT5_PKS3_S5_NS_24const_host_device_scalarIT6_EEPKT4_S5_PKS7_SB_S5_SD_S8_SB_S5_SD_SB_PS3_PS7_21rocsparse_index_base_SG_SG_SG_bbb,comdat
	.globl	_ZN9rocsparseL26csrgemm_fill_block_per_rowILj1024ELj64ELj4096ELj137ELj32Ell21rocsparse_complex_numIdEEEvT5_PKS3_S5_NS_24const_host_device_scalarIT6_EEPKT4_S5_PKS7_SB_S5_SD_S8_SB_S5_SD_SB_PS3_PS7_21rocsparse_index_base_SG_SG_SG_bbb ; -- Begin function _ZN9rocsparseL26csrgemm_fill_block_per_rowILj1024ELj64ELj4096ELj137ELj32Ell21rocsparse_complex_numIdEEEvT5_PKS3_S5_NS_24const_host_device_scalarIT6_EEPKT4_S5_PKS7_SB_S5_SD_S8_SB_S5_SD_SB_PS3_PS7_21rocsparse_index_base_SG_SG_SG_bbb
	.p2align	8
	.type	_ZN9rocsparseL26csrgemm_fill_block_per_rowILj1024ELj64ELj4096ELj137ELj32Ell21rocsparse_complex_numIdEEEvT5_PKS3_S5_NS_24const_host_device_scalarIT6_EEPKT4_S5_PKS7_SB_S5_SD_S8_SB_S5_SD_SB_PS3_PS7_21rocsparse_index_base_SG_SG_SG_bbb,@function
_ZN9rocsparseL26csrgemm_fill_block_per_rowILj1024ELj64ELj4096ELj137ELj32Ell21rocsparse_complex_numIdEEEvT5_PKS3_S5_NS_24const_host_device_scalarIT6_EEPKT4_S5_PKS7_SB_S5_SD_S8_SB_S5_SD_SB_PS3_PS7_21rocsparse_index_base_SG_SG_SG_bbb: ; @_ZN9rocsparseL26csrgemm_fill_block_per_rowILj1024ELj64ELj4096ELj137ELj32Ell21rocsparse_complex_numIdEEEvT5_PKS3_S5_NS_24const_host_device_scalarIT6_EEPKT4_S5_PKS7_SB_S5_SD_S8_SB_S5_SD_SB_PS3_PS7_21rocsparse_index_base_SG_SG_SG_bbb
; %bb.0:
	s_add_u32 flat_scratch_lo, s6, s9
	s_addc_u32 flat_scratch_hi, s7, 0
	s_load_dwordx4 s[12:15], s[4:5], 0x18
	s_load_dwordx4 s[28:31], s[4:5], 0x58
	s_add_u32 s0, s0, s9
	s_load_dword s9, s[4:5], 0xa8
	s_load_dwordx4 s[44:47], s[4:5], 0x98
	s_addc_u32 s1, s1, 0
	s_waitcnt lgkmcnt(0)
	v_mov_b32_e32 v1, s13
	buffer_store_dword v1, off, s[0:3], 0 offset:20
	s_bitcmp1_b32 s9, 0
	s_cselect_b64 s[36:37], -1, 0
	s_bitcmp1_b32 s9, 16
	v_mov_b32_e32 v1, s12
	s_cselect_b64 s[6:7], -1, 0
	buffer_store_dword v1, off, s[0:3], 0 offset:16
	v_mov_b32_e32 v1, s29
	buffer_store_dword v1, off, s[0:3], 0 offset:28
	v_mov_b32_e32 v1, s28
	s_xor_b64 s[10:11], s[6:7], -1
	buffer_store_dword v1, off, s[0:3], 0 offset:24
	v_pk_mov_b32 v[2:3], 0, 0
	v_cndmask_b32_e64 v1, 0, 1, s[10:11]
	s_bitcmp0_b32 s9, 0
	v_cmp_ne_u32_e64 s[10:11], 1, v1
	v_pk_mov_b32 v[6:7], v[2:3], v[2:3] op_sel:[0,1]
	v_pk_mov_b32 v[8:9], v[2:3], v[2:3] op_sel:[0,1]
	s_cbranch_scc1 .LBB164_3
; %bb.1:
	s_mov_b64 s[16:17], src_private_base
	s_and_b64 s[18:19], s[6:7], exec
	s_cselect_b32 s16, s17, s13
	v_mov_b32_e32 v1, 16
	v_mov_b32_e32 v4, s12
	v_cndmask_b32_e64 v4, v4, v1, s[6:7]
	v_mov_b32_e32 v5, s16
	flat_load_dwordx2 v[6:7], v[4:5]
	s_and_b64 vcc, exec, s[10:11]
	v_pk_mov_b32 v[8:9], s[14:15], s[14:15] op_sel:[0,1]
	s_cbranch_vccnz .LBB164_3
; %bb.2:
	v_pk_mov_b32 v[4:5], s[12:13], s[12:13] op_sel:[0,1]
	flat_load_dwordx2 v[8:9], v[4:5] offset:8
.LBB164_3:
	s_load_dwordx4 s[12:15], s[4:5], 0x88
                                        ; implicit-def: $vgpr42 : SGPR spill to VGPR lane
	s_bitcmp1_b32 s9, 8
	s_cselect_b64 s[34:35], -1, 0
	s_bfe_u32 s9, s9, 0x10008
	s_mov_b64 s[38:39], 0
	s_waitcnt lgkmcnt(0)
	v_writelane_b32 v42, s12, 0
	v_writelane_b32 v42, s13, 1
	;; [unrolled: 1-line block ×4, first 2 shown]
	s_load_dwordx8 s[48:55], s[4:5], 0x68
	s_load_dwordx4 s[20:23], s[4:5], 0x48
	s_load_dwordx4 s[24:27], s[4:5], 0x8
	s_load_dwordx8 s[12:19], s[4:5], 0x28
	s_cmp_eq_u32 s9, 0
	v_pk_mov_b32 v[4:5], v[2:3], v[2:3] op_sel:[0,1]
	s_cbranch_scc1 .LBB164_6
; %bb.4:
	s_mov_b64 s[40:41], src_private_base
	s_and_b64 s[42:43], s[6:7], exec
	s_cselect_b32 s9, s41, s29
	v_mov_b32_e32 v1, 24
	v_mov_b32_e32 v2, s28
	v_cndmask_b32_e64 v2, v2, v1, s[6:7]
	v_mov_b32_e32 v3, s9
	flat_load_dwordx2 v[4:5], v[2:3]
	s_and_b64 vcc, exec, s[10:11]
	v_pk_mov_b32 v[2:3], s[30:31], s[30:31] op_sel:[0,1]
	s_cbranch_vccnz .LBB164_6
; %bb.5:
	v_pk_mov_b32 v[2:3], s[28:29], s[28:29] op_sel:[0,1]
	flat_load_dwordx2 v[2:3], v[2:3] offset:8
.LBB164_6:
	s_load_dwordx2 s[80:81], s[4:5], 0x0
	s_mov_b32 s4, 0
	v_lshl_add_u32 v1, v0, 4, 0
	v_add_u32_e32 v1, 0x8000, v1
	v_or_b32_e32 v27, 0xfffffc00, v0
	v_lshl_add_u32 v30, v0, 3, 0
	s_mov_b32 s5, s4
	s_mov_b32 s6, s4
	;; [unrolled: 1-line block ×3, first 2 shown]
	s_waitcnt lgkmcnt(0)
	v_pk_mov_b32 v[10:11], s[80:81], s[80:81] op_sel:[0,1]
	v_pk_mov_b32 v[12:13], s[4:5], s[4:5] op_sel:[0,1]
	v_pk_mov_b32 v[14:15], s[6:7], s[6:7] op_sel:[0,1]
	s_movk_i32 s4, 0xbff
	v_mov_b32_e32 v16, v30
	v_mov_b32_e32 v17, v27
	;; [unrolled: 1-line block ×3, first 2 shown]
.LBB164_7:                              ; =>This Inner Loop Header: Depth=1
	v_add_u32_e32 v17, 0x400, v17
	v_cmp_lt_u32_e32 vcc, s4, v17
	ds_write_b64 v16, v[10:11]
	ds_write2_b64 v18, v[12:13], v[14:15] offset1:1
	v_add_u32_e32 v18, 0x4000, v18
	s_or_b64 s[38:39], vcc, s[38:39]
	v_add_u32_e32 v16, 0x2000, v16
	s_andn2_b64 exec, exec, s[38:39]
	s_cbranch_execnz .LBB164_7
; %bb.8:
	s_or_b64 exec, exec, s[38:39]
	s_waitcnt lgkmcnt(0)
	s_barrier
	s_load_dwordx2 s[4:5], s[24:25], 0x0
	s_mov_b32 s9, 0
	s_waitcnt lgkmcnt(0)
	s_lshl_b64 s[4:5], s[4:5], 3
	s_add_u32 s6, s26, s4
	s_addc_u32 s7, s27, s5
	s_lshl_b64 s[4:5], s[8:9], 3
	s_add_u32 s4, s6, s4
	s_addc_u32 s5, s7, s5
	s_load_dwordx2 s[56:57], s[4:5], 0x0
	s_and_b64 vcc, exec, s[36:37]
	s_cbranch_vccz .LBB164_28
; %bb.9:
	s_waitcnt lgkmcnt(0)
	s_lshl_b64 s[4:5], s[56:57], 3
	s_add_u32 s4, s12, s4
	s_addc_u32 s5, s13, s5
	s_load_dwordx4 s[24:27], s[4:5], 0x0
	v_lshrrev_b32_e32 v10, 6, v0
	v_subrev_co_u32_e32 v10, vcc, s44, v10
	v_subb_co_u32_e64 v11, s[6:7], 0, 0, vcc
	s_waitcnt lgkmcnt(0)
	s_sub_u32 s4, s26, s44
	v_mov_b32_e32 v12, s25
	v_add_co_u32_e32 v10, vcc, s24, v10
	s_subb_u32 s5, s27, 0
	v_addc_co_u32_e32 v11, vcc, v12, v11, vcc
	v_cmp_gt_i64_e32 vcc, s[4:5], v[10:11]
	s_and_saveexec_b64 s[6:7], vcc
	s_cbranch_execz .LBB164_27
; %bb.10:
	v_and_b32_e32 v12, 63, v0
	v_subrev_co_u32_e32 v31, vcc, s45, v12
	s_mov_b32 s8, 0
	v_subb_co_u32_e64 v32, s[10:11], 0, 0, vcc
	s_mov_b32 s33, s44
	s_mov_b32 s40, s45
	s_mov_b64 s[10:11], 0
	v_mov_b32_e32 v33, s15
	v_mov_b32_e32 v34, s9
	;; [unrolled: 1-line block ×4, first 2 shown]
	s_movk_i32 s15, 0x89
	s_branch .LBB164_12
.LBB164_11:                             ;   in Loop: Header=BB164_12 Depth=1
	s_or_b64 exec, exec, s[8:9]
	v_add_co_u32_e32 v10, vcc, 16, v10
	v_addc_co_u32_e32 v11, vcc, 0, v11, vcc
	v_cmp_le_i64_e32 vcc, s[4:5], v[10:11]
	s_or_b64 s[10:11], vcc, s[10:11]
	s_andn2_b64 exec, exec, s[10:11]
	s_cbranch_execz .LBB164_27
.LBB164_12:                             ; =>This Loop Header: Depth=1
                                        ;     Child Loop BB164_15 Depth 2
                                        ;       Child Loop BB164_17 Depth 3
	v_lshlrev_b64 v[12:13], 3, v[10:11]
	v_add_co_u32_e32 v12, vcc, s14, v12
	v_addc_co_u32_e32 v13, vcc, v33, v13, vcc
	global_load_dwordx2 v[12:13], v[12:13], off
	s_waitcnt vmcnt(0)
	v_subrev_co_u32_e32 v12, vcc, s33, v12
	v_subb_co_u32_e32 v13, vcc, v13, v34, vcc
	v_lshlrev_b64 v[12:13], 3, v[12:13]
	v_add_co_u32_e32 v12, vcc, s18, v12
	v_addc_co_u32_e32 v13, vcc, v35, v13, vcc
	global_load_dwordx4 v[14:17], v[12:13], off
	s_waitcnt vmcnt(0)
	v_subrev_co_u32_e32 v12, vcc, s40, v16
	v_subb_co_u32_e32 v13, vcc, v17, v36, vcc
	v_add_co_u32_e32 v14, vcc, v14, v31
	v_addc_co_u32_e32 v15, vcc, v15, v32, vcc
	v_cmp_lt_i64_e32 vcc, v[14:15], v[12:13]
	s_and_saveexec_b64 s[8:9], vcc
	s_cbranch_execz .LBB164_11
; %bb.13:                               ;   in Loop: Header=BB164_12 Depth=1
	v_lshlrev_b64 v[16:17], 4, v[10:11]
	v_mov_b32_e32 v18, s17
	v_add_co_u32_e32 v16, vcc, s16, v16
	v_addc_co_u32_e32 v17, vcc, v18, v17, vcc
	global_load_dwordx4 v[20:23], v[16:17], off
	s_mov_b64 s[12:13], 0
	s_waitcnt vmcnt(0)
	v_mul_f64 v[16:17], v[22:23], -v[8:9]
	v_mul_f64 v[18:19], v[6:7], v[22:23]
	v_fmac_f64_e32 v[16:17], v[6:7], v[20:21]
	v_fmac_f64_e32 v[18:19], v[8:9], v[20:21]
	s_branch .LBB164_15
.LBB164_14:                             ;   in Loop: Header=BB164_15 Depth=2
	s_or_b64 exec, exec, s[24:25]
	v_add_co_u32_e32 v14, vcc, 64, v14
	v_addc_co_u32_e32 v15, vcc, 0, v15, vcc
	v_cmp_ge_i64_e32 vcc, v[14:15], v[12:13]
	s_or_b64 s[12:13], vcc, s[12:13]
	s_andn2_b64 exec, exec, s[12:13]
	s_cbranch_execz .LBB164_11
.LBB164_15:                             ;   Parent Loop BB164_12 Depth=1
                                        ; =>  This Loop Header: Depth=2
                                        ;       Child Loop BB164_17 Depth 3
	v_lshlrev_b64 v[20:21], 3, v[14:15]
	v_mov_b32_e32 v22, s21
	v_add_co_u32_e32 v20, vcc, s20, v20
	v_addc_co_u32_e32 v21, vcc, v22, v21, vcc
	v_lshlrev_b64 v[22:23], 4, v[14:15]
	v_mov_b32_e32 v24, s23
	v_add_co_u32_e32 v22, vcc, s22, v22
	global_load_dwordx2 v[20:21], v[20:21], off
	v_addc_co_u32_e32 v23, vcc, v24, v23, vcc
	global_load_dwordx4 v[38:41], v[22:23], off
	s_mov_b64 s[24:25], 0
	s_waitcnt vmcnt(1)
	v_subrev_co_u32_e32 v20, vcc, s40, v20
	v_mul_lo_u32 v26, v20, s15
	s_waitcnt vmcnt(0)
	v_mul_f64 v[22:23], v[40:41], -v[18:19]
	v_mul_f64 v[24:25], v[16:17], v[40:41]
	v_subb_co_u32_e32 v21, vcc, v21, v36, vcc
	v_fmac_f64_e32 v[22:23], v[16:17], v[38:39]
	v_fmac_f64_e32 v[24:25], v[18:19], v[38:39]
	v_and_b32_e32 v26, 0xfff, v26
	s_branch .LBB164_17
.LBB164_16:                             ;   in Loop: Header=BB164_17 Depth=3
	s_or_b64 exec, exec, s[26:27]
	s_xor_b64 s[26:27], s[28:29], -1
	s_and_b64 s[26:27], exec, s[26:27]
	s_or_b64 s[24:25], s[26:27], s[24:25]
	s_andn2_b64 exec, exec, s[24:25]
	s_cbranch_execz .LBB164_14
.LBB164_17:                             ;   Parent Loop BB164_12 Depth=1
                                        ;     Parent Loop BB164_15 Depth=2
                                        ; =>    This Inner Loop Header: Depth=3
	v_lshl_add_u32 v37, v26, 3, 0
	ds_read_b64 v[28:29], v37
                                        ; implicit-def: $sgpr28_sgpr29
	s_waitcnt lgkmcnt(0)
	v_cmp_ne_u64_e32 vcc, v[28:29], v[20:21]
	s_and_saveexec_b64 s[26:27], vcc
	s_xor_b64 s[26:27], exec, s[26:27]
	s_cbranch_execz .LBB164_25
; %bb.18:                               ;   in Loop: Header=BB164_17 Depth=3
	v_cmp_ne_u64_e32 vcc, s[80:81], v[28:29]
                                        ; implicit-def: $sgpr28_sgpr29
	s_and_saveexec_b64 s[30:31], vcc
	s_xor_b64 s[30:31], exec, s[30:31]
; %bb.19:                               ;   in Loop: Header=BB164_17 Depth=3
	v_add_u32_e32 v26, 1, v26
	v_and_b32_e32 v26, 0xfff, v26
	s_mov_b64 s[28:29], -1
                                        ; implicit-def: $vgpr37
; %bb.20:                               ;   in Loop: Header=BB164_17 Depth=3
	s_andn2_saveexec_b64 s[30:31], s[30:31]
	s_cbranch_execz .LBB164_24
; %bb.21:                               ;   in Loop: Header=BB164_17 Depth=3
	v_pk_mov_b32 v[28:29], s[80:81], s[80:81] op_sel:[0,1]
	ds_cmpst_rtn_b64 v[28:29], v37, v[28:29], v[20:21]
	s_mov_b64 s[36:37], -1
	s_waitcnt lgkmcnt(0)
	v_cmp_eq_u64_e32 vcc, s[80:81], v[28:29]
	s_and_saveexec_b64 s[38:39], vcc
	s_cbranch_execz .LBB164_23
; %bb.22:                               ;   in Loop: Header=BB164_17 Depth=3
	v_lshl_add_u32 v28, v26, 3, v37
	ds_add_f64 v28, v[22:23] offset:32768
	ds_add_f64 v28, v[24:25] offset:32776
	s_xor_b64 s[36:37], exec, -1
.LBB164_23:                             ;   in Loop: Header=BB164_17 Depth=3
	s_or_b64 exec, exec, s[38:39]
	s_andn2_b64 s[28:29], s[28:29], exec
	s_and_b64 s[36:37], s[36:37], exec
	s_or_b64 s[28:29], s[28:29], s[36:37]
.LBB164_24:                             ;   in Loop: Header=BB164_17 Depth=3
	s_or_b64 exec, exec, s[30:31]
	s_and_b64 s[28:29], s[28:29], exec
                                        ; implicit-def: $vgpr37
.LBB164_25:                             ;   in Loop: Header=BB164_17 Depth=3
	s_andn2_saveexec_b64 s[26:27], s[26:27]
	s_cbranch_execz .LBB164_16
; %bb.26:                               ;   in Loop: Header=BB164_17 Depth=3
	v_lshl_add_u32 v28, v26, 3, v37
	ds_add_f64 v28, v[22:23] offset:32768
	ds_add_f64 v28, v[24:25] offset:32776
	s_andn2_b64 s[28:29], s[28:29], exec
	s_branch .LBB164_16
.LBB164_27:
	s_or_b64 exec, exec, s[6:7]
.LBB164_28:
	s_andn2_b64 vcc, exec, s[34:35]
	s_cbranch_vccnz .LBB164_45
; %bb.29:
	s_waitcnt lgkmcnt(0)
	s_lshl_b64 s[4:5], s[56:57], 3
	s_add_u32 s4, s48, s4
	s_addc_u32 s5, s49, s5
	s_load_dwordx4 s[12:15], s[4:5], 0x0
	s_waitcnt vmcnt(0)
	v_subrev_co_u32_e32 v6, vcc, s47, v0
	v_subb_co_u32_e64 v7, s[6:7], 0, 0, vcc
	s_waitcnt lgkmcnt(0)
	s_sub_u32 s4, s14, s47
	v_mov_b32_e32 v8, s13
	v_add_co_u32_e32 v6, vcc, s12, v6
	s_subb_u32 s5, s15, 0
	v_addc_co_u32_e32 v7, vcc, v8, v7, vcc
	s_mov_b32 s10, 0
	v_cmp_gt_i64_e32 vcc, s[4:5], v[6:7]
	s_and_saveexec_b64 s[6:7], vcc
	s_cbranch_execz .LBB164_44
; %bb.30:
	s_mov_b32 s22, s47
	s_mov_b64 s[8:9], 0
	v_mov_b32_e32 v15, s51
	v_mov_b32_e32 v18, s10
	;; [unrolled: 1-line block ×3, first 2 shown]
	s_movk_i32 s23, 0x89
	s_branch .LBB164_32
.LBB164_31:                             ;   in Loop: Header=BB164_32 Depth=1
	s_or_b64 exec, exec, s[10:11]
	v_add_co_u32_e32 v6, vcc, 0x400, v6
	v_addc_co_u32_e32 v7, vcc, 0, v7, vcc
	v_cmp_le_i64_e32 vcc, s[4:5], v[6:7]
	s_or_b64 s[8:9], vcc, s[8:9]
	s_andn2_b64 exec, exec, s[8:9]
	s_cbranch_execz .LBB164_44
.LBB164_32:                             ; =>This Loop Header: Depth=1
                                        ;     Child Loop BB164_34 Depth 2
	v_lshlrev_b64 v[8:9], 3, v[6:7]
	v_add_co_u32_e32 v8, vcc, s50, v8
	v_addc_co_u32_e32 v9, vcc, v15, v9, vcc
	v_lshlrev_b64 v[10:11], 4, v[6:7]
	v_add_co_u32_e32 v10, vcc, s52, v10
	global_load_dwordx2 v[8:9], v[8:9], off
	v_addc_co_u32_e32 v11, vcc, v19, v11, vcc
	global_load_dwordx4 v[20:23], v[10:11], off
	s_mov_b64 s[10:11], 0
	s_waitcnt vmcnt(1)
	v_subrev_co_u32_e32 v8, vcc, s22, v8
	v_mul_lo_u32 v14, v8, s23
	s_waitcnt vmcnt(0)
	v_mul_f64 v[10:11], v[22:23], -v[2:3]
	v_mul_f64 v[12:13], v[4:5], v[22:23]
	v_subb_co_u32_e32 v9, vcc, v9, v18, vcc
	v_fmac_f64_e32 v[10:11], v[4:5], v[20:21]
	v_fmac_f64_e32 v[12:13], v[2:3], v[20:21]
	v_and_b32_e32 v14, 0xfff, v14
	s_branch .LBB164_34
.LBB164_33:                             ;   in Loop: Header=BB164_34 Depth=2
	s_or_b64 exec, exec, s[12:13]
	s_xor_b64 s[12:13], s[14:15], -1
	s_and_b64 s[12:13], exec, s[12:13]
	s_or_b64 s[10:11], s[12:13], s[10:11]
	s_andn2_b64 exec, exec, s[10:11]
	s_cbranch_execz .LBB164_31
.LBB164_34:                             ;   Parent Loop BB164_32 Depth=1
                                        ; =>  This Inner Loop Header: Depth=2
	v_lshl_add_u32 v20, v14, 3, 0
	ds_read_b64 v[16:17], v20
                                        ; implicit-def: $sgpr14_sgpr15
	s_waitcnt lgkmcnt(0)
	v_cmp_ne_u64_e32 vcc, v[16:17], v[8:9]
	s_and_saveexec_b64 s[12:13], vcc
	s_xor_b64 s[12:13], exec, s[12:13]
	s_cbranch_execz .LBB164_42
; %bb.35:                               ;   in Loop: Header=BB164_34 Depth=2
	v_cmp_ne_u64_e32 vcc, s[80:81], v[16:17]
                                        ; implicit-def: $sgpr14_sgpr15
	s_and_saveexec_b64 s[16:17], vcc
	s_xor_b64 s[16:17], exec, s[16:17]
; %bb.36:                               ;   in Loop: Header=BB164_34 Depth=2
	v_add_u32_e32 v14, 1, v14
	v_and_b32_e32 v14, 0xfff, v14
	s_mov_b64 s[14:15], -1
                                        ; implicit-def: $vgpr20
; %bb.37:                               ;   in Loop: Header=BB164_34 Depth=2
	s_andn2_saveexec_b64 s[16:17], s[16:17]
	s_cbranch_execz .LBB164_41
; %bb.38:                               ;   in Loop: Header=BB164_34 Depth=2
	v_pk_mov_b32 v[16:17], s[80:81], s[80:81] op_sel:[0,1]
	ds_cmpst_rtn_b64 v[16:17], v20, v[16:17], v[8:9]
	s_mov_b64 s[18:19], -1
	s_waitcnt lgkmcnt(0)
	v_cmp_eq_u64_e32 vcc, s[80:81], v[16:17]
	s_and_saveexec_b64 s[20:21], vcc
	s_cbranch_execz .LBB164_40
; %bb.39:                               ;   in Loop: Header=BB164_34 Depth=2
	v_lshl_add_u32 v16, v14, 3, v20
	ds_add_f64 v16, v[10:11] offset:32768
	ds_add_f64 v16, v[12:13] offset:32776
	s_xor_b64 s[18:19], exec, -1
.LBB164_40:                             ;   in Loop: Header=BB164_34 Depth=2
	s_or_b64 exec, exec, s[20:21]
	s_andn2_b64 s[14:15], s[14:15], exec
	s_and_b64 s[18:19], s[18:19], exec
	s_or_b64 s[14:15], s[14:15], s[18:19]
.LBB164_41:                             ;   in Loop: Header=BB164_34 Depth=2
	s_or_b64 exec, exec, s[16:17]
	s_and_b64 s[14:15], s[14:15], exec
                                        ; implicit-def: $vgpr20
.LBB164_42:                             ;   in Loop: Header=BB164_34 Depth=2
	s_andn2_saveexec_b64 s[12:13], s[12:13]
	s_cbranch_execz .LBB164_33
; %bb.43:                               ;   in Loop: Header=BB164_34 Depth=2
	v_lshl_add_u32 v16, v14, 3, v20
	ds_add_f64 v16, v[10:11] offset:32768
	ds_add_f64 v16, v[12:13] offset:32776
	s_andn2_b64 s[14:15], s[14:15], exec
	s_branch .LBB164_33
.LBB164_44:
	s_or_b64 exec, exec, s[6:7]
.LBB164_45:
	s_waitcnt lgkmcnt(0)
	v_writelane_b32 v42, s56, 4
	v_writelane_b32 v42, s57, 5
	;; [unrolled: 1-line block ×8, first 2 shown]
	s_movk_i32 s33, 0x21f
	v_writelane_b32 v42, s54, 12
	v_cmp_lt_u32_e64 s[34:35], s33, v0
	s_movk_i32 s33, 0x23f
	v_writelane_b32 v42, s55, 13
	v_cmp_lt_u32_e64 s[36:37], s33, v0
	;; [unrolled: 3-line block ×6, first 2 shown]
	s_movk_i32 s33, 0x2df
	v_cmp_lt_u32_e64 s[46:47], s33, v0
	s_movk_i32 s33, 0x2ff
	v_cmp_lt_u32_e64 s[48:49], s33, v0
	;; [unrolled: 2-line block ×7, first 2 shown]
	s_movk_i32 s33, 0x3bf
	s_add_i32 s4, 0, 0x18000
	v_cmp_lt_u32_e64 s[60:61], s33, v0
	s_movk_i32 s33, 0x3df
	v_writelane_b32 v42, s4, 18
	v_cmp_lt_u32_e64 s[62:63], s33, v0
	s_add_i32 s33, 0, 0x18008
	v_writelane_b32 v42, s33, 19
	s_add_i32 s33, 0, 0x18010
	s_waitcnt vmcnt(0)
	v_mbcnt_lo_u32_b32 v2, -1, 0
	v_writelane_b32 v42, s33, 20
	s_add_i32 s33, 0, 0x18018
	v_mbcnt_hi_u32_b32 v2, -1, v2
	v_writelane_b32 v42, s33, 21
	s_add_i32 s33, 0, 0x18020
	v_sub_u32_e32 v2, 63, v2
	v_writelane_b32 v42, s33, 22
	s_add_i32 s33, 0, 0x18028
	v_lshrrev_b64 v[4:5], v2, -1
	v_lshrrev_b32_e32 v2, 2, v0
	v_writelane_b32 v42, s33, 23
	s_add_i32 s33, 0, 0x18030
	v_and_b32_e32 v2, 0xf8, v2
	v_writelane_b32 v42, s33, 24
	s_add_i32 s33, 0, 0x18038
	v_add_u32_e32 v12, s4, v2
	s_movk_i32 s4, 0x3ff
	v_writelane_b32 v42, s33, 25
	s_add_i32 s33, 0, 0x18040
	v_cmp_eq_u32_e32 vcc, s4, v0
	s_movk_i32 s4, 0x5f
	s_movk_i32 s6, 0x7f
	;; [unrolled: 1-line block ×14, first 2 shown]
	v_writelane_b32 v42, s33, 26
	s_add_i32 s33, 0, 0x18048
	v_mov_b32_e32 v3, 0
	v_cmp_lt_u32_e64 s[4:5], s4, v0
	v_cmp_lt_u32_e64 s[6:7], s6, v0
	;; [unrolled: 1-line block ×14, first 2 shown]
	v_pk_mov_b32 v[6:7], 0, 0
	v_writelane_b32 v42, s33, 27
	s_add_i32 s94, 0, 0x18050
	s_add_i32 s95, 0, 0x18058
	;; [unrolled: 1-line block ×22, first 2 shown]
	s_movk_i32 s91, 0xbff
	v_cmp_lt_u32_e64 s[64:65], 31, v0
	v_cmp_lt_u32_e64 s[66:67], 63, v0
	s_mov_b64 s[72:73], 0
	s_barrier
	s_branch .LBB164_47
.LBB164_46:                             ;   in Loop: Header=BB164_47 Depth=1
	s_or_b64 exec, exec, s[68:69]
	v_mov_b32_e32 v2, s90
	s_waitcnt lgkmcnt(0)
	s_barrier
	ds_read_b64 v[8:9], v2
	v_add_u32_e32 v27, 0x400, v27
	v_add_u32_e32 v1, 0x4000, v1
	v_add_u32_e32 v30, 0x2000, v30
	s_waitcnt lgkmcnt(0)
	v_add_co_u32_e64 v6, s[68:69], v8, v6
	v_addc_co_u32_e64 v7, s[68:69], v9, v7, s[68:69]
	v_cmp_lt_u32_e64 s[68:69], s91, v27
	s_or_b64 s[72:73], s[68:69], s[72:73]
	s_andn2_b64 exec, exec, s[72:73]
	s_cbranch_execz .LBB164_113
.LBB164_47:                             ; =>This Inner Loop Header: Depth=1
	ds_read2_b64 v[14:17], v1 offset1:1
	ds_read_b64 v[10:11], v30
	s_waitcnt lgkmcnt(1)
	buffer_store_dword v17, off, s[0:3], 0 offset:12
	buffer_store_dword v16, off, s[0:3], 0 offset:8
	;; [unrolled: 1-line block ×3, first 2 shown]
	buffer_store_dword v14, off, s[0:3], 0
	s_waitcnt lgkmcnt(0)
	v_cmp_gt_i64_e64 s[68:69], s[80:81], v[10:11]
	v_and_b32_e32 v9, s68, v4
	s_bcnt1_i32_b64 s84, s[68:69]
	v_and_b32_e32 v8, s69, v5
	v_bcnt_u32_b32 v9, v9, 0
	v_mov_b32_e32 v2, s84
	v_bcnt_u32_b32 v8, v8, v9
	s_barrier
	ds_write_b64 v12, v[2:3]
	s_waitcnt lgkmcnt(0)
	s_barrier
	s_and_saveexec_b64 s[84:85], s[64:65]
	s_cbranch_execnz .LBB164_80
; %bb.48:                               ;   in Loop: Header=BB164_47 Depth=1
	s_or_b64 exec, exec, s[84:85]
	s_and_saveexec_b64 s[84:85], s[66:67]
	s_cbranch_execnz .LBB164_81
.LBB164_49:                             ;   in Loop: Header=BB164_47 Depth=1
	s_or_b64 exec, exec, s[84:85]
	s_and_saveexec_b64 s[84:85], s[4:5]
	s_cbranch_execnz .LBB164_82
.LBB164_50:                             ;   in Loop: Header=BB164_47 Depth=1
	s_or_b64 exec, exec, s[84:85]
	s_and_saveexec_b64 s[84:85], s[6:7]
	s_cbranch_execnz .LBB164_83
.LBB164_51:                             ;   in Loop: Header=BB164_47 Depth=1
	s_or_b64 exec, exec, s[84:85]
	s_and_saveexec_b64 s[84:85], s[8:9]
	s_cbranch_execnz .LBB164_84
.LBB164_52:                             ;   in Loop: Header=BB164_47 Depth=1
	s_or_b64 exec, exec, s[84:85]
	s_and_saveexec_b64 s[84:85], s[10:11]
	s_cbranch_execnz .LBB164_85
.LBB164_53:                             ;   in Loop: Header=BB164_47 Depth=1
	s_or_b64 exec, exec, s[84:85]
	s_and_saveexec_b64 s[84:85], s[12:13]
	s_cbranch_execnz .LBB164_86
.LBB164_54:                             ;   in Loop: Header=BB164_47 Depth=1
	s_or_b64 exec, exec, s[84:85]
	s_and_saveexec_b64 s[84:85], s[14:15]
	s_cbranch_execnz .LBB164_87
.LBB164_55:                             ;   in Loop: Header=BB164_47 Depth=1
	s_or_b64 exec, exec, s[84:85]
	s_and_saveexec_b64 s[84:85], s[16:17]
	s_cbranch_execnz .LBB164_88
.LBB164_56:                             ;   in Loop: Header=BB164_47 Depth=1
	s_or_b64 exec, exec, s[84:85]
	s_and_saveexec_b64 s[84:85], s[18:19]
	s_cbranch_execnz .LBB164_89
.LBB164_57:                             ;   in Loop: Header=BB164_47 Depth=1
	s_or_b64 exec, exec, s[84:85]
	s_and_saveexec_b64 s[84:85], s[20:21]
	s_cbranch_execnz .LBB164_90
.LBB164_58:                             ;   in Loop: Header=BB164_47 Depth=1
	s_or_b64 exec, exec, s[84:85]
	s_and_saveexec_b64 s[84:85], s[22:23]
	s_cbranch_execnz .LBB164_91
.LBB164_59:                             ;   in Loop: Header=BB164_47 Depth=1
	s_or_b64 exec, exec, s[84:85]
	s_and_saveexec_b64 s[84:85], s[24:25]
	s_cbranch_execnz .LBB164_92
.LBB164_60:                             ;   in Loop: Header=BB164_47 Depth=1
	s_or_b64 exec, exec, s[84:85]
	s_and_saveexec_b64 s[84:85], s[26:27]
	s_cbranch_execnz .LBB164_93
.LBB164_61:                             ;   in Loop: Header=BB164_47 Depth=1
	s_or_b64 exec, exec, s[84:85]
	s_and_saveexec_b64 s[84:85], s[28:29]
	s_cbranch_execnz .LBB164_94
.LBB164_62:                             ;   in Loop: Header=BB164_47 Depth=1
	s_or_b64 exec, exec, s[84:85]
	s_and_saveexec_b64 s[84:85], s[30:31]
	s_cbranch_execnz .LBB164_95
.LBB164_63:                             ;   in Loop: Header=BB164_47 Depth=1
	s_or_b64 exec, exec, s[84:85]
	s_and_saveexec_b64 s[84:85], s[34:35]
	s_cbranch_execnz .LBB164_96
.LBB164_64:                             ;   in Loop: Header=BB164_47 Depth=1
	s_or_b64 exec, exec, s[84:85]
	s_and_saveexec_b64 s[84:85], s[36:37]
	s_cbranch_execnz .LBB164_97
.LBB164_65:                             ;   in Loop: Header=BB164_47 Depth=1
	s_or_b64 exec, exec, s[84:85]
	s_and_saveexec_b64 s[84:85], s[38:39]
	s_cbranch_execnz .LBB164_98
.LBB164_66:                             ;   in Loop: Header=BB164_47 Depth=1
	s_or_b64 exec, exec, s[84:85]
	s_and_saveexec_b64 s[84:85], s[40:41]
	s_cbranch_execnz .LBB164_99
.LBB164_67:                             ;   in Loop: Header=BB164_47 Depth=1
	s_or_b64 exec, exec, s[84:85]
	s_and_saveexec_b64 s[84:85], s[42:43]
	s_cbranch_execnz .LBB164_100
.LBB164_68:                             ;   in Loop: Header=BB164_47 Depth=1
	s_or_b64 exec, exec, s[84:85]
	s_and_saveexec_b64 s[84:85], s[44:45]
	s_cbranch_execnz .LBB164_101
.LBB164_69:                             ;   in Loop: Header=BB164_47 Depth=1
	s_or_b64 exec, exec, s[84:85]
	s_and_saveexec_b64 s[84:85], s[46:47]
	s_cbranch_execnz .LBB164_102
.LBB164_70:                             ;   in Loop: Header=BB164_47 Depth=1
	s_or_b64 exec, exec, s[84:85]
	s_and_saveexec_b64 s[84:85], s[48:49]
	s_cbranch_execnz .LBB164_103
.LBB164_71:                             ;   in Loop: Header=BB164_47 Depth=1
	s_or_b64 exec, exec, s[84:85]
	s_and_saveexec_b64 s[84:85], s[50:51]
	s_cbranch_execnz .LBB164_104
.LBB164_72:                             ;   in Loop: Header=BB164_47 Depth=1
	s_or_b64 exec, exec, s[84:85]
	s_and_saveexec_b64 s[84:85], s[52:53]
	s_cbranch_execnz .LBB164_105
.LBB164_73:                             ;   in Loop: Header=BB164_47 Depth=1
	s_or_b64 exec, exec, s[84:85]
	s_and_saveexec_b64 s[84:85], s[54:55]
	s_cbranch_execnz .LBB164_106
.LBB164_74:                             ;   in Loop: Header=BB164_47 Depth=1
	s_or_b64 exec, exec, s[84:85]
	s_and_saveexec_b64 s[84:85], s[56:57]
	s_cbranch_execnz .LBB164_107
.LBB164_75:                             ;   in Loop: Header=BB164_47 Depth=1
	s_or_b64 exec, exec, s[84:85]
	s_and_saveexec_b64 s[84:85], s[58:59]
	s_cbranch_execnz .LBB164_108
.LBB164_76:                             ;   in Loop: Header=BB164_47 Depth=1
	s_or_b64 exec, exec, s[84:85]
	s_and_saveexec_b64 s[84:85], s[60:61]
	s_cbranch_execnz .LBB164_109
.LBB164_77:                             ;   in Loop: Header=BB164_47 Depth=1
	s_or_b64 exec, exec, s[84:85]
	s_and_saveexec_b64 s[84:85], s[62:63]
	s_cbranch_execnz .LBB164_110
.LBB164_78:                             ;   in Loop: Header=BB164_47 Depth=1
	s_or_b64 exec, exec, s[84:85]
	v_ashrrev_i32_e32 v9, 31, v8
	s_and_saveexec_b64 s[84:85], s[68:69]
	s_cbranch_execnz .LBB164_111
.LBB164_79:                             ;   in Loop: Header=BB164_47 Depth=1
	s_or_b64 exec, exec, s[84:85]
	s_and_saveexec_b64 s[68:69], vcc
	s_cbranch_execz .LBB164_46
	s_branch .LBB164_112
.LBB164_80:                             ;   in Loop: Header=BB164_47 Depth=1
	v_readlane_b32 s92, v42, 18
	v_mov_b32_e32 v2, s92
	ds_read_b32 v2, v2
	s_waitcnt lgkmcnt(0)
	v_add_u32_e32 v8, v2, v8
	s_or_b64 exec, exec, s[84:85]
	s_and_saveexec_b64 s[84:85], s[66:67]
	s_cbranch_execz .LBB164_49
.LBB164_81:                             ;   in Loop: Header=BB164_47 Depth=1
	v_readlane_b32 s92, v42, 19
	v_mov_b32_e32 v2, s92
	ds_read_b32 v2, v2
	s_waitcnt lgkmcnt(0)
	v_add_u32_e32 v8, v8, v2
	s_or_b64 exec, exec, s[84:85]
	s_and_saveexec_b64 s[84:85], s[4:5]
	s_cbranch_execz .LBB164_50
.LBB164_82:                             ;   in Loop: Header=BB164_47 Depth=1
	v_readlane_b32 s92, v42, 20
	v_mov_b32_e32 v2, s92
	ds_read_b32 v2, v2
	s_waitcnt lgkmcnt(0)
	v_add_u32_e32 v8, v8, v2
	s_or_b64 exec, exec, s[84:85]
	s_and_saveexec_b64 s[84:85], s[6:7]
	s_cbranch_execz .LBB164_51
.LBB164_83:                             ;   in Loop: Header=BB164_47 Depth=1
	v_readlane_b32 s92, v42, 21
	v_mov_b32_e32 v2, s92
	ds_read_b32 v2, v2
	s_waitcnt lgkmcnt(0)
	v_add_u32_e32 v8, v8, v2
	s_or_b64 exec, exec, s[84:85]
	s_and_saveexec_b64 s[84:85], s[8:9]
	s_cbranch_execz .LBB164_52
.LBB164_84:                             ;   in Loop: Header=BB164_47 Depth=1
	v_readlane_b32 s92, v42, 22
	v_mov_b32_e32 v2, s92
	ds_read_b32 v2, v2
	s_waitcnt lgkmcnt(0)
	v_add_u32_e32 v8, v8, v2
	s_or_b64 exec, exec, s[84:85]
	s_and_saveexec_b64 s[84:85], s[10:11]
	s_cbranch_execz .LBB164_53
.LBB164_85:                             ;   in Loop: Header=BB164_47 Depth=1
	v_readlane_b32 s92, v42, 23
	v_mov_b32_e32 v2, s92
	ds_read_b32 v2, v2
	s_waitcnt lgkmcnt(0)
	v_add_u32_e32 v8, v8, v2
	s_or_b64 exec, exec, s[84:85]
	s_and_saveexec_b64 s[84:85], s[12:13]
	s_cbranch_execz .LBB164_54
.LBB164_86:                             ;   in Loop: Header=BB164_47 Depth=1
	v_readlane_b32 s92, v42, 24
	v_mov_b32_e32 v2, s92
	ds_read_b32 v2, v2
	s_waitcnt lgkmcnt(0)
	v_add_u32_e32 v8, v8, v2
	s_or_b64 exec, exec, s[84:85]
	s_and_saveexec_b64 s[84:85], s[14:15]
	s_cbranch_execz .LBB164_55
.LBB164_87:                             ;   in Loop: Header=BB164_47 Depth=1
	v_readlane_b32 s92, v42, 25
	v_mov_b32_e32 v2, s92
	ds_read_b32 v2, v2
	s_waitcnt lgkmcnt(0)
	v_add_u32_e32 v8, v8, v2
	s_or_b64 exec, exec, s[84:85]
	s_and_saveexec_b64 s[84:85], s[16:17]
	s_cbranch_execz .LBB164_56
.LBB164_88:                             ;   in Loop: Header=BB164_47 Depth=1
	v_readlane_b32 s92, v42, 26
	v_mov_b32_e32 v2, s92
	ds_read_b32 v2, v2
	s_waitcnt lgkmcnt(0)
	v_add_u32_e32 v8, v8, v2
	s_or_b64 exec, exec, s[84:85]
	s_and_saveexec_b64 s[84:85], s[18:19]
	s_cbranch_execz .LBB164_57
.LBB164_89:                             ;   in Loop: Header=BB164_47 Depth=1
	v_readlane_b32 s92, v42, 27
	v_mov_b32_e32 v2, s92
	ds_read_b32 v2, v2
	s_waitcnt lgkmcnt(0)
	v_add_u32_e32 v8, v8, v2
	s_or_b64 exec, exec, s[84:85]
	s_and_saveexec_b64 s[84:85], s[20:21]
	s_cbranch_execz .LBB164_58
.LBB164_90:                             ;   in Loop: Header=BB164_47 Depth=1
	v_mov_b32_e32 v2, s94
	ds_read_b32 v2, v2
	s_waitcnt lgkmcnt(0)
	v_add_u32_e32 v8, v8, v2
	s_or_b64 exec, exec, s[84:85]
	s_and_saveexec_b64 s[84:85], s[22:23]
	s_cbranch_execz .LBB164_59
.LBB164_91:                             ;   in Loop: Header=BB164_47 Depth=1
	v_mov_b32_e32 v2, s95
	ds_read_b32 v2, v2
	s_waitcnt lgkmcnt(0)
	v_add_u32_e32 v8, v8, v2
	s_or_b64 exec, exec, s[84:85]
	s_and_saveexec_b64 s[84:85], s[24:25]
	s_cbranch_execz .LBB164_60
.LBB164_92:                             ;   in Loop: Header=BB164_47 Depth=1
	v_mov_b32_e32 v2, s96
	ds_read_b32 v2, v2
	s_waitcnt lgkmcnt(0)
	v_add_u32_e32 v8, v8, v2
	s_or_b64 exec, exec, s[84:85]
	s_and_saveexec_b64 s[84:85], s[26:27]
	s_cbranch_execz .LBB164_61
.LBB164_93:                             ;   in Loop: Header=BB164_47 Depth=1
	v_mov_b32_e32 v2, s97
	ds_read_b32 v2, v2
	s_waitcnt lgkmcnt(0)
	v_add_u32_e32 v8, v8, v2
	s_or_b64 exec, exec, s[84:85]
	s_and_saveexec_b64 s[84:85], s[28:29]
	s_cbranch_execz .LBB164_62
.LBB164_94:                             ;   in Loop: Header=BB164_47 Depth=1
	v_mov_b32_e32 v2, s98
	ds_read_b32 v2, v2
	s_waitcnt lgkmcnt(0)
	v_add_u32_e32 v8, v8, v2
	s_or_b64 exec, exec, s[84:85]
	s_and_saveexec_b64 s[84:85], s[30:31]
	s_cbranch_execz .LBB164_63
.LBB164_95:                             ;   in Loop: Header=BB164_47 Depth=1
	v_mov_b32_e32 v2, s99
	ds_read_b32 v2, v2
	s_waitcnt lgkmcnt(0)
	v_add_u32_e32 v8, v8, v2
	s_or_b64 exec, exec, s[84:85]
	s_and_saveexec_b64 s[84:85], s[34:35]
	s_cbranch_execz .LBB164_64
.LBB164_96:                             ;   in Loop: Header=BB164_47 Depth=1
	v_mov_b32_e32 v2, s82
	ds_read_b32 v2, v2
	s_waitcnt lgkmcnt(0)
	v_add_u32_e32 v8, v8, v2
	s_or_b64 exec, exec, s[84:85]
	s_and_saveexec_b64 s[84:85], s[36:37]
	s_cbranch_execz .LBB164_65
.LBB164_97:                             ;   in Loop: Header=BB164_47 Depth=1
	v_mov_b32_e32 v2, s83
	ds_read_b32 v2, v2
	s_waitcnt lgkmcnt(0)
	v_add_u32_e32 v8, v8, v2
	s_or_b64 exec, exec, s[84:85]
	s_and_saveexec_b64 s[84:85], s[38:39]
	s_cbranch_execz .LBB164_66
.LBB164_98:                             ;   in Loop: Header=BB164_47 Depth=1
	v_mov_b32_e32 v2, s74
	ds_read_b32 v2, v2
	s_waitcnt lgkmcnt(0)
	v_add_u32_e32 v8, v8, v2
	s_or_b64 exec, exec, s[84:85]
	s_and_saveexec_b64 s[84:85], s[40:41]
	s_cbranch_execz .LBB164_67
.LBB164_99:                             ;   in Loop: Header=BB164_47 Depth=1
	v_mov_b32_e32 v2, s70
	ds_read_b32 v2, v2
	s_waitcnt lgkmcnt(0)
	v_add_u32_e32 v8, v8, v2
	s_or_b64 exec, exec, s[84:85]
	s_and_saveexec_b64 s[84:85], s[42:43]
	s_cbranch_execz .LBB164_68
.LBB164_100:                            ;   in Loop: Header=BB164_47 Depth=1
	v_mov_b32_e32 v2, s71
	ds_read_b32 v2, v2
	s_waitcnt lgkmcnt(0)
	v_add_u32_e32 v8, v8, v2
	s_or_b64 exec, exec, s[84:85]
	s_and_saveexec_b64 s[84:85], s[44:45]
	s_cbranch_execz .LBB164_69
.LBB164_101:                            ;   in Loop: Header=BB164_47 Depth=1
	v_mov_b32_e32 v2, s76
	ds_read_b32 v2, v2
	s_waitcnt lgkmcnt(0)
	v_add_u32_e32 v8, v8, v2
	s_or_b64 exec, exec, s[84:85]
	s_and_saveexec_b64 s[84:85], s[46:47]
	s_cbranch_execz .LBB164_70
.LBB164_102:                            ;   in Loop: Header=BB164_47 Depth=1
	v_mov_b32_e32 v2, s77
	ds_read_b32 v2, v2
	s_waitcnt lgkmcnt(0)
	v_add_u32_e32 v8, v8, v2
	s_or_b64 exec, exec, s[84:85]
	s_and_saveexec_b64 s[84:85], s[48:49]
	s_cbranch_execz .LBB164_71
.LBB164_103:                            ;   in Loop: Header=BB164_47 Depth=1
	v_mov_b32_e32 v2, s78
	ds_read_b32 v2, v2
	s_waitcnt lgkmcnt(0)
	v_add_u32_e32 v8, v8, v2
	s_or_b64 exec, exec, s[84:85]
	s_and_saveexec_b64 s[84:85], s[50:51]
	s_cbranch_execz .LBB164_72
.LBB164_104:                            ;   in Loop: Header=BB164_47 Depth=1
	v_mov_b32_e32 v2, s79
	ds_read_b32 v2, v2
	s_waitcnt lgkmcnt(0)
	v_add_u32_e32 v8, v8, v2
	s_or_b64 exec, exec, s[84:85]
	s_and_saveexec_b64 s[84:85], s[52:53]
	s_cbranch_execz .LBB164_73
.LBB164_105:                            ;   in Loop: Header=BB164_47 Depth=1
	v_mov_b32_e32 v2, s33
	ds_read_b32 v2, v2
	s_waitcnt lgkmcnt(0)
	v_add_u32_e32 v8, v8, v2
	s_or_b64 exec, exec, s[84:85]
	s_and_saveexec_b64 s[84:85], s[54:55]
	s_cbranch_execz .LBB164_74
.LBB164_106:                            ;   in Loop: Header=BB164_47 Depth=1
	v_mov_b32_e32 v2, s75
	ds_read_b32 v2, v2
	s_waitcnt lgkmcnt(0)
	v_add_u32_e32 v8, v8, v2
	s_or_b64 exec, exec, s[84:85]
	s_and_saveexec_b64 s[84:85], s[56:57]
	s_cbranch_execz .LBB164_75
.LBB164_107:                            ;   in Loop: Header=BB164_47 Depth=1
	v_mov_b32_e32 v2, s86
	ds_read_b32 v2, v2
	s_waitcnt lgkmcnt(0)
	v_add_u32_e32 v8, v8, v2
	s_or_b64 exec, exec, s[84:85]
	s_and_saveexec_b64 s[84:85], s[58:59]
	s_cbranch_execz .LBB164_76
.LBB164_108:                            ;   in Loop: Header=BB164_47 Depth=1
	v_mov_b32_e32 v2, s87
	ds_read_b32 v2, v2
	s_waitcnt lgkmcnt(0)
	v_add_u32_e32 v8, v8, v2
	s_or_b64 exec, exec, s[84:85]
	s_and_saveexec_b64 s[84:85], s[60:61]
	s_cbranch_execz .LBB164_77
.LBB164_109:                            ;   in Loop: Header=BB164_47 Depth=1
	v_mov_b32_e32 v2, s88
	ds_read_b32 v2, v2
	s_waitcnt lgkmcnt(0)
	v_add_u32_e32 v8, v8, v2
	s_or_b64 exec, exec, s[84:85]
	s_and_saveexec_b64 s[84:85], s[62:63]
	s_cbranch_execz .LBB164_78
.LBB164_110:                            ;   in Loop: Header=BB164_47 Depth=1
	v_mov_b32_e32 v2, s89
	ds_read_b32 v2, v2
	s_waitcnt lgkmcnt(0)
	v_add_u32_e32 v8, v8, v2
	s_or_b64 exec, exec, s[84:85]
	v_ashrrev_i32_e32 v9, 31, v8
	s_and_saveexec_b64 s[84:85], s[68:69]
	s_cbranch_execz .LBB164_79
.LBB164_111:                            ;   in Loop: Header=BB164_47 Depth=1
	buffer_load_dword v14, off, s[0:3], 0
	buffer_load_dword v15, off, s[0:3], 0 offset:4
	buffer_load_dword v16, off, s[0:3], 0 offset:8
	;; [unrolled: 1-line block ×3, first 2 shown]
	v_add3_u32 v2, v6, -1, v8
	v_lshl_add_u32 v13, v2, 3, 0
	v_lshl_add_u32 v2, v2, 4, 0
	v_add_u32_e32 v2, 0x8000, v2
	ds_write_b64 v13, v[10:11]
	s_waitcnt vmcnt(0)
	ds_write2_b64 v2, v[14:15], v[16:17] offset1:1
	s_or_b64 exec, exec, s[84:85]
	s_and_saveexec_b64 s[68:69], vcc
	s_cbranch_execz .LBB164_46
.LBB164_112:                            ;   in Loop: Header=BB164_47 Depth=1
	v_mov_b32_e32 v2, s90
	ds_write_b64 v2, v[8:9]
	s_branch .LBB164_46
.LBB164_113:
	s_or_b64 exec, exec, s[72:73]
	v_readlane_b32 s4, v42, 4
	v_readlane_b32 s8, v42, 6
	;; [unrolled: 1-line block ×7, first 2 shown]
	s_lshl_b64 s[4:5], s[4:5], 3
	s_mov_b64 s[10:11], s[14:15]
	s_add_u32 s4, s10, s4
	s_addc_u32 s5, s11, s5
	s_load_dwordx4 s[4:7], s[4:5], 0x0
	v_readlane_b32 s9, v42, 7
	v_mov_b32_e32 v1, 0
	v_readlane_b32 s12, v42, 10
	v_readlane_b32 s13, v42, 11
	s_waitcnt lgkmcnt(0)
	s_sub_u32 s8, s6, s4
	s_subb_u32 s9, s7, s5
	v_cmp_gt_i64_e32 vcc, s[8:9], v[0:1]
	s_and_saveexec_b64 s[10:11], vcc
	v_readlane_b32 s24, v42, 14
	v_readlane_b32 s26, v42, 16
	v_readlane_b32 s25, v42, 15
	v_readlane_b32 s27, v42, 17
	s_cbranch_execz .LBB164_123
; %bb.114:
	s_sub_u32 s10, s4, s26
	s_subb_u32 s11, s5, 0
	s_and_b32 s12, s8, 7
	s_sub_u32 s4, s4, s6
	s_mov_b32 s20, 0
	s_subb_u32 s5, s5, s7
	s_mov_b32 s13, s20
	s_and_b32 s6, s8, -8
	v_cmp_lt_u64_e64 s[4:5], s[4:5], -7
	s_cmp_lg_u64 s[12:13], 0
	v_cndmask_b32_e64 v2, 0, 1, s[4:5]
	s_mov_b32 s7, s9
	s_mov_b64 s[14:15], 0
	s_cselect_b64 s[16:17], -1, 0
	v_cmp_ne_u32_e64 s[4:5], 1, v2
	s_mov_b32 s21, 0x8000
	s_branch .LBB164_116
.LBB164_115:                            ;   in Loop: Header=BB164_116 Depth=1
	v_lshlrev_b32_e32 v7, 3, v0
	v_add3_u32 v8, v6, v7, s21
	v_mov_b32_e32 v6, s20
	s_waitcnt lgkmcnt(0)
	v_add_co_u32_e32 v2, vcc, s26, v2
	v_readlane_b32 s28, v42, 0
	v_addc_co_u32_e32 v3, vcc, v3, v6, vcc
	v_lshlrev_b64 v[6:7], 3, v[4:5]
	v_readlane_b32 s29, v42, 1
	v_mov_b32_e32 v9, s29
	v_add_co_u32_e32 v6, vcc, s28, v6
	v_addc_co_u32_e32 v7, vcc, v9, v7, vcc
	v_readlane_b32 s30, v42, 2
	v_readlane_b32 s31, v42, 3
	global_store_dwordx2 v[6:7], v[2:3], off
	v_lshlrev_b64 v[2:3], 4, v[4:5]
	v_mov_b32_e32 v4, s31
	v_add_co_u32_e32 v6, vcc, s30, v2
	v_addc_co_u32_e32 v7, vcc, v4, v3, vcc
	ds_read2_b64 v[2:5], v8 offset1:1
	v_add_co_u32_e32 v0, vcc, 0x400, v0
	v_addc_co_u32_e32 v1, vcc, 0, v1, vcc
	v_cmp_le_i64_e32 vcc, s[8:9], v[0:1]
	s_or_b64 s[14:15], vcc, s[14:15]
	s_waitcnt lgkmcnt(0)
	global_store_dwordx4 v[6:7], v[2:5], off
	s_andn2_b64 exec, exec, s[14:15]
	s_cbranch_execz .LBB164_123
.LBB164_116:                            ; =>This Loop Header: Depth=1
                                        ;     Child Loop BB164_118 Depth 2
                                        ;     Child Loop BB164_122 Depth 2
	v_lshl_add_u32 v6, v0, 3, 0
	ds_read_b64 v[2:3], v6
	s_and_b64 vcc, exec, s[4:5]
	v_pk_mov_b32 v[4:5], s[10:11], s[10:11] op_sel:[0,1]
	s_mov_b64 s[18:19], 0
	s_cbranch_vccnz .LBB164_120
; %bb.117:                              ;   in Loop: Header=BB164_116 Depth=1
	s_mov_b32 s22, 0
	v_pk_mov_b32 v[4:5], s[10:11], s[10:11] op_sel:[0,1]
.LBB164_118:                            ;   Parent Loop BB164_116 Depth=1
                                        ; =>  This Inner Loop Header: Depth=2
	v_mov_b32_e32 v7, s22
	ds_read2_b64 v[8:11], v7 offset1:1
	ds_read2_b64 v[12:15], v7 offset0:2 offset1:3
	ds_read2_b64 v[16:19], v7 offset0:4 offset1:5
	;; [unrolled: 1-line block ×3, first 2 shown]
	s_add_u32 s18, s18, 8
	s_waitcnt lgkmcnt(3)
	v_cmp_gt_i64_e32 vcc, v[2:3], v[8:9]
	v_cndmask_b32_e64 v7, 0, 1, vcc
	v_cmp_gt_i64_e32 vcc, v[2:3], v[10:11]
	v_cndmask_b32_e64 v8, 0, 1, vcc
	s_waitcnt lgkmcnt(2)
	v_cmp_gt_i64_e32 vcc, v[2:3], v[12:13]
	v_cndmask_b32_e64 v9, 0, 1, vcc
	v_cmp_gt_i64_e32 vcc, v[2:3], v[14:15]
	v_cndmask_b32_e64 v10, 0, 1, vcc
	;; [unrolled: 5-line block ×4, first 2 shown]
	v_add_co_u32_e32 v4, vcc, v4, v7
	v_addc_co_u32_e32 v5, vcc, 0, v5, vcc
	v_add_co_u32_e32 v4, vcc, v4, v8
	v_addc_co_u32_e32 v5, vcc, 0, v5, vcc
	;; [unrolled: 2-line block ×7, first 2 shown]
	s_addc_u32 s19, s19, 0
	s_add_i32 s22, s22, 64
	v_add_co_u32_e32 v4, vcc, v4, v14
	s_cmp_eq_u64 s[6:7], s[18:19]
	v_addc_co_u32_e32 v5, vcc, 0, v5, vcc
	s_cbranch_scc0 .LBB164_118
; %bb.119:                              ;   in Loop: Header=BB164_116 Depth=1
	s_mov_b64 s[18:19], s[6:7]
.LBB164_120:                            ;   in Loop: Header=BB164_116 Depth=1
	s_andn2_b64 vcc, exec, s[16:17]
	s_cbranch_vccnz .LBB164_115
; %bb.121:                              ;   in Loop: Header=BB164_116 Depth=1
	s_lshl_b32 s18, s18, 3
	s_add_i32 s22, s18, 0
	s_mov_b64 s[18:19], s[12:13]
.LBB164_122:                            ;   Parent Loop BB164_116 Depth=1
                                        ; =>  This Inner Loop Header: Depth=2
	v_mov_b32_e32 v7, s22
	ds_read_b64 v[8:9], v7
	s_add_i32 s22, s22, 8
	s_add_u32 s18, s18, -1
	s_addc_u32 s19, s19, -1
	s_cmp_lg_u64 s[18:19], 0
	s_waitcnt lgkmcnt(0)
	v_cmp_gt_i64_e32 vcc, v[2:3], v[8:9]
	v_cndmask_b32_e64 v7, 0, 1, vcc
	v_add_co_u32_e32 v4, vcc, v4, v7
	v_addc_co_u32_e32 v5, vcc, 0, v5, vcc
	s_cbranch_scc1 .LBB164_122
	s_branch .LBB164_115
.LBB164_123:
	s_endpgm
	.section	.rodata,"a",@progbits
	.p2align	6, 0x0
	.amdhsa_kernel _ZN9rocsparseL26csrgemm_fill_block_per_rowILj1024ELj64ELj4096ELj137ELj32Ell21rocsparse_complex_numIdEEEvT5_PKS3_S5_NS_24const_host_device_scalarIT6_EEPKT4_S5_PKS7_SB_S5_SD_S8_SB_S5_SD_SB_PS3_PS7_21rocsparse_index_base_SG_SG_SG_bbb
		.amdhsa_group_segment_fixed_size 0
		.amdhsa_private_segment_fixed_size 40
		.amdhsa_kernarg_size 172
		.amdhsa_user_sgpr_count 8
		.amdhsa_user_sgpr_private_segment_buffer 1
		.amdhsa_user_sgpr_dispatch_ptr 0
		.amdhsa_user_sgpr_queue_ptr 0
		.amdhsa_user_sgpr_kernarg_segment_ptr 1
		.amdhsa_user_sgpr_dispatch_id 0
		.amdhsa_user_sgpr_flat_scratch_init 1
		.amdhsa_user_sgpr_kernarg_preload_length 0
		.amdhsa_user_sgpr_kernarg_preload_offset 0
		.amdhsa_user_sgpr_private_segment_size 0
		.amdhsa_uses_dynamic_stack 0
		.amdhsa_system_sgpr_private_segment_wavefront_offset 1
		.amdhsa_system_sgpr_workgroup_id_x 1
		.amdhsa_system_sgpr_workgroup_id_y 0
		.amdhsa_system_sgpr_workgroup_id_z 0
		.amdhsa_system_sgpr_workgroup_info 0
		.amdhsa_system_vgpr_workitem_id 0
		.amdhsa_next_free_vgpr 43
		.amdhsa_next_free_sgpr 100
		.amdhsa_accum_offset 44
		.amdhsa_reserve_vcc 1
		.amdhsa_reserve_flat_scratch 1
		.amdhsa_float_round_mode_32 0
		.amdhsa_float_round_mode_16_64 0
		.amdhsa_float_denorm_mode_32 3
		.amdhsa_float_denorm_mode_16_64 3
		.amdhsa_dx10_clamp 1
		.amdhsa_ieee_mode 1
		.amdhsa_fp16_overflow 0
		.amdhsa_tg_split 0
		.amdhsa_exception_fp_ieee_invalid_op 0
		.amdhsa_exception_fp_denorm_src 0
		.amdhsa_exception_fp_ieee_div_zero 0
		.amdhsa_exception_fp_ieee_overflow 0
		.amdhsa_exception_fp_ieee_underflow 0
		.amdhsa_exception_fp_ieee_inexact 0
		.amdhsa_exception_int_div_zero 0
	.end_amdhsa_kernel
	.section	.text._ZN9rocsparseL26csrgemm_fill_block_per_rowILj1024ELj64ELj4096ELj137ELj32Ell21rocsparse_complex_numIdEEEvT5_PKS3_S5_NS_24const_host_device_scalarIT6_EEPKT4_S5_PKS7_SB_S5_SD_S8_SB_S5_SD_SB_PS3_PS7_21rocsparse_index_base_SG_SG_SG_bbb,"axG",@progbits,_ZN9rocsparseL26csrgemm_fill_block_per_rowILj1024ELj64ELj4096ELj137ELj32Ell21rocsparse_complex_numIdEEEvT5_PKS3_S5_NS_24const_host_device_scalarIT6_EEPKT4_S5_PKS7_SB_S5_SD_S8_SB_S5_SD_SB_PS3_PS7_21rocsparse_index_base_SG_SG_SG_bbb,comdat
.Lfunc_end164:
	.size	_ZN9rocsparseL26csrgemm_fill_block_per_rowILj1024ELj64ELj4096ELj137ELj32Ell21rocsparse_complex_numIdEEEvT5_PKS3_S5_NS_24const_host_device_scalarIT6_EEPKT4_S5_PKS7_SB_S5_SD_S8_SB_S5_SD_SB_PS3_PS7_21rocsparse_index_base_SG_SG_SG_bbb, .Lfunc_end164-_ZN9rocsparseL26csrgemm_fill_block_per_rowILj1024ELj64ELj4096ELj137ELj32Ell21rocsparse_complex_numIdEEEvT5_PKS3_S5_NS_24const_host_device_scalarIT6_EEPKT4_S5_PKS7_SB_S5_SD_S8_SB_S5_SD_SB_PS3_PS7_21rocsparse_index_base_SG_SG_SG_bbb
                                        ; -- End function
	.section	.AMDGPU.csdata,"",@progbits
; Kernel info:
; codeLenInByte = 5296
; NumSgprs: 106
; NumVgprs: 43
; NumAgprs: 0
; TotalNumVgprs: 43
; ScratchSize: 40
; MemoryBound: 0
; FloatMode: 240
; IeeeMode: 1
; LDSByteSize: 0 bytes/workgroup (compile time only)
; SGPRBlocks: 13
; VGPRBlocks: 5
; NumSGPRsForWavesPerEU: 106
; NumVGPRsForWavesPerEU: 43
; AccumOffset: 44
; Occupancy: 7
; WaveLimiterHint : 1
; COMPUTE_PGM_RSRC2:SCRATCH_EN: 1
; COMPUTE_PGM_RSRC2:USER_SGPR: 8
; COMPUTE_PGM_RSRC2:TRAP_HANDLER: 0
; COMPUTE_PGM_RSRC2:TGID_X_EN: 1
; COMPUTE_PGM_RSRC2:TGID_Y_EN: 0
; COMPUTE_PGM_RSRC2:TGID_Z_EN: 0
; COMPUTE_PGM_RSRC2:TIDIG_COMP_CNT: 0
; COMPUTE_PGM_RSRC3_GFX90A:ACCUM_OFFSET: 10
; COMPUTE_PGM_RSRC3_GFX90A:TG_SPLIT: 0
	.section	.text._ZN9rocsparseL26csrgemm_fill_block_per_rowILj1024ELj64ELj4096ELj137ELj64Ell21rocsparse_complex_numIdEEEvT5_PKS3_S5_NS_24const_host_device_scalarIT6_EEPKT4_S5_PKS7_SB_S5_SD_S8_SB_S5_SD_SB_PS3_PS7_21rocsparse_index_base_SG_SG_SG_bbb,"axG",@progbits,_ZN9rocsparseL26csrgemm_fill_block_per_rowILj1024ELj64ELj4096ELj137ELj64Ell21rocsparse_complex_numIdEEEvT5_PKS3_S5_NS_24const_host_device_scalarIT6_EEPKT4_S5_PKS7_SB_S5_SD_S8_SB_S5_SD_SB_PS3_PS7_21rocsparse_index_base_SG_SG_SG_bbb,comdat
	.globl	_ZN9rocsparseL26csrgemm_fill_block_per_rowILj1024ELj64ELj4096ELj137ELj64Ell21rocsparse_complex_numIdEEEvT5_PKS3_S5_NS_24const_host_device_scalarIT6_EEPKT4_S5_PKS7_SB_S5_SD_S8_SB_S5_SD_SB_PS3_PS7_21rocsparse_index_base_SG_SG_SG_bbb ; -- Begin function _ZN9rocsparseL26csrgemm_fill_block_per_rowILj1024ELj64ELj4096ELj137ELj64Ell21rocsparse_complex_numIdEEEvT5_PKS3_S5_NS_24const_host_device_scalarIT6_EEPKT4_S5_PKS7_SB_S5_SD_S8_SB_S5_SD_SB_PS3_PS7_21rocsparse_index_base_SG_SG_SG_bbb
	.p2align	8
	.type	_ZN9rocsparseL26csrgemm_fill_block_per_rowILj1024ELj64ELj4096ELj137ELj64Ell21rocsparse_complex_numIdEEEvT5_PKS3_S5_NS_24const_host_device_scalarIT6_EEPKT4_S5_PKS7_SB_S5_SD_S8_SB_S5_SD_SB_PS3_PS7_21rocsparse_index_base_SG_SG_SG_bbb,@function
_ZN9rocsparseL26csrgemm_fill_block_per_rowILj1024ELj64ELj4096ELj137ELj64Ell21rocsparse_complex_numIdEEEvT5_PKS3_S5_NS_24const_host_device_scalarIT6_EEPKT4_S5_PKS7_SB_S5_SD_S8_SB_S5_SD_SB_PS3_PS7_21rocsparse_index_base_SG_SG_SG_bbb: ; @_ZN9rocsparseL26csrgemm_fill_block_per_rowILj1024ELj64ELj4096ELj137ELj64Ell21rocsparse_complex_numIdEEEvT5_PKS3_S5_NS_24const_host_device_scalarIT6_EEPKT4_S5_PKS7_SB_S5_SD_S8_SB_S5_SD_SB_PS3_PS7_21rocsparse_index_base_SG_SG_SG_bbb
; %bb.0:
	s_add_u32 flat_scratch_lo, s6, s9
	s_addc_u32 flat_scratch_hi, s7, 0
	s_load_dwordx4 s[12:15], s[4:5], 0x18
	s_load_dwordx4 s[28:31], s[4:5], 0x58
	s_add_u32 s0, s0, s9
	s_load_dword s9, s[4:5], 0xa8
	s_load_dwordx4 s[44:47], s[4:5], 0x98
	s_addc_u32 s1, s1, 0
	s_waitcnt lgkmcnt(0)
	v_mov_b32_e32 v1, s13
	buffer_store_dword v1, off, s[0:3], 0 offset:20
	s_bitcmp1_b32 s9, 0
	s_cselect_b64 s[56:57], -1, 0
	s_bitcmp1_b32 s9, 16
	v_mov_b32_e32 v1, s12
	s_cselect_b64 s[6:7], -1, 0
	buffer_store_dword v1, off, s[0:3], 0 offset:16
	v_mov_b32_e32 v1, s29
	buffer_store_dword v1, off, s[0:3], 0 offset:28
	v_mov_b32_e32 v1, s28
	s_xor_b64 s[10:11], s[6:7], -1
	buffer_store_dword v1, off, s[0:3], 0 offset:24
	v_pk_mov_b32 v[2:3], 0, 0
	v_cndmask_b32_e64 v1, 0, 1, s[10:11]
	s_bitcmp0_b32 s9, 0
	v_cmp_ne_u32_e64 s[10:11], 1, v1
	v_pk_mov_b32 v[6:7], v[2:3], v[2:3] op_sel:[0,1]
	v_pk_mov_b32 v[8:9], v[2:3], v[2:3] op_sel:[0,1]
	s_cbranch_scc1 .LBB165_3
; %bb.1:
	s_mov_b64 s[16:17], src_private_base
	s_and_b64 s[18:19], s[6:7], exec
	s_cselect_b32 s16, s17, s13
	v_mov_b32_e32 v1, 16
	v_mov_b32_e32 v4, s12
	v_cndmask_b32_e64 v4, v4, v1, s[6:7]
	v_mov_b32_e32 v5, s16
	flat_load_dwordx2 v[6:7], v[4:5]
	s_and_b64 vcc, exec, s[10:11]
	v_pk_mov_b32 v[8:9], s[14:15], s[14:15] op_sel:[0,1]
	s_cbranch_vccnz .LBB165_3
; %bb.2:
	v_pk_mov_b32 v[4:5], s[12:13], s[12:13] op_sel:[0,1]
	flat_load_dwordx2 v[8:9], v[4:5] offset:8
.LBB165_3:
	s_load_dwordx4 s[48:51], s[4:5], 0x88
	s_load_dwordx8 s[36:43], s[4:5], 0x68
	s_load_dwordx4 s[20:23], s[4:5], 0x48
	s_load_dwordx4 s[24:27], s[4:5], 0x8
	s_load_dwordx8 s[12:19], s[4:5], 0x28
	s_bitcmp1_b32 s9, 8
	s_cselect_b64 s[34:35], -1, 0
	s_bfe_u32 s9, s9, 0x10008
	s_mov_b64 s[54:55], 0
	s_cmp_eq_u32 s9, 0
	v_pk_mov_b32 v[4:5], v[2:3], v[2:3] op_sel:[0,1]
	s_cbranch_scc1 .LBB165_6
; %bb.4:
	s_mov_b64 s[52:53], src_private_base
	s_and_b64 s[58:59], s[6:7], exec
	s_cselect_b32 s9, s53, s29
	v_mov_b32_e32 v1, 24
	v_mov_b32_e32 v2, s28
	v_cndmask_b32_e64 v2, v2, v1, s[6:7]
	v_mov_b32_e32 v3, s9
	flat_load_dwordx2 v[4:5], v[2:3]
	s_and_b64 vcc, exec, s[10:11]
	v_pk_mov_b32 v[2:3], s[30:31], s[30:31] op_sel:[0,1]
	s_cbranch_vccnz .LBB165_6
; %bb.5:
	v_pk_mov_b32 v[2:3], s[28:29], s[28:29] op_sel:[0,1]
	flat_load_dwordx2 v[2:3], v[2:3] offset:8
.LBB165_6:
	s_load_dwordx2 s[52:53], s[4:5], 0x0
	s_mov_b32 s4, 0
	v_lshl_add_u32 v1, v0, 4, 0
	v_add_u32_e32 v1, 0x8000, v1
	v_or_b32_e32 v27, 0xfffffc00, v0
	v_lshl_add_u32 v30, v0, 3, 0
	s_mov_b32 s5, s4
	s_mov_b32 s6, s4
	;; [unrolled: 1-line block ×3, first 2 shown]
	s_waitcnt lgkmcnt(0)
	v_pk_mov_b32 v[10:11], s[52:53], s[52:53] op_sel:[0,1]
	v_pk_mov_b32 v[12:13], s[4:5], s[4:5] op_sel:[0,1]
	;; [unrolled: 1-line block ×3, first 2 shown]
	s_movk_i32 s4, 0xbff
	v_mov_b32_e32 v16, v30
	v_mov_b32_e32 v17, v27
	;; [unrolled: 1-line block ×3, first 2 shown]
.LBB165_7:                              ; =>This Inner Loop Header: Depth=1
	v_add_u32_e32 v17, 0x400, v17
	v_cmp_lt_u32_e32 vcc, s4, v17
	ds_write_b64 v16, v[10:11]
	ds_write2_b64 v18, v[12:13], v[14:15] offset1:1
	v_add_u32_e32 v18, 0x4000, v18
	s_or_b64 s[54:55], vcc, s[54:55]
	v_add_u32_e32 v16, 0x2000, v16
	s_andn2_b64 exec, exec, s[54:55]
	s_cbranch_execnz .LBB165_7
; %bb.8:
	s_or_b64 exec, exec, s[54:55]
	s_waitcnt lgkmcnt(0)
	s_barrier
	s_load_dwordx2 s[4:5], s[24:25], 0x0
	s_mov_b32 s9, 0
	v_lshrrev_b32_e32 v31, 6, v0
	s_waitcnt lgkmcnt(0)
	s_lshl_b64 s[4:5], s[4:5], 3
	s_add_u32 s6, s26, s4
	s_addc_u32 s7, s27, s5
	s_lshl_b64 s[4:5], s[8:9], 3
	s_add_u32 s4, s6, s4
	s_addc_u32 s5, s7, s5
	s_load_dwordx2 s[54:55], s[4:5], 0x0
	s_and_b64 vcc, exec, s[56:57]
	s_cbranch_vccz .LBB165_28
; %bb.9:
	s_waitcnt lgkmcnt(0)
	s_lshl_b64 s[4:5], s[54:55], 3
	s_add_u32 s4, s12, s4
	s_addc_u32 s5, s13, s5
	s_load_dwordx4 s[24:27], s[4:5], 0x0
	v_subrev_co_u32_e32 v10, vcc, s44, v31
	v_subb_co_u32_e64 v11, s[6:7], 0, 0, vcc
	s_waitcnt lgkmcnt(0)
	s_sub_u32 s4, s26, s44
	v_mov_b32_e32 v12, s25
	v_add_co_u32_e32 v10, vcc, s24, v10
	s_subb_u32 s5, s27, 0
	v_addc_co_u32_e32 v11, vcc, v12, v11, vcc
	v_cmp_gt_i64_e32 vcc, s[4:5], v[10:11]
	s_and_saveexec_b64 s[6:7], vcc
	s_cbranch_execz .LBB165_27
; %bb.10:
	v_and_b32_e32 v12, 63, v0
	v_subrev_co_u32_e32 v32, vcc, s45, v12
	s_mov_b32 s8, 0
	v_subb_co_u32_e64 v33, s[10:11], 0, 0, vcc
	s_mov_b32 s33, s44
	s_mov_b32 s58, s45
	s_mov_b64 s[10:11], 0
	v_mov_b32_e32 v34, s15
	v_mov_b32_e32 v35, s9
	v_mov_b32_e32 v36, s19
	v_mov_b32_e32 v37, s8
	s_movk_i32 s15, 0x89
	s_branch .LBB165_12
.LBB165_11:                             ;   in Loop: Header=BB165_12 Depth=1
	s_or_b64 exec, exec, s[8:9]
	v_add_co_u32_e32 v10, vcc, 16, v10
	v_addc_co_u32_e32 v11, vcc, 0, v11, vcc
	v_cmp_le_i64_e32 vcc, s[4:5], v[10:11]
	s_or_b64 s[10:11], vcc, s[10:11]
	s_andn2_b64 exec, exec, s[10:11]
	s_cbranch_execz .LBB165_27
.LBB165_12:                             ; =>This Loop Header: Depth=1
                                        ;     Child Loop BB165_15 Depth 2
                                        ;       Child Loop BB165_17 Depth 3
	v_lshlrev_b64 v[12:13], 3, v[10:11]
	v_add_co_u32_e32 v12, vcc, s14, v12
	v_addc_co_u32_e32 v13, vcc, v34, v13, vcc
	global_load_dwordx2 v[12:13], v[12:13], off
	s_waitcnt vmcnt(0)
	v_subrev_co_u32_e32 v12, vcc, s33, v12
	v_subb_co_u32_e32 v13, vcc, v13, v35, vcc
	v_lshlrev_b64 v[12:13], 3, v[12:13]
	v_add_co_u32_e32 v12, vcc, s18, v12
	v_addc_co_u32_e32 v13, vcc, v36, v13, vcc
	global_load_dwordx4 v[14:17], v[12:13], off
	s_waitcnt vmcnt(0)
	v_subrev_co_u32_e32 v12, vcc, s58, v16
	v_subb_co_u32_e32 v13, vcc, v17, v37, vcc
	v_add_co_u32_e32 v14, vcc, v14, v32
	v_addc_co_u32_e32 v15, vcc, v15, v33, vcc
	v_cmp_lt_i64_e32 vcc, v[14:15], v[12:13]
	s_and_saveexec_b64 s[8:9], vcc
	s_cbranch_execz .LBB165_11
; %bb.13:                               ;   in Loop: Header=BB165_12 Depth=1
	v_lshlrev_b64 v[16:17], 4, v[10:11]
	v_mov_b32_e32 v18, s17
	v_add_co_u32_e32 v16, vcc, s16, v16
	v_addc_co_u32_e32 v17, vcc, v18, v17, vcc
	global_load_dwordx4 v[20:23], v[16:17], off
	s_mov_b64 s[12:13], 0
	s_waitcnt vmcnt(0)
	v_mul_f64 v[16:17], v[22:23], -v[8:9]
	v_mul_f64 v[18:19], v[6:7], v[22:23]
	v_fmac_f64_e32 v[16:17], v[6:7], v[20:21]
	v_fmac_f64_e32 v[18:19], v[8:9], v[20:21]
	s_branch .LBB165_15
.LBB165_14:                             ;   in Loop: Header=BB165_15 Depth=2
	s_or_b64 exec, exec, s[24:25]
	v_add_co_u32_e32 v14, vcc, 64, v14
	v_addc_co_u32_e32 v15, vcc, 0, v15, vcc
	v_cmp_ge_i64_e32 vcc, v[14:15], v[12:13]
	s_or_b64 s[12:13], vcc, s[12:13]
	s_andn2_b64 exec, exec, s[12:13]
	s_cbranch_execz .LBB165_11
.LBB165_15:                             ;   Parent Loop BB165_12 Depth=1
                                        ; =>  This Loop Header: Depth=2
                                        ;       Child Loop BB165_17 Depth 3
	v_lshlrev_b64 v[20:21], 3, v[14:15]
	v_mov_b32_e32 v22, s21
	v_add_co_u32_e32 v20, vcc, s20, v20
	v_addc_co_u32_e32 v21, vcc, v22, v21, vcc
	v_lshlrev_b64 v[22:23], 4, v[14:15]
	v_mov_b32_e32 v24, s23
	v_add_co_u32_e32 v22, vcc, s22, v22
	global_load_dwordx2 v[20:21], v[20:21], off
	v_addc_co_u32_e32 v23, vcc, v24, v23, vcc
	global_load_dwordx4 v[38:41], v[22:23], off
	s_mov_b64 s[24:25], 0
	s_waitcnt vmcnt(1)
	v_subrev_co_u32_e32 v20, vcc, s58, v20
	v_mul_lo_u32 v26, v20, s15
	s_waitcnt vmcnt(0)
	v_mul_f64 v[22:23], v[40:41], -v[18:19]
	v_mul_f64 v[24:25], v[16:17], v[40:41]
	v_subb_co_u32_e32 v21, vcc, v21, v37, vcc
	v_fmac_f64_e32 v[22:23], v[16:17], v[38:39]
	v_fmac_f64_e32 v[24:25], v[18:19], v[38:39]
	v_and_b32_e32 v26, 0xfff, v26
	s_branch .LBB165_17
.LBB165_16:                             ;   in Loop: Header=BB165_17 Depth=3
	s_or_b64 exec, exec, s[26:27]
	s_xor_b64 s[26:27], s[28:29], -1
	s_and_b64 s[26:27], exec, s[26:27]
	s_or_b64 s[24:25], s[26:27], s[24:25]
	s_andn2_b64 exec, exec, s[24:25]
	s_cbranch_execz .LBB165_14
.LBB165_17:                             ;   Parent Loop BB165_12 Depth=1
                                        ;     Parent Loop BB165_15 Depth=2
                                        ; =>    This Inner Loop Header: Depth=3
	v_lshl_add_u32 v38, v26, 3, 0
	ds_read_b64 v[28:29], v38
                                        ; implicit-def: $sgpr28_sgpr29
	s_waitcnt lgkmcnt(0)
	v_cmp_ne_u64_e32 vcc, v[28:29], v[20:21]
	s_and_saveexec_b64 s[26:27], vcc
	s_xor_b64 s[26:27], exec, s[26:27]
	s_cbranch_execz .LBB165_25
; %bb.18:                               ;   in Loop: Header=BB165_17 Depth=3
	v_cmp_ne_u64_e32 vcc, s[52:53], v[28:29]
                                        ; implicit-def: $sgpr28_sgpr29
	s_and_saveexec_b64 s[30:31], vcc
	s_xor_b64 s[30:31], exec, s[30:31]
; %bb.19:                               ;   in Loop: Header=BB165_17 Depth=3
	v_add_u32_e32 v26, 1, v26
	v_and_b32_e32 v26, 0xfff, v26
	s_mov_b64 s[28:29], -1
                                        ; implicit-def: $vgpr38
; %bb.20:                               ;   in Loop: Header=BB165_17 Depth=3
	s_andn2_saveexec_b64 s[30:31], s[30:31]
	s_cbranch_execz .LBB165_24
; %bb.21:                               ;   in Loop: Header=BB165_17 Depth=3
	v_pk_mov_b32 v[28:29], s[52:53], s[52:53] op_sel:[0,1]
	ds_cmpst_rtn_b64 v[28:29], v38, v[28:29], v[20:21]
	s_mov_b64 s[44:45], -1
	s_waitcnt lgkmcnt(0)
	v_cmp_eq_u64_e32 vcc, s[52:53], v[28:29]
	s_and_saveexec_b64 s[56:57], vcc
	s_cbranch_execz .LBB165_23
; %bb.22:                               ;   in Loop: Header=BB165_17 Depth=3
	v_lshl_add_u32 v28, v26, 3, v38
	ds_add_f64 v28, v[22:23] offset:32768
	ds_add_f64 v28, v[24:25] offset:32776
	s_xor_b64 s[44:45], exec, -1
.LBB165_23:                             ;   in Loop: Header=BB165_17 Depth=3
	s_or_b64 exec, exec, s[56:57]
	s_andn2_b64 s[28:29], s[28:29], exec
	s_and_b64 s[44:45], s[44:45], exec
	s_or_b64 s[28:29], s[28:29], s[44:45]
.LBB165_24:                             ;   in Loop: Header=BB165_17 Depth=3
	s_or_b64 exec, exec, s[30:31]
	s_and_b64 s[28:29], s[28:29], exec
                                        ; implicit-def: $vgpr38
.LBB165_25:                             ;   in Loop: Header=BB165_17 Depth=3
	s_andn2_saveexec_b64 s[26:27], s[26:27]
	s_cbranch_execz .LBB165_16
; %bb.26:                               ;   in Loop: Header=BB165_17 Depth=3
	v_lshl_add_u32 v28, v26, 3, v38
	ds_add_f64 v28, v[22:23] offset:32768
	ds_add_f64 v28, v[24:25] offset:32776
	s_andn2_b64 s[28:29], s[28:29], exec
	s_branch .LBB165_16
.LBB165_27:
	s_or_b64 exec, exec, s[6:7]
.LBB165_28:
	s_andn2_b64 vcc, exec, s[34:35]
	s_cbranch_vccnz .LBB165_45
; %bb.29:
	s_waitcnt lgkmcnt(0)
	s_lshl_b64 s[4:5], s[54:55], 3
	s_add_u32 s4, s36, s4
	s_addc_u32 s5, s37, s5
	s_load_dwordx4 s[12:15], s[4:5], 0x0
	s_waitcnt vmcnt(0)
	v_subrev_co_u32_e32 v6, vcc, s47, v0
	v_subb_co_u32_e64 v7, s[6:7], 0, 0, vcc
	s_waitcnt lgkmcnt(0)
	s_sub_u32 s4, s14, s47
	v_mov_b32_e32 v8, s13
	v_add_co_u32_e32 v6, vcc, s12, v6
	s_subb_u32 s5, s15, 0
	v_addc_co_u32_e32 v7, vcc, v8, v7, vcc
	s_mov_b32 s10, 0
	v_cmp_gt_i64_e32 vcc, s[4:5], v[6:7]
	s_and_saveexec_b64 s[6:7], vcc
	s_cbranch_execz .LBB165_44
; %bb.30:
	s_mov_b32 s22, s47
	s_mov_b64 s[8:9], 0
	v_mov_b32_e32 v15, s39
	v_mov_b32_e32 v18, s10
	;; [unrolled: 1-line block ×3, first 2 shown]
	s_movk_i32 s23, 0x89
	s_branch .LBB165_32
.LBB165_31:                             ;   in Loop: Header=BB165_32 Depth=1
	s_or_b64 exec, exec, s[10:11]
	v_add_co_u32_e32 v6, vcc, 0x400, v6
	v_addc_co_u32_e32 v7, vcc, 0, v7, vcc
	v_cmp_le_i64_e32 vcc, s[4:5], v[6:7]
	s_or_b64 s[8:9], vcc, s[8:9]
	s_andn2_b64 exec, exec, s[8:9]
	s_cbranch_execz .LBB165_44
.LBB165_32:                             ; =>This Loop Header: Depth=1
                                        ;     Child Loop BB165_34 Depth 2
	v_lshlrev_b64 v[8:9], 3, v[6:7]
	v_add_co_u32_e32 v8, vcc, s38, v8
	v_addc_co_u32_e32 v9, vcc, v15, v9, vcc
	v_lshlrev_b64 v[10:11], 4, v[6:7]
	v_add_co_u32_e32 v10, vcc, s40, v10
	global_load_dwordx2 v[8:9], v[8:9], off
	v_addc_co_u32_e32 v11, vcc, v19, v11, vcc
	global_load_dwordx4 v[20:23], v[10:11], off
	s_mov_b64 s[10:11], 0
	s_waitcnt vmcnt(1)
	v_subrev_co_u32_e32 v8, vcc, s22, v8
	v_mul_lo_u32 v14, v8, s23
	s_waitcnt vmcnt(0)
	v_mul_f64 v[10:11], v[22:23], -v[2:3]
	v_mul_f64 v[12:13], v[4:5], v[22:23]
	v_subb_co_u32_e32 v9, vcc, v9, v18, vcc
	v_fmac_f64_e32 v[10:11], v[4:5], v[20:21]
	v_fmac_f64_e32 v[12:13], v[2:3], v[20:21]
	v_and_b32_e32 v14, 0xfff, v14
	s_branch .LBB165_34
.LBB165_33:                             ;   in Loop: Header=BB165_34 Depth=2
	s_or_b64 exec, exec, s[12:13]
	s_xor_b64 s[12:13], s[14:15], -1
	s_and_b64 s[12:13], exec, s[12:13]
	s_or_b64 s[10:11], s[12:13], s[10:11]
	s_andn2_b64 exec, exec, s[10:11]
	s_cbranch_execz .LBB165_31
.LBB165_34:                             ;   Parent Loop BB165_32 Depth=1
                                        ; =>  This Inner Loop Header: Depth=2
	v_lshl_add_u32 v20, v14, 3, 0
	ds_read_b64 v[16:17], v20
                                        ; implicit-def: $sgpr14_sgpr15
	s_waitcnt lgkmcnt(0)
	v_cmp_ne_u64_e32 vcc, v[16:17], v[8:9]
	s_and_saveexec_b64 s[12:13], vcc
	s_xor_b64 s[12:13], exec, s[12:13]
	s_cbranch_execz .LBB165_42
; %bb.35:                               ;   in Loop: Header=BB165_34 Depth=2
	v_cmp_ne_u64_e32 vcc, s[52:53], v[16:17]
                                        ; implicit-def: $sgpr14_sgpr15
	s_and_saveexec_b64 s[16:17], vcc
	s_xor_b64 s[16:17], exec, s[16:17]
; %bb.36:                               ;   in Loop: Header=BB165_34 Depth=2
	v_add_u32_e32 v14, 1, v14
	v_and_b32_e32 v14, 0xfff, v14
	s_mov_b64 s[14:15], -1
                                        ; implicit-def: $vgpr20
; %bb.37:                               ;   in Loop: Header=BB165_34 Depth=2
	s_andn2_saveexec_b64 s[16:17], s[16:17]
	s_cbranch_execz .LBB165_41
; %bb.38:                               ;   in Loop: Header=BB165_34 Depth=2
	v_pk_mov_b32 v[16:17], s[52:53], s[52:53] op_sel:[0,1]
	ds_cmpst_rtn_b64 v[16:17], v20, v[16:17], v[8:9]
	s_mov_b64 s[18:19], -1
	s_waitcnt lgkmcnt(0)
	v_cmp_eq_u64_e32 vcc, s[52:53], v[16:17]
	s_and_saveexec_b64 s[20:21], vcc
	s_cbranch_execz .LBB165_40
; %bb.39:                               ;   in Loop: Header=BB165_34 Depth=2
	v_lshl_add_u32 v16, v14, 3, v20
	ds_add_f64 v16, v[10:11] offset:32768
	ds_add_f64 v16, v[12:13] offset:32776
	s_xor_b64 s[18:19], exec, -1
.LBB165_40:                             ;   in Loop: Header=BB165_34 Depth=2
	s_or_b64 exec, exec, s[20:21]
	s_andn2_b64 s[14:15], s[14:15], exec
	s_and_b64 s[18:19], s[18:19], exec
	s_or_b64 s[14:15], s[14:15], s[18:19]
.LBB165_41:                             ;   in Loop: Header=BB165_34 Depth=2
	s_or_b64 exec, exec, s[16:17]
	s_and_b64 s[14:15], s[14:15], exec
                                        ; implicit-def: $vgpr20
.LBB165_42:                             ;   in Loop: Header=BB165_34 Depth=2
	s_andn2_saveexec_b64 s[12:13], s[12:13]
	s_cbranch_execz .LBB165_33
; %bb.43:                               ;   in Loop: Header=BB165_34 Depth=2
	v_lshl_add_u32 v16, v14, 3, v20
	ds_add_f64 v16, v[10:11] offset:32768
	ds_add_f64 v16, v[12:13] offset:32776
	s_andn2_b64 s[14:15], s[14:15], exec
	s_branch .LBB165_33
.LBB165_44:
	s_or_b64 exec, exec, s[6:7]
.LBB165_45:
	s_waitcnt vmcnt(0)
	v_mbcnt_lo_u32_b32 v2, -1, 0
	v_mbcnt_hi_u32_b32 v2, -1, v2
	v_sub_u32_e32 v2, 63, v2
	s_add_i32 s33, 0, 0x18000
	s_movk_i32 s4, 0x3ff
	s_movk_i32 s6, 0x7f
	;; [unrolled: 1-line block ×15, first 2 shown]
	s_add_i32 s67, 0, 0x18078
	v_mov_b32_e32 v3, 0
	v_lshrrev_b64 v[4:5], v2, -1
	v_lshl_add_u32 v12, v31, 3, s33
	v_cmp_eq_u32_e32 vcc, s4, v0
	v_cmp_lt_u32_e64 s[4:5], 63, v0
	v_cmp_lt_u32_e64 s[6:7], s6, v0
	;; [unrolled: 1-line block ×15, first 2 shown]
	s_mov_b64 s[38:39], 0
	v_pk_mov_b32 v[6:7], 0, 0
	s_add_i32 s44, 0, 0x18008
	s_add_i32 s45, 0, 0x18010
	;; [unrolled: 1-line block ×14, first 2 shown]
	s_movk_i32 s68, 0xbff
	v_mov_b32_e32 v13, s67
	s_waitcnt lgkmcnt(0)
	s_barrier
	s_branch .LBB165_47
.LBB165_46:                             ;   in Loop: Header=BB165_47 Depth=1
	s_or_b64 exec, exec, s[36:37]
	s_waitcnt lgkmcnt(0)
	s_barrier
	ds_read_b64 v[8:9], v13
	v_add_u32_e32 v27, 0x400, v27
	v_add_u32_e32 v1, 0x4000, v1
	;; [unrolled: 1-line block ×3, first 2 shown]
	s_waitcnt lgkmcnt(0)
	v_add_co_u32_e64 v6, s[36:37], v8, v6
	v_addc_co_u32_e64 v7, s[36:37], v9, v7, s[36:37]
	v_cmp_lt_u32_e64 s[36:37], s68, v27
	s_or_b64 s[38:39], s[36:37], s[38:39]
	s_andn2_b64 exec, exec, s[38:39]
	s_cbranch_execz .LBB165_81
.LBB165_47:                             ; =>This Inner Loop Header: Depth=1
	ds_read2_b64 v[14:17], v1 offset1:1
	ds_read_b64 v[10:11], v30
	s_waitcnt lgkmcnt(1)
	buffer_store_dword v17, off, s[0:3], 0 offset:12
	buffer_store_dword v16, off, s[0:3], 0 offset:8
	;; [unrolled: 1-line block ×3, first 2 shown]
	buffer_store_dword v14, off, s[0:3], 0
	s_waitcnt lgkmcnt(0)
	v_cmp_gt_i64_e64 s[36:37], s[52:53], v[10:11]
	v_and_b32_e32 v9, s36, v4
	s_bcnt1_i32_b64 s40, s[36:37]
	v_and_b32_e32 v8, s37, v5
	v_bcnt_u32_b32 v9, v9, 0
	v_mov_b32_e32 v2, s40
	v_bcnt_u32_b32 v8, v8, v9
	s_barrier
	ds_write_b64 v12, v[2:3]
	s_waitcnt lgkmcnt(0)
	s_barrier
	s_and_saveexec_b64 s[40:41], s[4:5]
	s_cbranch_execnz .LBB165_64
; %bb.48:                               ;   in Loop: Header=BB165_47 Depth=1
	s_or_b64 exec, exec, s[40:41]
	s_and_saveexec_b64 s[40:41], s[6:7]
	s_cbranch_execnz .LBB165_65
.LBB165_49:                             ;   in Loop: Header=BB165_47 Depth=1
	s_or_b64 exec, exec, s[40:41]
	s_and_saveexec_b64 s[40:41], s[8:9]
	s_cbranch_execnz .LBB165_66
.LBB165_50:                             ;   in Loop: Header=BB165_47 Depth=1
	s_or_b64 exec, exec, s[40:41]
	s_and_saveexec_b64 s[40:41], s[10:11]
	s_cbranch_execnz .LBB165_67
.LBB165_51:                             ;   in Loop: Header=BB165_47 Depth=1
	s_or_b64 exec, exec, s[40:41]
	s_and_saveexec_b64 s[40:41], s[12:13]
	s_cbranch_execnz .LBB165_68
.LBB165_52:                             ;   in Loop: Header=BB165_47 Depth=1
	s_or_b64 exec, exec, s[40:41]
	s_and_saveexec_b64 s[40:41], s[14:15]
	s_cbranch_execnz .LBB165_69
.LBB165_53:                             ;   in Loop: Header=BB165_47 Depth=1
	s_or_b64 exec, exec, s[40:41]
	s_and_saveexec_b64 s[40:41], s[16:17]
	s_cbranch_execnz .LBB165_70
.LBB165_54:                             ;   in Loop: Header=BB165_47 Depth=1
	s_or_b64 exec, exec, s[40:41]
	s_and_saveexec_b64 s[40:41], s[18:19]
	s_cbranch_execnz .LBB165_71
.LBB165_55:                             ;   in Loop: Header=BB165_47 Depth=1
	s_or_b64 exec, exec, s[40:41]
	s_and_saveexec_b64 s[40:41], s[20:21]
	s_cbranch_execnz .LBB165_72
.LBB165_56:                             ;   in Loop: Header=BB165_47 Depth=1
	s_or_b64 exec, exec, s[40:41]
	s_and_saveexec_b64 s[40:41], s[22:23]
	s_cbranch_execnz .LBB165_73
.LBB165_57:                             ;   in Loop: Header=BB165_47 Depth=1
	s_or_b64 exec, exec, s[40:41]
	s_and_saveexec_b64 s[40:41], s[24:25]
	s_cbranch_execnz .LBB165_74
.LBB165_58:                             ;   in Loop: Header=BB165_47 Depth=1
	s_or_b64 exec, exec, s[40:41]
	s_and_saveexec_b64 s[40:41], s[26:27]
	s_cbranch_execnz .LBB165_75
.LBB165_59:                             ;   in Loop: Header=BB165_47 Depth=1
	s_or_b64 exec, exec, s[40:41]
	s_and_saveexec_b64 s[40:41], s[28:29]
	s_cbranch_execnz .LBB165_76
.LBB165_60:                             ;   in Loop: Header=BB165_47 Depth=1
	s_or_b64 exec, exec, s[40:41]
	s_and_saveexec_b64 s[40:41], s[30:31]
	s_cbranch_execnz .LBB165_77
.LBB165_61:                             ;   in Loop: Header=BB165_47 Depth=1
	s_or_b64 exec, exec, s[40:41]
	s_and_saveexec_b64 s[40:41], s[34:35]
	s_cbranch_execnz .LBB165_78
.LBB165_62:                             ;   in Loop: Header=BB165_47 Depth=1
	s_or_b64 exec, exec, s[40:41]
	v_ashrrev_i32_e32 v9, 31, v8
	s_and_saveexec_b64 s[40:41], s[36:37]
	s_cbranch_execnz .LBB165_79
.LBB165_63:                             ;   in Loop: Header=BB165_47 Depth=1
	s_or_b64 exec, exec, s[40:41]
	s_and_saveexec_b64 s[36:37], vcc
	s_cbranch_execz .LBB165_46
	s_branch .LBB165_80
.LBB165_64:                             ;   in Loop: Header=BB165_47 Depth=1
	v_mov_b32_e32 v2, s33
	ds_read_b32 v2, v2
	s_waitcnt lgkmcnt(0)
	v_add_u32_e32 v8, v2, v8
	s_or_b64 exec, exec, s[40:41]
	s_and_saveexec_b64 s[40:41], s[6:7]
	s_cbranch_execz .LBB165_49
.LBB165_65:                             ;   in Loop: Header=BB165_47 Depth=1
	v_mov_b32_e32 v2, s44
	ds_read_b32 v2, v2
	s_waitcnt lgkmcnt(0)
	v_add_u32_e32 v8, v8, v2
	s_or_b64 exec, exec, s[40:41]
	s_and_saveexec_b64 s[40:41], s[8:9]
	s_cbranch_execz .LBB165_50
.LBB165_66:                             ;   in Loop: Header=BB165_47 Depth=1
	v_mov_b32_e32 v2, s45
	ds_read_b32 v2, v2
	s_waitcnt lgkmcnt(0)
	v_add_u32_e32 v8, v8, v2
	s_or_b64 exec, exec, s[40:41]
	s_and_saveexec_b64 s[40:41], s[10:11]
	s_cbranch_execz .LBB165_51
.LBB165_67:                             ;   in Loop: Header=BB165_47 Depth=1
	v_mov_b32_e32 v2, s47
	ds_read_b32 v2, v2
	s_waitcnt lgkmcnt(0)
	v_add_u32_e32 v8, v8, v2
	s_or_b64 exec, exec, s[40:41]
	s_and_saveexec_b64 s[40:41], s[12:13]
	s_cbranch_execz .LBB165_52
.LBB165_68:                             ;   in Loop: Header=BB165_47 Depth=1
	v_mov_b32_e32 v2, s56
	ds_read_b32 v2, v2
	s_waitcnt lgkmcnt(0)
	v_add_u32_e32 v8, v8, v2
	s_or_b64 exec, exec, s[40:41]
	s_and_saveexec_b64 s[40:41], s[14:15]
	s_cbranch_execz .LBB165_53
.LBB165_69:                             ;   in Loop: Header=BB165_47 Depth=1
	v_mov_b32_e32 v2, s57
	ds_read_b32 v2, v2
	s_waitcnt lgkmcnt(0)
	v_add_u32_e32 v8, v8, v2
	s_or_b64 exec, exec, s[40:41]
	s_and_saveexec_b64 s[40:41], s[16:17]
	s_cbranch_execz .LBB165_54
.LBB165_70:                             ;   in Loop: Header=BB165_47 Depth=1
	v_mov_b32_e32 v2, s58
	ds_read_b32 v2, v2
	s_waitcnt lgkmcnt(0)
	v_add_u32_e32 v8, v8, v2
	s_or_b64 exec, exec, s[40:41]
	s_and_saveexec_b64 s[40:41], s[18:19]
	s_cbranch_execz .LBB165_55
.LBB165_71:                             ;   in Loop: Header=BB165_47 Depth=1
	v_mov_b32_e32 v2, s59
	ds_read_b32 v2, v2
	s_waitcnt lgkmcnt(0)
	v_add_u32_e32 v8, v8, v2
	s_or_b64 exec, exec, s[40:41]
	s_and_saveexec_b64 s[40:41], s[20:21]
	s_cbranch_execz .LBB165_56
.LBB165_72:                             ;   in Loop: Header=BB165_47 Depth=1
	v_mov_b32_e32 v2, s60
	ds_read_b32 v2, v2
	s_waitcnt lgkmcnt(0)
	v_add_u32_e32 v8, v8, v2
	s_or_b64 exec, exec, s[40:41]
	s_and_saveexec_b64 s[40:41], s[22:23]
	s_cbranch_execz .LBB165_57
.LBB165_73:                             ;   in Loop: Header=BB165_47 Depth=1
	v_mov_b32_e32 v2, s61
	ds_read_b32 v2, v2
	s_waitcnt lgkmcnt(0)
	v_add_u32_e32 v8, v8, v2
	s_or_b64 exec, exec, s[40:41]
	s_and_saveexec_b64 s[40:41], s[24:25]
	s_cbranch_execz .LBB165_58
.LBB165_74:                             ;   in Loop: Header=BB165_47 Depth=1
	v_mov_b32_e32 v2, s62
	ds_read_b32 v2, v2
	s_waitcnt lgkmcnt(0)
	v_add_u32_e32 v8, v8, v2
	s_or_b64 exec, exec, s[40:41]
	s_and_saveexec_b64 s[40:41], s[26:27]
	s_cbranch_execz .LBB165_59
.LBB165_75:                             ;   in Loop: Header=BB165_47 Depth=1
	v_mov_b32_e32 v2, s63
	ds_read_b32 v2, v2
	s_waitcnt lgkmcnt(0)
	v_add_u32_e32 v8, v8, v2
	s_or_b64 exec, exec, s[40:41]
	s_and_saveexec_b64 s[40:41], s[28:29]
	s_cbranch_execz .LBB165_60
.LBB165_76:                             ;   in Loop: Header=BB165_47 Depth=1
	v_mov_b32_e32 v2, s64
	ds_read_b32 v2, v2
	s_waitcnt lgkmcnt(0)
	v_add_u32_e32 v8, v8, v2
	s_or_b64 exec, exec, s[40:41]
	s_and_saveexec_b64 s[40:41], s[30:31]
	s_cbranch_execz .LBB165_61
.LBB165_77:                             ;   in Loop: Header=BB165_47 Depth=1
	v_mov_b32_e32 v2, s65
	ds_read_b32 v2, v2
	s_waitcnt lgkmcnt(0)
	v_add_u32_e32 v8, v8, v2
	s_or_b64 exec, exec, s[40:41]
	s_and_saveexec_b64 s[40:41], s[34:35]
	s_cbranch_execz .LBB165_62
.LBB165_78:                             ;   in Loop: Header=BB165_47 Depth=1
	v_mov_b32_e32 v2, s66
	ds_read_b32 v2, v2
	s_waitcnt lgkmcnt(0)
	v_add_u32_e32 v8, v8, v2
	s_or_b64 exec, exec, s[40:41]
	v_ashrrev_i32_e32 v9, 31, v8
	s_and_saveexec_b64 s[40:41], s[36:37]
	s_cbranch_execz .LBB165_63
.LBB165_79:                             ;   in Loop: Header=BB165_47 Depth=1
	buffer_load_dword v14, off, s[0:3], 0
	buffer_load_dword v15, off, s[0:3], 0 offset:4
	buffer_load_dword v16, off, s[0:3], 0 offset:8
	;; [unrolled: 1-line block ×3, first 2 shown]
	v_add3_u32 v2, v6, -1, v8
	v_lshl_add_u32 v18, v2, 3, 0
	v_lshl_add_u32 v2, v2, 4, 0
	v_add_u32_e32 v2, 0x8000, v2
	ds_write_b64 v18, v[10:11]
	s_waitcnt vmcnt(0)
	ds_write2_b64 v2, v[14:15], v[16:17] offset1:1
	s_or_b64 exec, exec, s[40:41]
	s_and_saveexec_b64 s[36:37], vcc
	s_cbranch_execz .LBB165_46
.LBB165_80:                             ;   in Loop: Header=BB165_47 Depth=1
	v_mov_b32_e32 v2, s67
	ds_write_b64 v2, v[8:9]
	s_branch .LBB165_46
.LBB165_81:
	s_or_b64 exec, exec, s[38:39]
	s_lshl_b64 s[4:5], s[54:55], 3
	s_add_u32 s4, s42, s4
	s_addc_u32 s5, s43, s5
	s_load_dwordx4 s[4:7], s[4:5], 0x0
	v_mov_b32_e32 v1, 0
	s_waitcnt lgkmcnt(0)
	s_sub_u32 s8, s6, s4
	s_subb_u32 s9, s7, s5
	v_cmp_gt_i64_e32 vcc, s[8:9], v[0:1]
	s_and_saveexec_b64 s[10:11], vcc
	s_cbranch_execz .LBB165_91
; %bb.82:
	s_sub_u32 s10, s4, s46
	s_subb_u32 s11, s5, 0
	s_and_b32 s12, s8, 7
	s_sub_u32 s4, s4, s6
	s_mov_b32 s20, 0
	s_subb_u32 s5, s5, s7
	s_mov_b32 s13, s20
	s_and_b32 s6, s8, -8
	v_cmp_lt_u64_e64 s[4:5], s[4:5], -7
	s_cmp_lg_u64 s[12:13], 0
	v_cndmask_b32_e64 v2, 0, 1, s[4:5]
	s_mov_b32 s7, s9
	s_mov_b64 s[14:15], 0
	s_cselect_b64 s[16:17], -1, 0
	v_cmp_ne_u32_e64 s[4:5], 1, v2
	s_mov_b32 s21, 0x8000
	s_branch .LBB165_84
.LBB165_83:                             ;   in Loop: Header=BB165_84 Depth=1
	v_lshlrev_b32_e32 v7, 3, v0
	v_add3_u32 v8, v6, v7, s21
	v_mov_b32_e32 v6, s20
	s_waitcnt lgkmcnt(0)
	v_add_co_u32_e32 v2, vcc, s46, v2
	v_addc_co_u32_e32 v3, vcc, v3, v6, vcc
	v_lshlrev_b64 v[6:7], 3, v[4:5]
	v_mov_b32_e32 v9, s49
	v_add_co_u32_e32 v6, vcc, s48, v6
	v_addc_co_u32_e32 v7, vcc, v9, v7, vcc
	global_store_dwordx2 v[6:7], v[2:3], off
	v_lshlrev_b64 v[2:3], 4, v[4:5]
	v_mov_b32_e32 v4, s51
	v_add_co_u32_e32 v6, vcc, s50, v2
	v_addc_co_u32_e32 v7, vcc, v4, v3, vcc
	ds_read2_b64 v[2:5], v8 offset1:1
	v_add_co_u32_e32 v0, vcc, 0x400, v0
	v_addc_co_u32_e32 v1, vcc, 0, v1, vcc
	v_cmp_le_i64_e32 vcc, s[8:9], v[0:1]
	s_or_b64 s[14:15], vcc, s[14:15]
	s_waitcnt lgkmcnt(0)
	global_store_dwordx4 v[6:7], v[2:5], off
	s_andn2_b64 exec, exec, s[14:15]
	s_cbranch_execz .LBB165_91
.LBB165_84:                             ; =>This Loop Header: Depth=1
                                        ;     Child Loop BB165_86 Depth 2
                                        ;     Child Loop BB165_90 Depth 2
	v_lshl_add_u32 v6, v0, 3, 0
	ds_read_b64 v[2:3], v6
	s_and_b64 vcc, exec, s[4:5]
	v_pk_mov_b32 v[4:5], s[10:11], s[10:11] op_sel:[0,1]
	s_mov_b64 s[18:19], 0
	s_cbranch_vccnz .LBB165_88
; %bb.85:                               ;   in Loop: Header=BB165_84 Depth=1
	s_mov_b32 s22, 0
	v_pk_mov_b32 v[4:5], s[10:11], s[10:11] op_sel:[0,1]
.LBB165_86:                             ;   Parent Loop BB165_84 Depth=1
                                        ; =>  This Inner Loop Header: Depth=2
	v_mov_b32_e32 v7, s22
	ds_read2_b64 v[8:11], v7 offset1:1
	ds_read2_b64 v[12:15], v7 offset0:2 offset1:3
	ds_read2_b64 v[16:19], v7 offset0:4 offset1:5
	;; [unrolled: 1-line block ×3, first 2 shown]
	s_add_u32 s18, s18, 8
	s_waitcnt lgkmcnt(3)
	v_cmp_gt_i64_e32 vcc, v[2:3], v[8:9]
	v_cndmask_b32_e64 v7, 0, 1, vcc
	v_cmp_gt_i64_e32 vcc, v[2:3], v[10:11]
	v_cndmask_b32_e64 v8, 0, 1, vcc
	s_waitcnt lgkmcnt(2)
	v_cmp_gt_i64_e32 vcc, v[2:3], v[12:13]
	v_cndmask_b32_e64 v9, 0, 1, vcc
	v_cmp_gt_i64_e32 vcc, v[2:3], v[14:15]
	v_cndmask_b32_e64 v10, 0, 1, vcc
	;; [unrolled: 5-line block ×4, first 2 shown]
	v_add_co_u32_e32 v4, vcc, v4, v7
	v_addc_co_u32_e32 v5, vcc, 0, v5, vcc
	v_add_co_u32_e32 v4, vcc, v4, v8
	v_addc_co_u32_e32 v5, vcc, 0, v5, vcc
	;; [unrolled: 2-line block ×7, first 2 shown]
	s_addc_u32 s19, s19, 0
	s_add_i32 s22, s22, 64
	v_add_co_u32_e32 v4, vcc, v4, v14
	s_cmp_eq_u64 s[6:7], s[18:19]
	v_addc_co_u32_e32 v5, vcc, 0, v5, vcc
	s_cbranch_scc0 .LBB165_86
; %bb.87:                               ;   in Loop: Header=BB165_84 Depth=1
	s_mov_b64 s[18:19], s[6:7]
.LBB165_88:                             ;   in Loop: Header=BB165_84 Depth=1
	s_andn2_b64 vcc, exec, s[16:17]
	s_cbranch_vccnz .LBB165_83
; %bb.89:                               ;   in Loop: Header=BB165_84 Depth=1
	s_lshl_b32 s18, s18, 3
	s_add_i32 s22, s18, 0
	s_mov_b64 s[18:19], s[12:13]
.LBB165_90:                             ;   Parent Loop BB165_84 Depth=1
                                        ; =>  This Inner Loop Header: Depth=2
	v_mov_b32_e32 v7, s22
	ds_read_b64 v[8:9], v7
	s_add_i32 s22, s22, 8
	s_add_u32 s18, s18, -1
	s_addc_u32 s19, s19, -1
	s_cmp_lg_u64 s[18:19], 0
	s_waitcnt lgkmcnt(0)
	v_cmp_gt_i64_e32 vcc, v[2:3], v[8:9]
	v_cndmask_b32_e64 v7, 0, 1, vcc
	v_add_co_u32_e32 v4, vcc, v4, v7
	v_addc_co_u32_e32 v5, vcc, 0, v5, vcc
	s_cbranch_scc1 .LBB165_90
	s_branch .LBB165_83
.LBB165_91:
	s_endpgm
	.section	.rodata,"a",@progbits
	.p2align	6, 0x0
	.amdhsa_kernel _ZN9rocsparseL26csrgemm_fill_block_per_rowILj1024ELj64ELj4096ELj137ELj64Ell21rocsparse_complex_numIdEEEvT5_PKS3_S5_NS_24const_host_device_scalarIT6_EEPKT4_S5_PKS7_SB_S5_SD_S8_SB_S5_SD_SB_PS3_PS7_21rocsparse_index_base_SG_SG_SG_bbb
		.amdhsa_group_segment_fixed_size 0
		.amdhsa_private_segment_fixed_size 40
		.amdhsa_kernarg_size 172
		.amdhsa_user_sgpr_count 8
		.amdhsa_user_sgpr_private_segment_buffer 1
		.amdhsa_user_sgpr_dispatch_ptr 0
		.amdhsa_user_sgpr_queue_ptr 0
		.amdhsa_user_sgpr_kernarg_segment_ptr 1
		.amdhsa_user_sgpr_dispatch_id 0
		.amdhsa_user_sgpr_flat_scratch_init 1
		.amdhsa_user_sgpr_kernarg_preload_length 0
		.amdhsa_user_sgpr_kernarg_preload_offset 0
		.amdhsa_user_sgpr_private_segment_size 0
		.amdhsa_uses_dynamic_stack 0
		.amdhsa_system_sgpr_private_segment_wavefront_offset 1
		.amdhsa_system_sgpr_workgroup_id_x 1
		.amdhsa_system_sgpr_workgroup_id_y 0
		.amdhsa_system_sgpr_workgroup_id_z 0
		.amdhsa_system_sgpr_workgroup_info 0
		.amdhsa_system_vgpr_workitem_id 0
		.amdhsa_next_free_vgpr 42
		.amdhsa_next_free_sgpr 69
		.amdhsa_accum_offset 44
		.amdhsa_reserve_vcc 1
		.amdhsa_reserve_flat_scratch 1
		.amdhsa_float_round_mode_32 0
		.amdhsa_float_round_mode_16_64 0
		.amdhsa_float_denorm_mode_32 3
		.amdhsa_float_denorm_mode_16_64 3
		.amdhsa_dx10_clamp 1
		.amdhsa_ieee_mode 1
		.amdhsa_fp16_overflow 0
		.amdhsa_tg_split 0
		.amdhsa_exception_fp_ieee_invalid_op 0
		.amdhsa_exception_fp_denorm_src 0
		.amdhsa_exception_fp_ieee_div_zero 0
		.amdhsa_exception_fp_ieee_overflow 0
		.amdhsa_exception_fp_ieee_underflow 0
		.amdhsa_exception_fp_ieee_inexact 0
		.amdhsa_exception_int_div_zero 0
	.end_amdhsa_kernel
	.section	.text._ZN9rocsparseL26csrgemm_fill_block_per_rowILj1024ELj64ELj4096ELj137ELj64Ell21rocsparse_complex_numIdEEEvT5_PKS3_S5_NS_24const_host_device_scalarIT6_EEPKT4_S5_PKS7_SB_S5_SD_S8_SB_S5_SD_SB_PS3_PS7_21rocsparse_index_base_SG_SG_SG_bbb,"axG",@progbits,_ZN9rocsparseL26csrgemm_fill_block_per_rowILj1024ELj64ELj4096ELj137ELj64Ell21rocsparse_complex_numIdEEEvT5_PKS3_S5_NS_24const_host_device_scalarIT6_EEPKT4_S5_PKS7_SB_S5_SD_S8_SB_S5_SD_SB_PS3_PS7_21rocsparse_index_base_SG_SG_SG_bbb,comdat
.Lfunc_end165:
	.size	_ZN9rocsparseL26csrgemm_fill_block_per_rowILj1024ELj64ELj4096ELj137ELj64Ell21rocsparse_complex_numIdEEEvT5_PKS3_S5_NS_24const_host_device_scalarIT6_EEPKT4_S5_PKS7_SB_S5_SD_S8_SB_S5_SD_SB_PS3_PS7_21rocsparse_index_base_SG_SG_SG_bbb, .Lfunc_end165-_ZN9rocsparseL26csrgemm_fill_block_per_rowILj1024ELj64ELj4096ELj137ELj64Ell21rocsparse_complex_numIdEEEvT5_PKS3_S5_NS_24const_host_device_scalarIT6_EEPKT4_S5_PKS7_SB_S5_SD_S8_SB_S5_SD_SB_PS3_PS7_21rocsparse_index_base_SG_SG_SG_bbb
                                        ; -- End function
	.section	.AMDGPU.csdata,"",@progbits
; Kernel info:
; codeLenInByte = 3812
; NumSgprs: 75
; NumVgprs: 42
; NumAgprs: 0
; TotalNumVgprs: 42
; ScratchSize: 40
; MemoryBound: 0
; FloatMode: 240
; IeeeMode: 1
; LDSByteSize: 0 bytes/workgroup (compile time only)
; SGPRBlocks: 9
; VGPRBlocks: 5
; NumSGPRsForWavesPerEU: 75
; NumVGPRsForWavesPerEU: 42
; AccumOffset: 44
; Occupancy: 8
; WaveLimiterHint : 1
; COMPUTE_PGM_RSRC2:SCRATCH_EN: 1
; COMPUTE_PGM_RSRC2:USER_SGPR: 8
; COMPUTE_PGM_RSRC2:TRAP_HANDLER: 0
; COMPUTE_PGM_RSRC2:TGID_X_EN: 1
; COMPUTE_PGM_RSRC2:TGID_Y_EN: 0
; COMPUTE_PGM_RSRC2:TGID_Z_EN: 0
; COMPUTE_PGM_RSRC2:TIDIG_COMP_CNT: 0
; COMPUTE_PGM_RSRC3_GFX90A:ACCUM_OFFSET: 10
; COMPUTE_PGM_RSRC3_GFX90A:TG_SPLIT: 0
	.section	.text._ZN9rocsparseL26csrgemm_fill_block_per_rowILj1024ELj64ELj8192ELj137ELj32Ell21rocsparse_complex_numIdEEEvT5_PKS3_S5_NS_24const_host_device_scalarIT6_EEPKT4_S5_PKS7_SB_S5_SD_S8_SB_S5_SD_SB_PS3_PS7_21rocsparse_index_base_SG_SG_SG_bbb,"axG",@progbits,_ZN9rocsparseL26csrgemm_fill_block_per_rowILj1024ELj64ELj8192ELj137ELj32Ell21rocsparse_complex_numIdEEEvT5_PKS3_S5_NS_24const_host_device_scalarIT6_EEPKT4_S5_PKS7_SB_S5_SD_S8_SB_S5_SD_SB_PS3_PS7_21rocsparse_index_base_SG_SG_SG_bbb,comdat
	.globl	_ZN9rocsparseL26csrgemm_fill_block_per_rowILj1024ELj64ELj8192ELj137ELj32Ell21rocsparse_complex_numIdEEEvT5_PKS3_S5_NS_24const_host_device_scalarIT6_EEPKT4_S5_PKS7_SB_S5_SD_S8_SB_S5_SD_SB_PS3_PS7_21rocsparse_index_base_SG_SG_SG_bbb ; -- Begin function _ZN9rocsparseL26csrgemm_fill_block_per_rowILj1024ELj64ELj8192ELj137ELj32Ell21rocsparse_complex_numIdEEEvT5_PKS3_S5_NS_24const_host_device_scalarIT6_EEPKT4_S5_PKS7_SB_S5_SD_S8_SB_S5_SD_SB_PS3_PS7_21rocsparse_index_base_SG_SG_SG_bbb
	.p2align	8
	.type	_ZN9rocsparseL26csrgemm_fill_block_per_rowILj1024ELj64ELj8192ELj137ELj32Ell21rocsparse_complex_numIdEEEvT5_PKS3_S5_NS_24const_host_device_scalarIT6_EEPKT4_S5_PKS7_SB_S5_SD_S8_SB_S5_SD_SB_PS3_PS7_21rocsparse_index_base_SG_SG_SG_bbb,@function
_ZN9rocsparseL26csrgemm_fill_block_per_rowILj1024ELj64ELj8192ELj137ELj32Ell21rocsparse_complex_numIdEEEvT5_PKS3_S5_NS_24const_host_device_scalarIT6_EEPKT4_S5_PKS7_SB_S5_SD_S8_SB_S5_SD_SB_PS3_PS7_21rocsparse_index_base_SG_SG_SG_bbb: ; @_ZN9rocsparseL26csrgemm_fill_block_per_rowILj1024ELj64ELj8192ELj137ELj32Ell21rocsparse_complex_numIdEEEvT5_PKS3_S5_NS_24const_host_device_scalarIT6_EEPKT4_S5_PKS7_SB_S5_SD_S8_SB_S5_SD_SB_PS3_PS7_21rocsparse_index_base_SG_SG_SG_bbb
; %bb.0:
	s_add_u32 flat_scratch_lo, s6, s9
	s_addc_u32 flat_scratch_hi, s7, 0
	s_add_u32 s0, s0, s9
	s_load_dword s9, s[4:5], 0xa8
	s_load_dwordx8 s[12:19], s[4:5], 0x8
	s_load_dwordx4 s[44:47], s[4:5], 0x98
	s_load_dwordx4 s[20:23], s[4:5], 0x58
	s_addc_u32 s1, s1, 0
	v_pk_mov_b32 v[2:3], 0, 0
	s_waitcnt lgkmcnt(0)
	s_bitcmp1_b32 s9, 0
	v_mov_b32_e32 v1, s17
	s_cselect_b64 s[24:25], -1, 0
	s_bitcmp1_b32 s9, 16
	buffer_store_dword v1, off, s[0:3], 0 offset:20
	v_mov_b32_e32 v1, s16
	s_cselect_b64 s[6:7], -1, 0
	buffer_store_dword v1, off, s[0:3], 0 offset:16
	v_mov_b32_e32 v1, s21
	buffer_store_dword v1, off, s[0:3], 0 offset:28
	v_mov_b32_e32 v1, s20
	s_xor_b64 s[10:11], s[6:7], -1
	buffer_store_dword v1, off, s[0:3], 0 offset:24
	v_cndmask_b32_e64 v1, 0, 1, s[10:11]
	s_bitcmp0_b32 s9, 0
	v_cmp_ne_u32_e64 s[10:11], 1, v1
	v_pk_mov_b32 v[6:7], v[2:3], v[2:3] op_sel:[0,1]
	v_pk_mov_b32 v[8:9], v[2:3], v[2:3] op_sel:[0,1]
	s_cbranch_scc1 .LBB166_3
; %bb.1:
	s_mov_b64 s[26:27], src_private_base
	s_and_b64 s[28:29], s[6:7], exec
	s_cselect_b32 s26, s27, s17
	v_mov_b32_e32 v1, 16
	v_mov_b32_e32 v4, s16
	v_cndmask_b32_e64 v4, v4, v1, s[6:7]
	v_mov_b32_e32 v5, s26
	flat_load_dwordx2 v[6:7], v[4:5]
	s_and_b64 vcc, exec, s[10:11]
	v_pk_mov_b32 v[8:9], s[18:19], s[18:19] op_sel:[0,1]
	s_cbranch_vccnz .LBB166_3
; %bb.2:
	v_pk_mov_b32 v[4:5], s[16:17], s[16:17] op_sel:[0,1]
	flat_load_dwordx2 v[8:9], v[4:5] offset:8
.LBB166_3:
	s_bitcmp1_b32 s9, 8
	s_cselect_b64 s[16:17], -1, 0
	s_bfe_u32 s9, s9, 0x10008
	s_cmp_eq_u32 s9, 0
	v_pk_mov_b32 v[4:5], v[2:3], v[2:3] op_sel:[0,1]
	s_cbranch_scc1 .LBB166_6
; %bb.4:
	s_mov_b64 s[18:19], src_private_base
	s_and_b64 s[26:27], s[6:7], exec
	s_cselect_b32 s9, s19, s21
	v_mov_b32_e32 v1, 24
	v_mov_b32_e32 v2, s20
	v_cndmask_b32_e64 v2, v2, v1, s[6:7]
	v_mov_b32_e32 v3, s9
	flat_load_dwordx2 v[4:5], v[2:3]
	s_and_b64 vcc, exec, s[10:11]
	v_pk_mov_b32 v[2:3], s[22:23], s[22:23] op_sel:[0,1]
	s_cbranch_vccnz .LBB166_6
; %bb.5:
	v_pk_mov_b32 v[2:3], s[20:21], s[20:21] op_sel:[0,1]
	flat_load_dwordx2 v[2:3], v[2:3] offset:8
.LBB166_6:
	s_load_dwordx2 s[76:77], s[4:5], 0x0
	s_mov_b32 s27, 0
	v_lshl_add_u32 v27, v0, 4, 0
	v_lshl_add_u32 v1, v0, 3, 0
	v_add_u32_e32 v18, 0x10000, v27
	s_waitcnt lgkmcnt(0)
	v_pk_mov_b32 v[10:11], s[76:77], s[76:77] op_sel:[0,1]
	s_mov_b32 s26, s27
	s_mov_b32 s6, s27
	;; [unrolled: 1-line block ×3, first 2 shown]
	v_pk_mov_b32 v[16:17], s[76:77], s[76:77] op_sel:[0,1]
	v_pk_mov_b32 v[12:13], s[26:27], s[26:27] op_sel:[0,1]
	;; [unrolled: 1-line block ×3, first 2 shown]
	ds_write2st64_b64 v1, v[10:11], v[16:17] offset1:16
	v_add_u32_e32 v10, 0x4000, v18
	v_add_u32_e32 v16, 0x8000, v18
	ds_write2_b64 v10, v[12:13], v[14:15] offset1:1
	v_pk_mov_b32 v[10:11], s[76:77], s[76:77] op_sel:[0,1]
	ds_write2_b64 v16, v[12:13], v[14:15] offset1:1
	v_pk_mov_b32 v[16:17], s[76:77], s[76:77] op_sel:[0,1]
	ds_write2st64_b64 v1, v[10:11], v[16:17] offset0:32 offset1:48
	v_add_u32_e32 v10, 0xc000, v18
	v_add_u32_e32 v16, 0x20000, v27
	ds_write2_b64 v10, v[12:13], v[14:15] offset1:1
	v_pk_mov_b32 v[10:11], s[76:77], s[76:77] op_sel:[0,1]
	ds_write2_b64 v16, v[12:13], v[14:15] offset1:1
	v_pk_mov_b32 v[16:17], s[76:77], s[76:77] op_sel:[0,1]
	ds_write2st64_b64 v1, v[10:11], v[16:17] offset0:64 offset1:80
	v_add_u32_e32 v10, 0x24000, v27
	v_add_u32_e32 v16, 0x28000, v27
	ds_write2_b64 v10, v[12:13], v[14:15] offset1:1
	v_pk_mov_b32 v[10:11], s[76:77], s[76:77] op_sel:[0,1]
	ds_write2_b64 v16, v[12:13], v[14:15] offset1:1
	v_pk_mov_b32 v[16:17], s[76:77], s[76:77] op_sel:[0,1]
	ds_write2st64_b64 v1, v[10:11], v[16:17] offset0:96 offset1:112
	v_add_u32_e32 v10, 0x2c000, v27
	ds_write2_b64 v18, v[12:13], v[14:15] offset1:1
	ds_write2_b64 v10, v[12:13], v[14:15] offset1:1
	s_waitcnt lgkmcnt(0)
	s_barrier
	s_load_dwordx2 s[6:7], s[12:13], 0x0
	s_mov_b32 s9, s27
	s_waitcnt lgkmcnt(0)
	s_lshl_b64 s[6:7], s[6:7], 3
	s_add_u32 s10, s14, s6
	s_addc_u32 s11, s15, s7
	s_lshl_b64 s[6:7], s[8:9], 3
	s_add_u32 s6, s10, s6
	s_addc_u32 s7, s11, s7
	s_load_dwordx2 s[48:49], s[6:7], 0x0
	s_andn2_b64 vcc, exec, s[24:25]
	s_cbranch_vccnz .LBB166_26
; %bb.7:
	s_load_dwordx2 s[6:7], s[4:5], 0x28
	s_waitcnt lgkmcnt(0)
	s_lshl_b64 s[8:9], s[48:49], 3
	v_lshrrev_b32_e32 v10, 6, v0
	v_subrev_co_u32_e32 v10, vcc, s44, v10
	s_add_u32 s6, s6, s8
	s_addc_u32 s7, s7, s9
	s_load_dwordx4 s[8:11], s[6:7], 0x0
	v_subb_co_u32_e64 v11, s[6:7], 0, 0, vcc
	s_waitcnt lgkmcnt(0)
	s_sub_u32 s6, s10, s44
	v_mov_b32_e32 v12, s9
	v_add_co_u32_e32 v10, vcc, s8, v10
	s_subb_u32 s7, s11, 0
	v_addc_co_u32_e32 v11, vcc, v12, v11, vcc
	v_cmp_gt_i64_e32 vcc, s[6:7], v[10:11]
	s_and_saveexec_b64 s[18:19], vcc
	s_cbranch_execz .LBB166_25
; %bb.8:
	s_load_dwordx2 s[20:21], s[4:5], 0x50
	s_load_dwordx8 s[8:15], s[4:5], 0x30
	v_and_b32_e32 v12, 63, v0
	v_subrev_co_u32_e32 v30, vcc, s45, v12
	s_mov_b32 s24, 0
	v_subb_co_u32_e64 v31, s[22:23], 0, 0, vcc
	s_mov_b32 s33, s44
	s_mov_b32 s42, s45
	s_mov_b64 s[22:23], 0
	s_waitcnt lgkmcnt(0)
	v_mov_b32_e32 v32, s9
	v_mov_b32_e32 v33, s27
	v_mov_b32_e32 v34, s13
	v_mov_b32_e32 v35, s24
	s_movk_i32 s9, 0x89
	s_branch .LBB166_10
.LBB166_9:                              ;   in Loop: Header=BB166_10 Depth=1
	s_or_b64 exec, exec, s[24:25]
	v_add_co_u32_e32 v10, vcc, 16, v10
	v_addc_co_u32_e32 v11, vcc, 0, v11, vcc
	v_cmp_le_i64_e32 vcc, s[6:7], v[10:11]
	s_or_b64 s[22:23], vcc, s[22:23]
	s_andn2_b64 exec, exec, s[22:23]
	s_cbranch_execz .LBB166_25
.LBB166_10:                             ; =>This Loop Header: Depth=1
                                        ;     Child Loop BB166_13 Depth 2
                                        ;       Child Loop BB166_15 Depth 3
	v_lshlrev_b64 v[12:13], 3, v[10:11]
	v_add_co_u32_e32 v12, vcc, s8, v12
	v_addc_co_u32_e32 v13, vcc, v32, v13, vcc
	global_load_dwordx2 v[12:13], v[12:13], off
	s_waitcnt vmcnt(0)
	v_subrev_co_u32_e32 v12, vcc, s33, v12
	v_subb_co_u32_e32 v13, vcc, v13, v33, vcc
	v_lshlrev_b64 v[12:13], 3, v[12:13]
	v_add_co_u32_e32 v12, vcc, s12, v12
	v_addc_co_u32_e32 v13, vcc, v34, v13, vcc
	global_load_dwordx4 v[14:17], v[12:13], off
	s_waitcnt vmcnt(0)
	v_subrev_co_u32_e32 v12, vcc, s42, v16
	v_subb_co_u32_e32 v13, vcc, v17, v35, vcc
	v_add_co_u32_e32 v14, vcc, v14, v30
	v_addc_co_u32_e32 v15, vcc, v15, v31, vcc
	v_cmp_lt_i64_e32 vcc, v[14:15], v[12:13]
	s_and_saveexec_b64 s[24:25], vcc
	s_cbranch_execz .LBB166_9
; %bb.11:                               ;   in Loop: Header=BB166_10 Depth=1
	v_lshlrev_b64 v[16:17], 4, v[10:11]
	v_mov_b32_e32 v18, s11
	v_add_co_u32_e32 v16, vcc, s10, v16
	v_addc_co_u32_e32 v17, vcc, v18, v17, vcc
	global_load_dwordx4 v[20:23], v[16:17], off
	s_mov_b64 s[26:27], 0
	s_waitcnt vmcnt(0)
	v_mul_f64 v[16:17], v[22:23], -v[8:9]
	v_mul_f64 v[18:19], v[6:7], v[22:23]
	v_fmac_f64_e32 v[16:17], v[6:7], v[20:21]
	v_fmac_f64_e32 v[18:19], v[8:9], v[20:21]
	s_branch .LBB166_13
.LBB166_12:                             ;   in Loop: Header=BB166_13 Depth=2
	s_or_b64 exec, exec, s[28:29]
	v_add_co_u32_e32 v14, vcc, 64, v14
	v_addc_co_u32_e32 v15, vcc, 0, v15, vcc
	v_cmp_ge_i64_e32 vcc, v[14:15], v[12:13]
	s_or_b64 s[26:27], vcc, s[26:27]
	s_andn2_b64 exec, exec, s[26:27]
	s_cbranch_execz .LBB166_9
.LBB166_13:                             ;   Parent Loop BB166_10 Depth=1
                                        ; =>  This Loop Header: Depth=2
                                        ;       Child Loop BB166_15 Depth 3
	v_lshlrev_b64 v[20:21], 3, v[14:15]
	v_mov_b32_e32 v22, s15
	v_add_co_u32_e32 v20, vcc, s14, v20
	v_addc_co_u32_e32 v21, vcc, v22, v21, vcc
	v_lshlrev_b64 v[22:23], 4, v[14:15]
	v_mov_b32_e32 v24, s21
	v_add_co_u32_e32 v22, vcc, s20, v22
	global_load_dwordx2 v[20:21], v[20:21], off
	v_addc_co_u32_e32 v23, vcc, v24, v23, vcc
	global_load_dwordx4 v[36:39], v[22:23], off
	s_mov_b64 s[28:29], 0
	s_waitcnt vmcnt(1)
	v_subrev_co_u32_e32 v20, vcc, s42, v20
	v_mul_lo_u32 v26, v20, s9
	s_waitcnt vmcnt(0)
	v_mul_f64 v[22:23], v[38:39], -v[18:19]
	v_mul_f64 v[24:25], v[16:17], v[38:39]
	v_subb_co_u32_e32 v21, vcc, v21, v35, vcc
	v_fmac_f64_e32 v[22:23], v[16:17], v[36:37]
	v_fmac_f64_e32 v[24:25], v[18:19], v[36:37]
	v_and_b32_e32 v26, 0x1fff, v26
	s_branch .LBB166_15
.LBB166_14:                             ;   in Loop: Header=BB166_15 Depth=3
	s_or_b64 exec, exec, s[30:31]
	s_xor_b64 s[30:31], s[34:35], -1
	s_and_b64 s[30:31], exec, s[30:31]
	s_or_b64 s[28:29], s[30:31], s[28:29]
	s_andn2_b64 exec, exec, s[28:29]
	s_cbranch_execz .LBB166_12
.LBB166_15:                             ;   Parent Loop BB166_10 Depth=1
                                        ;     Parent Loop BB166_13 Depth=2
                                        ; =>    This Inner Loop Header: Depth=3
	v_lshl_add_u32 v36, v26, 3, 0
	ds_read_b64 v[28:29], v36
                                        ; implicit-def: $sgpr34_sgpr35
	s_waitcnt lgkmcnt(0)
	v_cmp_ne_u64_e32 vcc, v[28:29], v[20:21]
	s_and_saveexec_b64 s[30:31], vcc
	s_xor_b64 s[30:31], exec, s[30:31]
	s_cbranch_execz .LBB166_23
; %bb.16:                               ;   in Loop: Header=BB166_15 Depth=3
	v_cmp_ne_u64_e32 vcc, s[76:77], v[28:29]
                                        ; implicit-def: $sgpr34_sgpr35
	s_and_saveexec_b64 s[36:37], vcc
	s_xor_b64 s[36:37], exec, s[36:37]
; %bb.17:                               ;   in Loop: Header=BB166_15 Depth=3
	v_add_u32_e32 v26, 1, v26
	v_and_b32_e32 v26, 0x1fff, v26
	s_mov_b64 s[34:35], -1
                                        ; implicit-def: $vgpr36
; %bb.18:                               ;   in Loop: Header=BB166_15 Depth=3
	s_andn2_saveexec_b64 s[36:37], s[36:37]
	s_cbranch_execz .LBB166_22
; %bb.19:                               ;   in Loop: Header=BB166_15 Depth=3
	v_pk_mov_b32 v[28:29], s[76:77], s[76:77] op_sel:[0,1]
	ds_cmpst_rtn_b64 v[28:29], v36, v[28:29], v[20:21]
	s_mov_b64 s[40:41], -1
	s_waitcnt lgkmcnt(0)
	v_cmp_eq_u64_e32 vcc, s[76:77], v[28:29]
	s_and_saveexec_b64 s[38:39], vcc
	s_cbranch_execz .LBB166_21
; %bb.20:                               ;   in Loop: Header=BB166_15 Depth=3
	v_lshl_add_u32 v28, v26, 4, 0
	v_add_u32_e32 v28, 0x10000, v28
	ds_add_f64 v28, v[22:23]
	ds_add_f64 v28, v[24:25] offset:8
	s_xor_b64 s[40:41], exec, -1
.LBB166_21:                             ;   in Loop: Header=BB166_15 Depth=3
	s_or_b64 exec, exec, s[38:39]
	s_andn2_b64 s[34:35], s[34:35], exec
	s_and_b64 s[38:39], s[40:41], exec
	s_or_b64 s[34:35], s[34:35], s[38:39]
.LBB166_22:                             ;   in Loop: Header=BB166_15 Depth=3
	s_or_b64 exec, exec, s[36:37]
	s_and_b64 s[34:35], s[34:35], exec
.LBB166_23:                             ;   in Loop: Header=BB166_15 Depth=3
	s_andn2_saveexec_b64 s[30:31], s[30:31]
	s_cbranch_execz .LBB166_14
; %bb.24:                               ;   in Loop: Header=BB166_15 Depth=3
	v_lshl_add_u32 v28, v26, 4, 0
	v_add_u32_e32 v28, 0x10000, v28
	ds_add_f64 v28, v[22:23]
	ds_add_f64 v28, v[24:25] offset:8
	s_andn2_b64 s[34:35], s[34:35], exec
	s_branch .LBB166_14
.LBB166_25:
	s_or_b64 exec, exec, s[18:19]
.LBB166_26:
	s_load_dwordx2 s[30:31], s[4:5], 0x90
	s_load_dwordx4 s[8:11], s[4:5], 0x80
                                        ; implicit-def: $vgpr40 : SGPR spill to VGPR lane
	s_andn2_b64 vcc, exec, s[16:17]
	s_waitcnt lgkmcnt(0)
	v_writelane_b32 v40, s8, 0
	v_writelane_b32 v40, s9, 1
	;; [unrolled: 1-line block ×4, first 2 shown]
	s_cbranch_vccnz .LBB166_43
; %bb.27:
	s_load_dwordx2 s[6:7], s[4:5], 0x68
	s_lshl_b64 s[8:9], s[48:49], 3
	s_waitcnt vmcnt(0)
	v_subrev_co_u32_e32 v6, vcc, s47, v0
	s_mov_b32 s14, 0
	s_waitcnt lgkmcnt(0)
	s_add_u32 s6, s6, s8
	s_addc_u32 s7, s7, s9
	s_load_dwordx4 s[16:19], s[6:7], 0x0
	v_subb_co_u32_e64 v7, s[6:7], 0, 0, vcc
	s_waitcnt lgkmcnt(0)
	s_sub_u32 s8, s18, s47
	v_mov_b32_e32 v8, s17
	v_add_co_u32_e32 v6, vcc, s16, v6
	s_subb_u32 s9, s19, 0
	v_addc_co_u32_e32 v7, vcc, v8, v7, vcc
	v_cmp_gt_i64_e32 vcc, s[8:9], v[6:7]
	s_and_saveexec_b64 s[10:11], vcc
	s_cbranch_execz .LBB166_42
; %bb.28:
	s_load_dwordx4 s[4:7], s[4:5], 0x70
	s_mov_b32 s26, s47
	s_mov_b64 s[12:13], 0
	v_mov_b32_e32 v15, s14
	s_waitcnt lgkmcnt(0)
	v_mov_b32_e32 v18, s5
	v_mov_b32_e32 v19, s7
	s_movk_i32 s5, 0x89
	s_branch .LBB166_30
.LBB166_29:                             ;   in Loop: Header=BB166_30 Depth=1
	s_or_b64 exec, exec, s[14:15]
	v_add_co_u32_e32 v6, vcc, 0x400, v6
	v_addc_co_u32_e32 v7, vcc, 0, v7, vcc
	v_cmp_le_i64_e32 vcc, s[8:9], v[6:7]
	s_or_b64 s[12:13], vcc, s[12:13]
	s_andn2_b64 exec, exec, s[12:13]
	s_cbranch_execz .LBB166_42
.LBB166_30:                             ; =>This Loop Header: Depth=1
                                        ;     Child Loop BB166_32 Depth 2
	v_lshlrev_b64 v[8:9], 3, v[6:7]
	v_add_co_u32_e32 v8, vcc, s4, v8
	v_addc_co_u32_e32 v9, vcc, v18, v9, vcc
	v_lshlrev_b64 v[10:11], 4, v[6:7]
	v_add_co_u32_e32 v10, vcc, s6, v10
	global_load_dwordx2 v[8:9], v[8:9], off
	v_addc_co_u32_e32 v11, vcc, v19, v11, vcc
	global_load_dwordx4 v[20:23], v[10:11], off
	s_mov_b64 s[14:15], 0
	s_waitcnt vmcnt(1)
	v_subrev_co_u32_e32 v8, vcc, s26, v8
	v_mul_lo_u32 v14, v8, s5
	s_waitcnt vmcnt(0)
	v_mul_f64 v[10:11], v[22:23], -v[2:3]
	v_mul_f64 v[12:13], v[4:5], v[22:23]
	v_subb_co_u32_e32 v9, vcc, v9, v15, vcc
	v_fmac_f64_e32 v[10:11], v[4:5], v[20:21]
	v_fmac_f64_e32 v[12:13], v[2:3], v[20:21]
	v_and_b32_e32 v14, 0x1fff, v14
	s_branch .LBB166_32
.LBB166_31:                             ;   in Loop: Header=BB166_32 Depth=2
	s_or_b64 exec, exec, s[16:17]
	s_xor_b64 s[16:17], s[18:19], -1
	s_and_b64 s[16:17], exec, s[16:17]
	s_or_b64 s[14:15], s[16:17], s[14:15]
	s_andn2_b64 exec, exec, s[14:15]
	s_cbranch_execz .LBB166_29
.LBB166_32:                             ;   Parent Loop BB166_30 Depth=1
                                        ; =>  This Inner Loop Header: Depth=2
	v_lshl_add_u32 v20, v14, 3, 0
	ds_read_b64 v[16:17], v20
                                        ; implicit-def: $sgpr18_sgpr19
	s_waitcnt lgkmcnt(0)
	v_cmp_ne_u64_e32 vcc, v[16:17], v[8:9]
	s_and_saveexec_b64 s[16:17], vcc
	s_xor_b64 s[16:17], exec, s[16:17]
	s_cbranch_execz .LBB166_40
; %bb.33:                               ;   in Loop: Header=BB166_32 Depth=2
	v_cmp_ne_u64_e32 vcc, s[76:77], v[16:17]
                                        ; implicit-def: $sgpr18_sgpr19
	s_and_saveexec_b64 s[20:21], vcc
	s_xor_b64 s[20:21], exec, s[20:21]
; %bb.34:                               ;   in Loop: Header=BB166_32 Depth=2
	v_add_u32_e32 v14, 1, v14
	v_and_b32_e32 v14, 0x1fff, v14
	s_mov_b64 s[18:19], -1
                                        ; implicit-def: $vgpr20
; %bb.35:                               ;   in Loop: Header=BB166_32 Depth=2
	s_andn2_saveexec_b64 s[20:21], s[20:21]
	s_cbranch_execz .LBB166_39
; %bb.36:                               ;   in Loop: Header=BB166_32 Depth=2
	v_pk_mov_b32 v[16:17], s[76:77], s[76:77] op_sel:[0,1]
	ds_cmpst_rtn_b64 v[16:17], v20, v[16:17], v[8:9]
	s_mov_b64 s[24:25], -1
	s_waitcnt lgkmcnt(0)
	v_cmp_eq_u64_e32 vcc, s[76:77], v[16:17]
	s_and_saveexec_b64 s[22:23], vcc
	s_cbranch_execz .LBB166_38
; %bb.37:                               ;   in Loop: Header=BB166_32 Depth=2
	v_lshl_add_u32 v16, v14, 4, 0
	v_add_u32_e32 v16, 0x10000, v16
	ds_add_f64 v16, v[10:11]
	ds_add_f64 v16, v[12:13] offset:8
	s_xor_b64 s[24:25], exec, -1
.LBB166_38:                             ;   in Loop: Header=BB166_32 Depth=2
	s_or_b64 exec, exec, s[22:23]
	s_andn2_b64 s[18:19], s[18:19], exec
	s_and_b64 s[22:23], s[24:25], exec
	s_or_b64 s[18:19], s[18:19], s[22:23]
.LBB166_39:                             ;   in Loop: Header=BB166_32 Depth=2
	s_or_b64 exec, exec, s[20:21]
	s_and_b64 s[18:19], s[18:19], exec
.LBB166_40:                             ;   in Loop: Header=BB166_32 Depth=2
	s_andn2_saveexec_b64 s[16:17], s[16:17]
	s_cbranch_execz .LBB166_31
; %bb.41:                               ;   in Loop: Header=BB166_32 Depth=2
	v_lshl_add_u32 v16, v14, 4, 0
	v_add_u32_e32 v16, 0x10000, v16
	ds_add_f64 v16, v[10:11]
	ds_add_f64 v16, v[12:13] offset:8
	s_andn2_b64 s[18:19], s[18:19], exec
	s_branch .LBB166_31
.LBB166_42:
	s_or_b64 exec, exec, s[10:11]
.LBB166_43:
	v_writelane_b32 v40, s30, 4
	v_writelane_b32 v40, s31, 5
	s_movk_i32 s33, 0x21f
	v_writelane_b32 v40, s48, 6
	v_cmp_lt_u32_e64 s[34:35], s33, v0
	s_movk_i32 s33, 0x23f
	v_writelane_b32 v40, s49, 7
	v_cmp_lt_u32_e64 s[36:37], s33, v0
	;; [unrolled: 3-line block ×6, first 2 shown]
	s_movk_i32 s33, 0x2df
	v_cmp_lt_u32_e64 s[46:47], s33, v0
	s_movk_i32 s33, 0x2ff
	v_cmp_lt_u32_e64 s[48:49], s33, v0
	;; [unrolled: 2-line block ×7, first 2 shown]
	s_movk_i32 s33, 0x3bf
	s_add_i32 s4, 0, 0x30000
	v_cmp_lt_u32_e64 s[60:61], s33, v0
	s_movk_i32 s33, 0x3df
	v_writelane_b32 v40, s4, 12
	v_cmp_lt_u32_e64 s[62:63], s33, v0
	s_add_i32 s33, 0, 0x30008
	v_writelane_b32 v40, s33, 13
	s_add_i32 s33, 0, 0x30010
	s_waitcnt vmcnt(0)
	v_mbcnt_lo_u32_b32 v2, -1, 0
	v_writelane_b32 v40, s33, 14
	s_add_i32 s33, 0, 0x30018
	v_mbcnt_hi_u32_b32 v2, -1, v2
	v_writelane_b32 v40, s33, 15
	s_add_i32 s33, 0, 0x30020
	v_sub_u32_e32 v2, 63, v2
	v_writelane_b32 v40, s33, 16
	s_add_i32 s33, 0, 0x30028
	v_lshrrev_b64 v[4:5], v2, -1
	v_lshrrev_b32_e32 v2, 2, v0
	v_writelane_b32 v40, s33, 17
	s_add_i32 s33, 0, 0x30030
	v_and_b32_e32 v2, 0xf8, v2
	v_writelane_b32 v40, s33, 18
	s_add_i32 s33, 0, 0x30038
	v_add_u32_e32 v12, s4, v2
	s_movk_i32 s4, 0x3ff
	v_writelane_b32 v40, s33, 19
	s_add_i32 s33, 0, 0x30040
	v_cmp_eq_u32_e32 vcc, s4, v0
	s_movk_i32 s4, 0x5f
	s_movk_i32 s6, 0x7f
	s_movk_i32 s8, 0x9f
	s_movk_i32 s10, 0xbf
	s_movk_i32 s12, 0xdf
	s_movk_i32 s14, 0xff
	s_movk_i32 s16, 0x11f
	s_movk_i32 s18, 0x13f
	s_movk_i32 s20, 0x15f
	s_movk_i32 s22, 0x17f
	s_movk_i32 s24, 0x19f
	s_movk_i32 s26, 0x1bf
	s_movk_i32 s28, 0x1df
	s_movk_i32 s30, 0x1ff
	v_writelane_b32 v40, s33, 20
	s_add_i32 s33, 0, 0x30048
	v_mov_b32_e32 v3, 0
	v_cmp_lt_u32_e64 s[4:5], s4, v0
	v_cmp_lt_u32_e64 s[6:7], s6, v0
	;; [unrolled: 1-line block ×14, first 2 shown]
	v_or_b32_e32 v13, 0xfffffc00, v0
	v_add_u32_e32 v14, 0x10000, v27
	v_pk_mov_b32 v[6:7], 0, 0
	v_writelane_b32 v40, s33, 21
	s_add_i32 s94, 0, 0x30050
	s_add_i32 s95, 0, 0x30058
	;; [unrolled: 1-line block ×22, first 2 shown]
	s_movk_i32 s91, 0x1bff
	v_cmp_lt_u32_e64 s[64:65], 31, v0
	v_cmp_lt_u32_e64 s[66:67], 63, v0
	s_mov_b64 s[82:83], 0
	s_waitcnt lgkmcnt(0)
	s_barrier
	s_branch .LBB166_45
.LBB166_44:                             ;   in Loop: Header=BB166_45 Depth=1
	s_or_b64 exec, exec, s[68:69]
	v_mov_b32_e32 v2, s90
	s_waitcnt lgkmcnt(0)
	s_barrier
	ds_read_b64 v[8:9], v2
	v_add_u32_e32 v13, 0x400, v13
	v_add_u32_e32 v14, 0x4000, v14
	v_add_u32_e32 v1, 0x2000, v1
	s_waitcnt lgkmcnt(0)
	v_add_co_u32_e64 v6, s[68:69], v8, v6
	v_addc_co_u32_e64 v7, s[68:69], v9, v7, s[68:69]
	v_cmp_lt_u32_e64 s[68:69], s91, v13
	s_or_b64 s[82:83], s[68:69], s[82:83]
	s_andn2_b64 exec, exec, s[82:83]
	s_cbranch_execz .LBB166_111
.LBB166_45:                             ; =>This Inner Loop Header: Depth=1
	ds_read2_b64 v[16:19], v14 offset1:1
	ds_read_b64 v[10:11], v1
	s_waitcnt lgkmcnt(1)
	buffer_store_dword v19, off, s[0:3], 0 offset:12
	buffer_store_dword v18, off, s[0:3], 0 offset:8
	;; [unrolled: 1-line block ×3, first 2 shown]
	buffer_store_dword v16, off, s[0:3], 0
	s_waitcnt lgkmcnt(0)
	v_cmp_gt_i64_e64 s[68:69], s[76:77], v[10:11]
	v_and_b32_e32 v9, s68, v4
	s_bcnt1_i32_b64 s84, s[68:69]
	v_and_b32_e32 v8, s69, v5
	v_bcnt_u32_b32 v9, v9, 0
	v_mov_b32_e32 v2, s84
	v_bcnt_u32_b32 v8, v8, v9
	s_barrier
	ds_write_b64 v12, v[2:3]
	s_waitcnt lgkmcnt(0)
	s_barrier
	s_and_saveexec_b64 s[84:85], s[64:65]
	s_cbranch_execnz .LBB166_78
; %bb.46:                               ;   in Loop: Header=BB166_45 Depth=1
	s_or_b64 exec, exec, s[84:85]
	s_and_saveexec_b64 s[84:85], s[66:67]
	s_cbranch_execnz .LBB166_79
.LBB166_47:                             ;   in Loop: Header=BB166_45 Depth=1
	s_or_b64 exec, exec, s[84:85]
	s_and_saveexec_b64 s[84:85], s[4:5]
	s_cbranch_execnz .LBB166_80
.LBB166_48:                             ;   in Loop: Header=BB166_45 Depth=1
	s_or_b64 exec, exec, s[84:85]
	s_and_saveexec_b64 s[84:85], s[6:7]
	s_cbranch_execnz .LBB166_81
.LBB166_49:                             ;   in Loop: Header=BB166_45 Depth=1
	s_or_b64 exec, exec, s[84:85]
	s_and_saveexec_b64 s[84:85], s[8:9]
	s_cbranch_execnz .LBB166_82
.LBB166_50:                             ;   in Loop: Header=BB166_45 Depth=1
	s_or_b64 exec, exec, s[84:85]
	s_and_saveexec_b64 s[84:85], s[10:11]
	s_cbranch_execnz .LBB166_83
.LBB166_51:                             ;   in Loop: Header=BB166_45 Depth=1
	s_or_b64 exec, exec, s[84:85]
	s_and_saveexec_b64 s[84:85], s[12:13]
	s_cbranch_execnz .LBB166_84
.LBB166_52:                             ;   in Loop: Header=BB166_45 Depth=1
	s_or_b64 exec, exec, s[84:85]
	s_and_saveexec_b64 s[84:85], s[14:15]
	s_cbranch_execnz .LBB166_85
.LBB166_53:                             ;   in Loop: Header=BB166_45 Depth=1
	s_or_b64 exec, exec, s[84:85]
	s_and_saveexec_b64 s[84:85], s[16:17]
	s_cbranch_execnz .LBB166_86
.LBB166_54:                             ;   in Loop: Header=BB166_45 Depth=1
	s_or_b64 exec, exec, s[84:85]
	s_and_saveexec_b64 s[84:85], s[18:19]
	s_cbranch_execnz .LBB166_87
.LBB166_55:                             ;   in Loop: Header=BB166_45 Depth=1
	s_or_b64 exec, exec, s[84:85]
	s_and_saveexec_b64 s[84:85], s[20:21]
	s_cbranch_execnz .LBB166_88
.LBB166_56:                             ;   in Loop: Header=BB166_45 Depth=1
	s_or_b64 exec, exec, s[84:85]
	s_and_saveexec_b64 s[84:85], s[22:23]
	s_cbranch_execnz .LBB166_89
.LBB166_57:                             ;   in Loop: Header=BB166_45 Depth=1
	s_or_b64 exec, exec, s[84:85]
	s_and_saveexec_b64 s[84:85], s[24:25]
	s_cbranch_execnz .LBB166_90
.LBB166_58:                             ;   in Loop: Header=BB166_45 Depth=1
	s_or_b64 exec, exec, s[84:85]
	s_and_saveexec_b64 s[84:85], s[26:27]
	s_cbranch_execnz .LBB166_91
.LBB166_59:                             ;   in Loop: Header=BB166_45 Depth=1
	s_or_b64 exec, exec, s[84:85]
	s_and_saveexec_b64 s[84:85], s[28:29]
	s_cbranch_execnz .LBB166_92
.LBB166_60:                             ;   in Loop: Header=BB166_45 Depth=1
	s_or_b64 exec, exec, s[84:85]
	s_and_saveexec_b64 s[84:85], s[30:31]
	s_cbranch_execnz .LBB166_93
.LBB166_61:                             ;   in Loop: Header=BB166_45 Depth=1
	s_or_b64 exec, exec, s[84:85]
	s_and_saveexec_b64 s[84:85], s[34:35]
	s_cbranch_execnz .LBB166_94
.LBB166_62:                             ;   in Loop: Header=BB166_45 Depth=1
	s_or_b64 exec, exec, s[84:85]
	s_and_saveexec_b64 s[84:85], s[36:37]
	s_cbranch_execnz .LBB166_95
.LBB166_63:                             ;   in Loop: Header=BB166_45 Depth=1
	s_or_b64 exec, exec, s[84:85]
	s_and_saveexec_b64 s[84:85], s[38:39]
	s_cbranch_execnz .LBB166_96
.LBB166_64:                             ;   in Loop: Header=BB166_45 Depth=1
	s_or_b64 exec, exec, s[84:85]
	s_and_saveexec_b64 s[84:85], s[40:41]
	s_cbranch_execnz .LBB166_97
.LBB166_65:                             ;   in Loop: Header=BB166_45 Depth=1
	s_or_b64 exec, exec, s[84:85]
	s_and_saveexec_b64 s[84:85], s[42:43]
	s_cbranch_execnz .LBB166_98
.LBB166_66:                             ;   in Loop: Header=BB166_45 Depth=1
	s_or_b64 exec, exec, s[84:85]
	s_and_saveexec_b64 s[84:85], s[44:45]
	s_cbranch_execnz .LBB166_99
.LBB166_67:                             ;   in Loop: Header=BB166_45 Depth=1
	s_or_b64 exec, exec, s[84:85]
	s_and_saveexec_b64 s[84:85], s[46:47]
	s_cbranch_execnz .LBB166_100
.LBB166_68:                             ;   in Loop: Header=BB166_45 Depth=1
	s_or_b64 exec, exec, s[84:85]
	s_and_saveexec_b64 s[84:85], s[48:49]
	s_cbranch_execnz .LBB166_101
.LBB166_69:                             ;   in Loop: Header=BB166_45 Depth=1
	s_or_b64 exec, exec, s[84:85]
	s_and_saveexec_b64 s[84:85], s[50:51]
	s_cbranch_execnz .LBB166_102
.LBB166_70:                             ;   in Loop: Header=BB166_45 Depth=1
	s_or_b64 exec, exec, s[84:85]
	s_and_saveexec_b64 s[84:85], s[52:53]
	s_cbranch_execnz .LBB166_103
.LBB166_71:                             ;   in Loop: Header=BB166_45 Depth=1
	s_or_b64 exec, exec, s[84:85]
	s_and_saveexec_b64 s[84:85], s[54:55]
	s_cbranch_execnz .LBB166_104
.LBB166_72:                             ;   in Loop: Header=BB166_45 Depth=1
	s_or_b64 exec, exec, s[84:85]
	s_and_saveexec_b64 s[84:85], s[56:57]
	s_cbranch_execnz .LBB166_105
.LBB166_73:                             ;   in Loop: Header=BB166_45 Depth=1
	s_or_b64 exec, exec, s[84:85]
	s_and_saveexec_b64 s[84:85], s[58:59]
	s_cbranch_execnz .LBB166_106
.LBB166_74:                             ;   in Loop: Header=BB166_45 Depth=1
	s_or_b64 exec, exec, s[84:85]
	s_and_saveexec_b64 s[84:85], s[60:61]
	s_cbranch_execnz .LBB166_107
.LBB166_75:                             ;   in Loop: Header=BB166_45 Depth=1
	s_or_b64 exec, exec, s[84:85]
	s_and_saveexec_b64 s[84:85], s[62:63]
	s_cbranch_execnz .LBB166_108
.LBB166_76:                             ;   in Loop: Header=BB166_45 Depth=1
	s_or_b64 exec, exec, s[84:85]
	v_ashrrev_i32_e32 v9, 31, v8
	s_and_saveexec_b64 s[84:85], s[68:69]
	s_cbranch_execnz .LBB166_109
.LBB166_77:                             ;   in Loop: Header=BB166_45 Depth=1
	s_or_b64 exec, exec, s[84:85]
	s_and_saveexec_b64 s[68:69], vcc
	s_cbranch_execz .LBB166_44
	s_branch .LBB166_110
.LBB166_78:                             ;   in Loop: Header=BB166_45 Depth=1
	v_readlane_b32 s92, v40, 12
	v_mov_b32_e32 v2, s92
	ds_read_b32 v2, v2
	s_waitcnt lgkmcnt(0)
	v_add_u32_e32 v8, v2, v8
	s_or_b64 exec, exec, s[84:85]
	s_and_saveexec_b64 s[84:85], s[66:67]
	s_cbranch_execz .LBB166_47
.LBB166_79:                             ;   in Loop: Header=BB166_45 Depth=1
	v_readlane_b32 s92, v40, 13
	v_mov_b32_e32 v2, s92
	ds_read_b32 v2, v2
	s_waitcnt lgkmcnt(0)
	v_add_u32_e32 v8, v8, v2
	s_or_b64 exec, exec, s[84:85]
	s_and_saveexec_b64 s[84:85], s[4:5]
	s_cbranch_execz .LBB166_48
.LBB166_80:                             ;   in Loop: Header=BB166_45 Depth=1
	v_readlane_b32 s92, v40, 14
	v_mov_b32_e32 v2, s92
	ds_read_b32 v2, v2
	s_waitcnt lgkmcnt(0)
	v_add_u32_e32 v8, v8, v2
	s_or_b64 exec, exec, s[84:85]
	s_and_saveexec_b64 s[84:85], s[6:7]
	s_cbranch_execz .LBB166_49
.LBB166_81:                             ;   in Loop: Header=BB166_45 Depth=1
	v_readlane_b32 s92, v40, 15
	v_mov_b32_e32 v2, s92
	ds_read_b32 v2, v2
	s_waitcnt lgkmcnt(0)
	v_add_u32_e32 v8, v8, v2
	s_or_b64 exec, exec, s[84:85]
	s_and_saveexec_b64 s[84:85], s[8:9]
	s_cbranch_execz .LBB166_50
.LBB166_82:                             ;   in Loop: Header=BB166_45 Depth=1
	v_readlane_b32 s92, v40, 16
	v_mov_b32_e32 v2, s92
	ds_read_b32 v2, v2
	s_waitcnt lgkmcnt(0)
	v_add_u32_e32 v8, v8, v2
	s_or_b64 exec, exec, s[84:85]
	s_and_saveexec_b64 s[84:85], s[10:11]
	s_cbranch_execz .LBB166_51
.LBB166_83:                             ;   in Loop: Header=BB166_45 Depth=1
	v_readlane_b32 s92, v40, 17
	v_mov_b32_e32 v2, s92
	ds_read_b32 v2, v2
	s_waitcnt lgkmcnt(0)
	v_add_u32_e32 v8, v8, v2
	s_or_b64 exec, exec, s[84:85]
	s_and_saveexec_b64 s[84:85], s[12:13]
	s_cbranch_execz .LBB166_52
.LBB166_84:                             ;   in Loop: Header=BB166_45 Depth=1
	v_readlane_b32 s92, v40, 18
	v_mov_b32_e32 v2, s92
	ds_read_b32 v2, v2
	s_waitcnt lgkmcnt(0)
	v_add_u32_e32 v8, v8, v2
	s_or_b64 exec, exec, s[84:85]
	s_and_saveexec_b64 s[84:85], s[14:15]
	s_cbranch_execz .LBB166_53
.LBB166_85:                             ;   in Loop: Header=BB166_45 Depth=1
	v_readlane_b32 s92, v40, 19
	v_mov_b32_e32 v2, s92
	ds_read_b32 v2, v2
	s_waitcnt lgkmcnt(0)
	v_add_u32_e32 v8, v8, v2
	s_or_b64 exec, exec, s[84:85]
	s_and_saveexec_b64 s[84:85], s[16:17]
	s_cbranch_execz .LBB166_54
.LBB166_86:                             ;   in Loop: Header=BB166_45 Depth=1
	v_readlane_b32 s92, v40, 20
	v_mov_b32_e32 v2, s92
	ds_read_b32 v2, v2
	s_waitcnt lgkmcnt(0)
	v_add_u32_e32 v8, v8, v2
	s_or_b64 exec, exec, s[84:85]
	s_and_saveexec_b64 s[84:85], s[18:19]
	s_cbranch_execz .LBB166_55
.LBB166_87:                             ;   in Loop: Header=BB166_45 Depth=1
	v_readlane_b32 s92, v40, 21
	v_mov_b32_e32 v2, s92
	ds_read_b32 v2, v2
	s_waitcnt lgkmcnt(0)
	v_add_u32_e32 v8, v8, v2
	s_or_b64 exec, exec, s[84:85]
	s_and_saveexec_b64 s[84:85], s[20:21]
	s_cbranch_execz .LBB166_56
.LBB166_88:                             ;   in Loop: Header=BB166_45 Depth=1
	v_mov_b32_e32 v2, s94
	ds_read_b32 v2, v2
	s_waitcnt lgkmcnt(0)
	v_add_u32_e32 v8, v8, v2
	s_or_b64 exec, exec, s[84:85]
	s_and_saveexec_b64 s[84:85], s[22:23]
	s_cbranch_execz .LBB166_57
.LBB166_89:                             ;   in Loop: Header=BB166_45 Depth=1
	v_mov_b32_e32 v2, s95
	ds_read_b32 v2, v2
	s_waitcnt lgkmcnt(0)
	v_add_u32_e32 v8, v8, v2
	s_or_b64 exec, exec, s[84:85]
	s_and_saveexec_b64 s[84:85], s[24:25]
	s_cbranch_execz .LBB166_58
.LBB166_90:                             ;   in Loop: Header=BB166_45 Depth=1
	v_mov_b32_e32 v2, s96
	ds_read_b32 v2, v2
	s_waitcnt lgkmcnt(0)
	v_add_u32_e32 v8, v8, v2
	s_or_b64 exec, exec, s[84:85]
	s_and_saveexec_b64 s[84:85], s[26:27]
	s_cbranch_execz .LBB166_59
.LBB166_91:                             ;   in Loop: Header=BB166_45 Depth=1
	v_mov_b32_e32 v2, s97
	ds_read_b32 v2, v2
	s_waitcnt lgkmcnt(0)
	v_add_u32_e32 v8, v8, v2
	s_or_b64 exec, exec, s[84:85]
	s_and_saveexec_b64 s[84:85], s[28:29]
	s_cbranch_execz .LBB166_60
.LBB166_92:                             ;   in Loop: Header=BB166_45 Depth=1
	v_mov_b32_e32 v2, s98
	ds_read_b32 v2, v2
	s_waitcnt lgkmcnt(0)
	v_add_u32_e32 v8, v8, v2
	s_or_b64 exec, exec, s[84:85]
	s_and_saveexec_b64 s[84:85], s[30:31]
	s_cbranch_execz .LBB166_61
.LBB166_93:                             ;   in Loop: Header=BB166_45 Depth=1
	v_mov_b32_e32 v2, s99
	ds_read_b32 v2, v2
	s_waitcnt lgkmcnt(0)
	v_add_u32_e32 v8, v8, v2
	s_or_b64 exec, exec, s[84:85]
	s_and_saveexec_b64 s[84:85], s[34:35]
	s_cbranch_execz .LBB166_62
.LBB166_94:                             ;   in Loop: Header=BB166_45 Depth=1
	v_mov_b32_e32 v2, s78
	ds_read_b32 v2, v2
	s_waitcnt lgkmcnt(0)
	v_add_u32_e32 v8, v8, v2
	s_or_b64 exec, exec, s[84:85]
	s_and_saveexec_b64 s[84:85], s[36:37]
	s_cbranch_execz .LBB166_63
.LBB166_95:                             ;   in Loop: Header=BB166_45 Depth=1
	v_mov_b32_e32 v2, s79
	ds_read_b32 v2, v2
	s_waitcnt lgkmcnt(0)
	v_add_u32_e32 v8, v8, v2
	s_or_b64 exec, exec, s[84:85]
	s_and_saveexec_b64 s[84:85], s[38:39]
	s_cbranch_execz .LBB166_64
.LBB166_96:                             ;   in Loop: Header=BB166_45 Depth=1
	v_mov_b32_e32 v2, s70
	ds_read_b32 v2, v2
	s_waitcnt lgkmcnt(0)
	v_add_u32_e32 v8, v8, v2
	s_or_b64 exec, exec, s[84:85]
	s_and_saveexec_b64 s[84:85], s[40:41]
	s_cbranch_execz .LBB166_65
.LBB166_97:                             ;   in Loop: Header=BB166_45 Depth=1
	v_mov_b32_e32 v2, s80
	ds_read_b32 v2, v2
	s_waitcnt lgkmcnt(0)
	v_add_u32_e32 v8, v8, v2
	s_or_b64 exec, exec, s[84:85]
	s_and_saveexec_b64 s[84:85], s[42:43]
	s_cbranch_execz .LBB166_66
.LBB166_98:                             ;   in Loop: Header=BB166_45 Depth=1
	v_mov_b32_e32 v2, s81
	ds_read_b32 v2, v2
	s_waitcnt lgkmcnt(0)
	v_add_u32_e32 v8, v8, v2
	s_or_b64 exec, exec, s[84:85]
	s_and_saveexec_b64 s[84:85], s[44:45]
	s_cbranch_execz .LBB166_67
.LBB166_99:                             ;   in Loop: Header=BB166_45 Depth=1
	v_mov_b32_e32 v2, s72
	ds_read_b32 v2, v2
	s_waitcnt lgkmcnt(0)
	v_add_u32_e32 v8, v8, v2
	s_or_b64 exec, exec, s[84:85]
	s_and_saveexec_b64 s[84:85], s[46:47]
	s_cbranch_execz .LBB166_68
.LBB166_100:                            ;   in Loop: Header=BB166_45 Depth=1
	v_mov_b32_e32 v2, s73
	ds_read_b32 v2, v2
	s_waitcnt lgkmcnt(0)
	v_add_u32_e32 v8, v8, v2
	s_or_b64 exec, exec, s[84:85]
	s_and_saveexec_b64 s[84:85], s[48:49]
	s_cbranch_execz .LBB166_69
.LBB166_101:                            ;   in Loop: Header=BB166_45 Depth=1
	v_mov_b32_e32 v2, s74
	ds_read_b32 v2, v2
	s_waitcnt lgkmcnt(0)
	v_add_u32_e32 v8, v8, v2
	s_or_b64 exec, exec, s[84:85]
	s_and_saveexec_b64 s[84:85], s[50:51]
	s_cbranch_execz .LBB166_70
.LBB166_102:                            ;   in Loop: Header=BB166_45 Depth=1
	v_mov_b32_e32 v2, s75
	ds_read_b32 v2, v2
	s_waitcnt lgkmcnt(0)
	v_add_u32_e32 v8, v8, v2
	s_or_b64 exec, exec, s[84:85]
	s_and_saveexec_b64 s[84:85], s[52:53]
	s_cbranch_execz .LBB166_71
.LBB166_103:                            ;   in Loop: Header=BB166_45 Depth=1
	v_mov_b32_e32 v2, s33
	ds_read_b32 v2, v2
	s_waitcnt lgkmcnt(0)
	v_add_u32_e32 v8, v8, v2
	s_or_b64 exec, exec, s[84:85]
	s_and_saveexec_b64 s[84:85], s[54:55]
	s_cbranch_execz .LBB166_72
.LBB166_104:                            ;   in Loop: Header=BB166_45 Depth=1
	v_mov_b32_e32 v2, s71
	ds_read_b32 v2, v2
	s_waitcnt lgkmcnt(0)
	v_add_u32_e32 v8, v8, v2
	s_or_b64 exec, exec, s[84:85]
	s_and_saveexec_b64 s[84:85], s[56:57]
	s_cbranch_execz .LBB166_73
.LBB166_105:                            ;   in Loop: Header=BB166_45 Depth=1
	v_mov_b32_e32 v2, s86
	ds_read_b32 v2, v2
	s_waitcnt lgkmcnt(0)
	v_add_u32_e32 v8, v8, v2
	s_or_b64 exec, exec, s[84:85]
	s_and_saveexec_b64 s[84:85], s[58:59]
	s_cbranch_execz .LBB166_74
.LBB166_106:                            ;   in Loop: Header=BB166_45 Depth=1
	v_mov_b32_e32 v2, s87
	ds_read_b32 v2, v2
	s_waitcnt lgkmcnt(0)
	v_add_u32_e32 v8, v8, v2
	s_or_b64 exec, exec, s[84:85]
	s_and_saveexec_b64 s[84:85], s[60:61]
	s_cbranch_execz .LBB166_75
.LBB166_107:                            ;   in Loop: Header=BB166_45 Depth=1
	v_mov_b32_e32 v2, s88
	ds_read_b32 v2, v2
	s_waitcnt lgkmcnt(0)
	v_add_u32_e32 v8, v8, v2
	s_or_b64 exec, exec, s[84:85]
	s_and_saveexec_b64 s[84:85], s[62:63]
	s_cbranch_execz .LBB166_76
.LBB166_108:                            ;   in Loop: Header=BB166_45 Depth=1
	v_mov_b32_e32 v2, s89
	ds_read_b32 v2, v2
	s_waitcnt lgkmcnt(0)
	v_add_u32_e32 v8, v8, v2
	s_or_b64 exec, exec, s[84:85]
	v_ashrrev_i32_e32 v9, 31, v8
	s_and_saveexec_b64 s[84:85], s[68:69]
	s_cbranch_execz .LBB166_77
.LBB166_109:                            ;   in Loop: Header=BB166_45 Depth=1
	buffer_load_dword v16, off, s[0:3], 0
	buffer_load_dword v17, off, s[0:3], 0 offset:4
	buffer_load_dword v18, off, s[0:3], 0 offset:8
	;; [unrolled: 1-line block ×3, first 2 shown]
	v_add3_u32 v2, v6, -1, v8
	v_lshl_add_u32 v15, v2, 3, 0
	v_lshl_add_u32 v2, v2, 4, 0
	v_add_u32_e32 v2, 0x10000, v2
	ds_write_b64 v15, v[10:11]
	s_waitcnt vmcnt(0)
	ds_write2_b64 v2, v[16:17], v[18:19] offset1:1
	s_or_b64 exec, exec, s[84:85]
	s_and_saveexec_b64 s[68:69], vcc
	s_cbranch_execz .LBB166_44
.LBB166_110:                            ;   in Loop: Header=BB166_45 Depth=1
	v_mov_b32_e32 v2, s90
	ds_write_b64 v2, v[8:9]
	s_branch .LBB166_44
.LBB166_111:
	s_or_b64 exec, exec, s[82:83]
	v_readlane_b32 s4, v40, 6
	v_readlane_b32 s5, v40, 7
	s_lshl_b64 s[4:5], s[4:5], 3
	v_readlane_b32 s8, v40, 0
	v_readlane_b32 s9, v40, 1
	s_add_u32 s4, s8, s4
	s_addc_u32 s5, s9, s5
	s_load_dwordx4 s[4:7], s[4:5], 0x0
	v_mov_b32_e32 v1, 0
	v_readlane_b32 s10, v40, 2
	v_readlane_b32 s11, v40, 3
	s_waitcnt lgkmcnt(0)
	s_sub_u32 s8, s6, s4
	s_subb_u32 s9, s7, s5
	v_cmp_gt_i64_e32 vcc, s[8:9], v[0:1]
	s_and_saveexec_b64 s[10:11], vcc
	v_readlane_b32 s20, v40, 8
	v_readlane_b32 s24, v40, 4
	;; [unrolled: 1-line block ×6, first 2 shown]
	s_cbranch_execz .LBB166_121
; %bb.112:
	s_sub_u32 s10, s4, s22
	s_subb_u32 s11, s5, 0
	s_and_b32 s12, s8, 7
	s_sub_u32 s4, s4, s6
	s_mov_b32 s20, 0
	s_subb_u32 s5, s5, s7
	s_mov_b32 s13, s20
	s_and_b32 s6, s8, -8
	v_cmp_lt_u64_e64 s[4:5], s[4:5], -7
	s_cmp_lg_u64 s[12:13], 0
	v_cndmask_b32_e64 v2, 0, 1, s[4:5]
	s_mov_b32 s7, s9
	s_mov_b64 s[14:15], 0
	s_cselect_b64 s[16:17], -1, 0
	v_cmp_ne_u32_e64 s[4:5], 1, v2
	s_branch .LBB166_114
.LBB166_113:                            ;   in Loop: Header=BB166_114 Depth=1
	v_lshl_add_u32 v6, v0, 4, 0
	v_readlane_b32 s28, v40, 0
	v_add_u32_e32 v8, 0x10000, v6
	v_mov_b32_e32 v6, s20
	s_waitcnt lgkmcnt(0)
	v_add_co_u32_e32 v2, vcc, s22, v2
	v_readlane_b32 s30, v40, 2
	v_readlane_b32 s31, v40, 3
	v_addc_co_u32_e32 v3, vcc, v3, v6, vcc
	v_lshlrev_b64 v[6:7], 3, v[4:5]
	s_mov_b64 s[18:19], s[30:31]
	v_mov_b32_e32 v9, s19
	v_add_co_u32_e32 v6, vcc, s18, v6
	v_addc_co_u32_e32 v7, vcc, v9, v7, vcc
	global_store_dwordx2 v[6:7], v[2:3], off
	v_lshlrev_b64 v[2:3], 4, v[4:5]
	v_mov_b32_e32 v4, s25
	v_add_co_u32_e32 v6, vcc, s24, v2
	v_addc_co_u32_e32 v7, vcc, v4, v3, vcc
	ds_read2_b64 v[2:5], v8 offset1:1
	v_add_co_u32_e32 v0, vcc, 0x400, v0
	v_addc_co_u32_e32 v1, vcc, 0, v1, vcc
	v_cmp_le_i64_e32 vcc, s[8:9], v[0:1]
	s_or_b64 s[14:15], vcc, s[14:15]
	v_readlane_b32 s29, v40, 1
	s_waitcnt lgkmcnt(0)
	global_store_dwordx4 v[6:7], v[2:5], off
	s_andn2_b64 exec, exec, s[14:15]
	s_cbranch_execz .LBB166_121
.LBB166_114:                            ; =>This Loop Header: Depth=1
                                        ;     Child Loop BB166_116 Depth 2
                                        ;     Child Loop BB166_120 Depth 2
	v_lshl_add_u32 v2, v0, 3, 0
	ds_read_b64 v[2:3], v2
	s_and_b64 vcc, exec, s[4:5]
	v_pk_mov_b32 v[4:5], s[10:11], s[10:11] op_sel:[0,1]
	s_mov_b64 s[18:19], 0
	s_cbranch_vccnz .LBB166_118
; %bb.115:                              ;   in Loop: Header=BB166_114 Depth=1
	s_mov_b32 s21, 0
	v_pk_mov_b32 v[4:5], s[10:11], s[10:11] op_sel:[0,1]
.LBB166_116:                            ;   Parent Loop BB166_114 Depth=1
                                        ; =>  This Inner Loop Header: Depth=2
	v_mov_b32_e32 v18, s21
	ds_read2_b64 v[6:9], v18 offset1:1
	ds_read2_b64 v[10:13], v18 offset0:2 offset1:3
	ds_read2_b64 v[14:17], v18 offset0:4 offset1:5
	;; [unrolled: 1-line block ×3, first 2 shown]
	s_add_u32 s18, s18, 8
	s_waitcnt lgkmcnt(3)
	v_cmp_gt_i64_e32 vcc, v[2:3], v[6:7]
	v_cndmask_b32_e64 v6, 0, 1, vcc
	v_cmp_gt_i64_e32 vcc, v[2:3], v[8:9]
	v_cndmask_b32_e64 v7, 0, 1, vcc
	s_waitcnt lgkmcnt(2)
	v_cmp_gt_i64_e32 vcc, v[2:3], v[10:11]
	v_cndmask_b32_e64 v8, 0, 1, vcc
	v_cmp_gt_i64_e32 vcc, v[2:3], v[12:13]
	v_cndmask_b32_e64 v9, 0, 1, vcc
	;; [unrolled: 5-line block ×4, first 2 shown]
	v_add_co_u32_e32 v4, vcc, v4, v6
	v_addc_co_u32_e32 v5, vcc, 0, v5, vcc
	v_add_co_u32_e32 v4, vcc, v4, v7
	v_addc_co_u32_e32 v5, vcc, 0, v5, vcc
	;; [unrolled: 2-line block ×7, first 2 shown]
	s_addc_u32 s19, s19, 0
	s_add_i32 s21, s21, 64
	v_add_co_u32_e32 v4, vcc, v4, v13
	s_cmp_eq_u64 s[6:7], s[18:19]
	v_addc_co_u32_e32 v5, vcc, 0, v5, vcc
	s_cbranch_scc0 .LBB166_116
; %bb.117:                              ;   in Loop: Header=BB166_114 Depth=1
	s_mov_b64 s[18:19], s[6:7]
.LBB166_118:                            ;   in Loop: Header=BB166_114 Depth=1
	s_andn2_b64 vcc, exec, s[16:17]
	s_cbranch_vccnz .LBB166_113
; %bb.119:                              ;   in Loop: Header=BB166_114 Depth=1
	s_lshl_b32 s18, s18, 3
	s_add_i32 s21, s18, 0
	s_mov_b64 s[18:19], s[12:13]
.LBB166_120:                            ;   Parent Loop BB166_114 Depth=1
                                        ; =>  This Inner Loop Header: Depth=2
	v_mov_b32_e32 v6, s21
	ds_read_b64 v[6:7], v6
	s_add_i32 s21, s21, 8
	s_add_u32 s18, s18, -1
	s_addc_u32 s19, s19, -1
	s_cmp_lg_u64 s[18:19], 0
	s_waitcnt lgkmcnt(0)
	v_cmp_gt_i64_e32 vcc, v[2:3], v[6:7]
	v_cndmask_b32_e64 v6, 0, 1, vcc
	v_add_co_u32_e32 v4, vcc, v4, v6
	v_addc_co_u32_e32 v5, vcc, 0, v5, vcc
	s_cbranch_scc1 .LBB166_120
	s_branch .LBB166_113
.LBB166_121:
	s_endpgm
	.section	.rodata,"a",@progbits
	.p2align	6, 0x0
	.amdhsa_kernel _ZN9rocsparseL26csrgemm_fill_block_per_rowILj1024ELj64ELj8192ELj137ELj32Ell21rocsparse_complex_numIdEEEvT5_PKS3_S5_NS_24const_host_device_scalarIT6_EEPKT4_S5_PKS7_SB_S5_SD_S8_SB_S5_SD_SB_PS3_PS7_21rocsparse_index_base_SG_SG_SG_bbb
		.amdhsa_group_segment_fixed_size 0
		.amdhsa_private_segment_fixed_size 40
		.amdhsa_kernarg_size 172
		.amdhsa_user_sgpr_count 8
		.amdhsa_user_sgpr_private_segment_buffer 1
		.amdhsa_user_sgpr_dispatch_ptr 0
		.amdhsa_user_sgpr_queue_ptr 0
		.amdhsa_user_sgpr_kernarg_segment_ptr 1
		.amdhsa_user_sgpr_dispatch_id 0
		.amdhsa_user_sgpr_flat_scratch_init 1
		.amdhsa_user_sgpr_kernarg_preload_length 0
		.amdhsa_user_sgpr_kernarg_preload_offset 0
		.amdhsa_user_sgpr_private_segment_size 0
		.amdhsa_uses_dynamic_stack 0
		.amdhsa_system_sgpr_private_segment_wavefront_offset 1
		.amdhsa_system_sgpr_workgroup_id_x 1
		.amdhsa_system_sgpr_workgroup_id_y 0
		.amdhsa_system_sgpr_workgroup_id_z 0
		.amdhsa_system_sgpr_workgroup_info 0
		.amdhsa_system_vgpr_workitem_id 0
		.amdhsa_next_free_vgpr 41
		.amdhsa_next_free_sgpr 100
		.amdhsa_accum_offset 44
		.amdhsa_reserve_vcc 1
		.amdhsa_reserve_flat_scratch 1
		.amdhsa_float_round_mode_32 0
		.amdhsa_float_round_mode_16_64 0
		.amdhsa_float_denorm_mode_32 3
		.amdhsa_float_denorm_mode_16_64 3
		.amdhsa_dx10_clamp 1
		.amdhsa_ieee_mode 1
		.amdhsa_fp16_overflow 0
		.amdhsa_tg_split 0
		.amdhsa_exception_fp_ieee_invalid_op 0
		.amdhsa_exception_fp_denorm_src 0
		.amdhsa_exception_fp_ieee_div_zero 0
		.amdhsa_exception_fp_ieee_overflow 0
		.amdhsa_exception_fp_ieee_underflow 0
		.amdhsa_exception_fp_ieee_inexact 0
		.amdhsa_exception_int_div_zero 0
	.end_amdhsa_kernel
	.section	.text._ZN9rocsparseL26csrgemm_fill_block_per_rowILj1024ELj64ELj8192ELj137ELj32Ell21rocsparse_complex_numIdEEEvT5_PKS3_S5_NS_24const_host_device_scalarIT6_EEPKT4_S5_PKS7_SB_S5_SD_S8_SB_S5_SD_SB_PS3_PS7_21rocsparse_index_base_SG_SG_SG_bbb,"axG",@progbits,_ZN9rocsparseL26csrgemm_fill_block_per_rowILj1024ELj64ELj8192ELj137ELj32Ell21rocsparse_complex_numIdEEEvT5_PKS3_S5_NS_24const_host_device_scalarIT6_EEPKT4_S5_PKS7_SB_S5_SD_S8_SB_S5_SD_SB_PS3_PS7_21rocsparse_index_base_SG_SG_SG_bbb,comdat
.Lfunc_end166:
	.size	_ZN9rocsparseL26csrgemm_fill_block_per_rowILj1024ELj64ELj8192ELj137ELj32Ell21rocsparse_complex_numIdEEEvT5_PKS3_S5_NS_24const_host_device_scalarIT6_EEPKT4_S5_PKS7_SB_S5_SD_S8_SB_S5_SD_SB_PS3_PS7_21rocsparse_index_base_SG_SG_SG_bbb, .Lfunc_end166-_ZN9rocsparseL26csrgemm_fill_block_per_rowILj1024ELj64ELj8192ELj137ELj32Ell21rocsparse_complex_numIdEEEvT5_PKS3_S5_NS_24const_host_device_scalarIT6_EEPKT4_S5_PKS7_SB_S5_SD_S8_SB_S5_SD_SB_PS3_PS7_21rocsparse_index_base_SG_SG_SG_bbb
                                        ; -- End function
	.section	.AMDGPU.csdata,"",@progbits
; Kernel info:
; codeLenInByte = 5420
; NumSgprs: 106
; NumVgprs: 41
; NumAgprs: 0
; TotalNumVgprs: 41
; ScratchSize: 40
; MemoryBound: 0
; FloatMode: 240
; IeeeMode: 1
; LDSByteSize: 0 bytes/workgroup (compile time only)
; SGPRBlocks: 13
; VGPRBlocks: 5
; NumSGPRsForWavesPerEU: 106
; NumVGPRsForWavesPerEU: 41
; AccumOffset: 44
; Occupancy: 7
; WaveLimiterHint : 1
; COMPUTE_PGM_RSRC2:SCRATCH_EN: 1
; COMPUTE_PGM_RSRC2:USER_SGPR: 8
; COMPUTE_PGM_RSRC2:TRAP_HANDLER: 0
; COMPUTE_PGM_RSRC2:TGID_X_EN: 1
; COMPUTE_PGM_RSRC2:TGID_Y_EN: 0
; COMPUTE_PGM_RSRC2:TGID_Z_EN: 0
; COMPUTE_PGM_RSRC2:TIDIG_COMP_CNT: 0
; COMPUTE_PGM_RSRC3_GFX90A:ACCUM_OFFSET: 10
; COMPUTE_PGM_RSRC3_GFX90A:TG_SPLIT: 0
	.section	.text._ZN9rocsparseL26csrgemm_fill_block_per_rowILj1024ELj64ELj8192ELj137ELj64Ell21rocsparse_complex_numIdEEEvT5_PKS3_S5_NS_24const_host_device_scalarIT6_EEPKT4_S5_PKS7_SB_S5_SD_S8_SB_S5_SD_SB_PS3_PS7_21rocsparse_index_base_SG_SG_SG_bbb,"axG",@progbits,_ZN9rocsparseL26csrgemm_fill_block_per_rowILj1024ELj64ELj8192ELj137ELj64Ell21rocsparse_complex_numIdEEEvT5_PKS3_S5_NS_24const_host_device_scalarIT6_EEPKT4_S5_PKS7_SB_S5_SD_S8_SB_S5_SD_SB_PS3_PS7_21rocsparse_index_base_SG_SG_SG_bbb,comdat
	.globl	_ZN9rocsparseL26csrgemm_fill_block_per_rowILj1024ELj64ELj8192ELj137ELj64Ell21rocsparse_complex_numIdEEEvT5_PKS3_S5_NS_24const_host_device_scalarIT6_EEPKT4_S5_PKS7_SB_S5_SD_S8_SB_S5_SD_SB_PS3_PS7_21rocsparse_index_base_SG_SG_SG_bbb ; -- Begin function _ZN9rocsparseL26csrgemm_fill_block_per_rowILj1024ELj64ELj8192ELj137ELj64Ell21rocsparse_complex_numIdEEEvT5_PKS3_S5_NS_24const_host_device_scalarIT6_EEPKT4_S5_PKS7_SB_S5_SD_S8_SB_S5_SD_SB_PS3_PS7_21rocsparse_index_base_SG_SG_SG_bbb
	.p2align	8
	.type	_ZN9rocsparseL26csrgemm_fill_block_per_rowILj1024ELj64ELj8192ELj137ELj64Ell21rocsparse_complex_numIdEEEvT5_PKS3_S5_NS_24const_host_device_scalarIT6_EEPKT4_S5_PKS7_SB_S5_SD_S8_SB_S5_SD_SB_PS3_PS7_21rocsparse_index_base_SG_SG_SG_bbb,@function
_ZN9rocsparseL26csrgemm_fill_block_per_rowILj1024ELj64ELj8192ELj137ELj64Ell21rocsparse_complex_numIdEEEvT5_PKS3_S5_NS_24const_host_device_scalarIT6_EEPKT4_S5_PKS7_SB_S5_SD_S8_SB_S5_SD_SB_PS3_PS7_21rocsparse_index_base_SG_SG_SG_bbb: ; @_ZN9rocsparseL26csrgemm_fill_block_per_rowILj1024ELj64ELj8192ELj137ELj64Ell21rocsparse_complex_numIdEEEvT5_PKS3_S5_NS_24const_host_device_scalarIT6_EEPKT4_S5_PKS7_SB_S5_SD_S8_SB_S5_SD_SB_PS3_PS7_21rocsparse_index_base_SG_SG_SG_bbb
; %bb.0:
	s_add_u32 flat_scratch_lo, s6, s9
	s_addc_u32 flat_scratch_hi, s7, 0
	s_add_u32 s0, s0, s9
	s_load_dword s9, s[4:5], 0xa8
	s_load_dwordx8 s[12:19], s[4:5], 0x8
	s_load_dwordx4 s[36:39], s[4:5], 0x98
	s_load_dwordx4 s[20:23], s[4:5], 0x58
	s_addc_u32 s1, s1, 0
	v_pk_mov_b32 v[2:3], 0, 0
	s_waitcnt lgkmcnt(0)
	s_bitcmp1_b32 s9, 0
	v_mov_b32_e32 v1, s17
	s_cselect_b64 s[24:25], -1, 0
	s_bitcmp1_b32 s9, 16
	buffer_store_dword v1, off, s[0:3], 0 offset:20
	v_mov_b32_e32 v1, s16
	s_cselect_b64 s[6:7], -1, 0
	buffer_store_dword v1, off, s[0:3], 0 offset:16
	v_mov_b32_e32 v1, s21
	buffer_store_dword v1, off, s[0:3], 0 offset:28
	v_mov_b32_e32 v1, s20
	s_xor_b64 s[10:11], s[6:7], -1
	buffer_store_dword v1, off, s[0:3], 0 offset:24
	v_cndmask_b32_e64 v1, 0, 1, s[10:11]
	s_bitcmp0_b32 s9, 0
	v_cmp_ne_u32_e64 s[10:11], 1, v1
	v_pk_mov_b32 v[6:7], v[2:3], v[2:3] op_sel:[0,1]
	v_pk_mov_b32 v[8:9], v[2:3], v[2:3] op_sel:[0,1]
	s_cbranch_scc1 .LBB167_3
; %bb.1:
	s_mov_b64 s[26:27], src_private_base
	s_and_b64 s[28:29], s[6:7], exec
	s_cselect_b32 s26, s27, s17
	v_mov_b32_e32 v1, 16
	v_mov_b32_e32 v4, s16
	v_cndmask_b32_e64 v4, v4, v1, s[6:7]
	v_mov_b32_e32 v5, s26
	flat_load_dwordx2 v[6:7], v[4:5]
	s_and_b64 vcc, exec, s[10:11]
	v_pk_mov_b32 v[8:9], s[18:19], s[18:19] op_sel:[0,1]
	s_cbranch_vccnz .LBB167_3
; %bb.2:
	v_pk_mov_b32 v[4:5], s[16:17], s[16:17] op_sel:[0,1]
	flat_load_dwordx2 v[8:9], v[4:5] offset:8
.LBB167_3:
	s_bitcmp1_b32 s9, 8
	s_cselect_b64 s[16:17], -1, 0
	s_bfe_u32 s9, s9, 0x10008
	s_cmp_eq_u32 s9, 0
	v_pk_mov_b32 v[4:5], v[2:3], v[2:3] op_sel:[0,1]
	s_cbranch_scc1 .LBB167_6
; %bb.4:
	s_mov_b64 s[18:19], src_private_base
	s_and_b64 s[26:27], s[6:7], exec
	s_cselect_b32 s9, s19, s21
	v_mov_b32_e32 v1, 24
	v_mov_b32_e32 v2, s20
	v_cndmask_b32_e64 v2, v2, v1, s[6:7]
	v_mov_b32_e32 v3, s9
	flat_load_dwordx2 v[4:5], v[2:3]
	s_and_b64 vcc, exec, s[10:11]
	v_pk_mov_b32 v[2:3], s[22:23], s[22:23] op_sel:[0,1]
	s_cbranch_vccnz .LBB167_6
; %bb.5:
	v_pk_mov_b32 v[2:3], s[20:21], s[20:21] op_sel:[0,1]
	flat_load_dwordx2 v[2:3], v[2:3] offset:8
.LBB167_6:
	s_load_dwordx2 s[44:45], s[4:5], 0x0
	s_mov_b32 s27, 0
	v_lshl_add_u32 v27, v0, 4, 0
	v_lshl_add_u32 v1, v0, 3, 0
	v_add_u32_e32 v18, 0x10000, v27
	s_waitcnt lgkmcnt(0)
	v_pk_mov_b32 v[10:11], s[44:45], s[44:45] op_sel:[0,1]
	s_mov_b32 s26, s27
	s_mov_b32 s6, s27
	;; [unrolled: 1-line block ×3, first 2 shown]
	v_pk_mov_b32 v[16:17], s[44:45], s[44:45] op_sel:[0,1]
	v_pk_mov_b32 v[12:13], s[26:27], s[26:27] op_sel:[0,1]
	;; [unrolled: 1-line block ×3, first 2 shown]
	ds_write2st64_b64 v1, v[10:11], v[16:17] offset1:16
	v_add_u32_e32 v10, 0x4000, v18
	v_add_u32_e32 v16, 0x8000, v18
	ds_write2_b64 v10, v[12:13], v[14:15] offset1:1
	v_pk_mov_b32 v[10:11], s[44:45], s[44:45] op_sel:[0,1]
	ds_write2_b64 v16, v[12:13], v[14:15] offset1:1
	v_pk_mov_b32 v[16:17], s[44:45], s[44:45] op_sel:[0,1]
	ds_write2st64_b64 v1, v[10:11], v[16:17] offset0:32 offset1:48
	v_add_u32_e32 v10, 0xc000, v18
	v_add_u32_e32 v16, 0x20000, v27
	ds_write2_b64 v10, v[12:13], v[14:15] offset1:1
	v_pk_mov_b32 v[10:11], s[44:45], s[44:45] op_sel:[0,1]
	ds_write2_b64 v16, v[12:13], v[14:15] offset1:1
	v_pk_mov_b32 v[16:17], s[44:45], s[44:45] op_sel:[0,1]
	ds_write2st64_b64 v1, v[10:11], v[16:17] offset0:64 offset1:80
	v_add_u32_e32 v10, 0x24000, v27
	v_add_u32_e32 v16, 0x28000, v27
	ds_write2_b64 v10, v[12:13], v[14:15] offset1:1
	v_pk_mov_b32 v[10:11], s[44:45], s[44:45] op_sel:[0,1]
	ds_write2_b64 v16, v[12:13], v[14:15] offset1:1
	v_pk_mov_b32 v[16:17], s[44:45], s[44:45] op_sel:[0,1]
	ds_write2st64_b64 v1, v[10:11], v[16:17] offset0:96 offset1:112
	v_add_u32_e32 v10, 0x2c000, v27
	ds_write2_b64 v18, v[12:13], v[14:15] offset1:1
	ds_write2_b64 v10, v[12:13], v[14:15] offset1:1
	s_waitcnt lgkmcnt(0)
	s_barrier
	s_load_dwordx2 s[6:7], s[12:13], 0x0
	s_mov_b32 s9, s27
	v_lshrrev_b32_e32 v30, 6, v0
	s_waitcnt lgkmcnt(0)
	s_lshl_b64 s[6:7], s[6:7], 3
	s_add_u32 s10, s14, s6
	s_addc_u32 s11, s15, s7
	s_lshl_b64 s[6:7], s[8:9], 3
	s_add_u32 s6, s10, s6
	s_addc_u32 s7, s11, s7
	s_load_dwordx2 s[46:47], s[6:7], 0x0
	s_andn2_b64 vcc, exec, s[24:25]
	s_cbranch_vccnz .LBB167_26
; %bb.7:
	s_load_dwordx2 s[6:7], s[4:5], 0x28
	s_waitcnt lgkmcnt(0)
	s_lshl_b64 s[8:9], s[46:47], 3
	v_subrev_co_u32_e32 v10, vcc, s36, v30
	s_add_u32 s6, s6, s8
	s_addc_u32 s7, s7, s9
	s_load_dwordx4 s[8:11], s[6:7], 0x0
	v_subb_co_u32_e64 v11, s[6:7], 0, 0, vcc
	s_waitcnt lgkmcnt(0)
	s_sub_u32 s6, s10, s36
	v_mov_b32_e32 v12, s9
	v_add_co_u32_e32 v10, vcc, s8, v10
	s_subb_u32 s7, s11, 0
	v_addc_co_u32_e32 v11, vcc, v12, v11, vcc
	v_cmp_gt_i64_e32 vcc, s[6:7], v[10:11]
	s_and_saveexec_b64 s[18:19], vcc
	s_cbranch_execz .LBB167_25
; %bb.8:
	s_load_dwordx2 s[20:21], s[4:5], 0x50
	s_load_dwordx8 s[8:15], s[4:5], 0x30
	v_and_b32_e32 v12, 63, v0
	v_subrev_co_u32_e32 v31, vcc, s37, v12
	s_mov_b32 s24, 0
	v_subb_co_u32_e64 v32, s[22:23], 0, 0, vcc
	s_mov_b32 s33, s36
	s_mov_b32 s48, s37
	s_mov_b64 s[22:23], 0
	s_waitcnt lgkmcnt(0)
	v_mov_b32_e32 v33, s9
	v_mov_b32_e32 v34, s27
	;; [unrolled: 1-line block ×4, first 2 shown]
	s_movk_i32 s9, 0x89
	s_branch .LBB167_10
.LBB167_9:                              ;   in Loop: Header=BB167_10 Depth=1
	s_or_b64 exec, exec, s[24:25]
	v_add_co_u32_e32 v10, vcc, 16, v10
	v_addc_co_u32_e32 v11, vcc, 0, v11, vcc
	v_cmp_le_i64_e32 vcc, s[6:7], v[10:11]
	s_or_b64 s[22:23], vcc, s[22:23]
	s_andn2_b64 exec, exec, s[22:23]
	s_cbranch_execz .LBB167_25
.LBB167_10:                             ; =>This Loop Header: Depth=1
                                        ;     Child Loop BB167_13 Depth 2
                                        ;       Child Loop BB167_15 Depth 3
	v_lshlrev_b64 v[12:13], 3, v[10:11]
	v_add_co_u32_e32 v12, vcc, s8, v12
	v_addc_co_u32_e32 v13, vcc, v33, v13, vcc
	global_load_dwordx2 v[12:13], v[12:13], off
	s_waitcnt vmcnt(0)
	v_subrev_co_u32_e32 v12, vcc, s33, v12
	v_subb_co_u32_e32 v13, vcc, v13, v34, vcc
	v_lshlrev_b64 v[12:13], 3, v[12:13]
	v_add_co_u32_e32 v12, vcc, s12, v12
	v_addc_co_u32_e32 v13, vcc, v35, v13, vcc
	global_load_dwordx4 v[14:17], v[12:13], off
	s_waitcnt vmcnt(0)
	v_subrev_co_u32_e32 v12, vcc, s48, v16
	v_subb_co_u32_e32 v13, vcc, v17, v36, vcc
	v_add_co_u32_e32 v14, vcc, v14, v31
	v_addc_co_u32_e32 v15, vcc, v15, v32, vcc
	v_cmp_lt_i64_e32 vcc, v[14:15], v[12:13]
	s_and_saveexec_b64 s[24:25], vcc
	s_cbranch_execz .LBB167_9
; %bb.11:                               ;   in Loop: Header=BB167_10 Depth=1
	v_lshlrev_b64 v[16:17], 4, v[10:11]
	v_mov_b32_e32 v18, s11
	v_add_co_u32_e32 v16, vcc, s10, v16
	v_addc_co_u32_e32 v17, vcc, v18, v17, vcc
	global_load_dwordx4 v[20:23], v[16:17], off
	s_mov_b64 s[26:27], 0
	s_waitcnt vmcnt(0)
	v_mul_f64 v[16:17], v[22:23], -v[8:9]
	v_mul_f64 v[18:19], v[6:7], v[22:23]
	v_fmac_f64_e32 v[16:17], v[6:7], v[20:21]
	v_fmac_f64_e32 v[18:19], v[8:9], v[20:21]
	s_branch .LBB167_13
.LBB167_12:                             ;   in Loop: Header=BB167_13 Depth=2
	s_or_b64 exec, exec, s[28:29]
	v_add_co_u32_e32 v14, vcc, 64, v14
	v_addc_co_u32_e32 v15, vcc, 0, v15, vcc
	v_cmp_ge_i64_e32 vcc, v[14:15], v[12:13]
	s_or_b64 s[26:27], vcc, s[26:27]
	s_andn2_b64 exec, exec, s[26:27]
	s_cbranch_execz .LBB167_9
.LBB167_13:                             ;   Parent Loop BB167_10 Depth=1
                                        ; =>  This Loop Header: Depth=2
                                        ;       Child Loop BB167_15 Depth 3
	v_lshlrev_b64 v[20:21], 3, v[14:15]
	v_mov_b32_e32 v22, s15
	v_add_co_u32_e32 v20, vcc, s14, v20
	v_addc_co_u32_e32 v21, vcc, v22, v21, vcc
	v_lshlrev_b64 v[22:23], 4, v[14:15]
	v_mov_b32_e32 v24, s21
	v_add_co_u32_e32 v22, vcc, s20, v22
	global_load_dwordx2 v[20:21], v[20:21], off
	v_addc_co_u32_e32 v23, vcc, v24, v23, vcc
	global_load_dwordx4 v[38:41], v[22:23], off
	s_mov_b64 s[28:29], 0
	s_waitcnt vmcnt(1)
	v_subrev_co_u32_e32 v20, vcc, s48, v20
	v_mul_lo_u32 v26, v20, s9
	s_waitcnt vmcnt(0)
	v_mul_f64 v[22:23], v[40:41], -v[18:19]
	v_mul_f64 v[24:25], v[16:17], v[40:41]
	v_subb_co_u32_e32 v21, vcc, v21, v36, vcc
	v_fmac_f64_e32 v[22:23], v[16:17], v[38:39]
	v_fmac_f64_e32 v[24:25], v[18:19], v[38:39]
	v_and_b32_e32 v26, 0x1fff, v26
	s_branch .LBB167_15
.LBB167_14:                             ;   in Loop: Header=BB167_15 Depth=3
	s_or_b64 exec, exec, s[30:31]
	s_xor_b64 s[30:31], s[34:35], -1
	s_and_b64 s[30:31], exec, s[30:31]
	s_or_b64 s[28:29], s[30:31], s[28:29]
	s_andn2_b64 exec, exec, s[28:29]
	s_cbranch_execz .LBB167_12
.LBB167_15:                             ;   Parent Loop BB167_10 Depth=1
                                        ;     Parent Loop BB167_13 Depth=2
                                        ; =>    This Inner Loop Header: Depth=3
	v_lshl_add_u32 v37, v26, 3, 0
	ds_read_b64 v[28:29], v37
                                        ; implicit-def: $sgpr34_sgpr35
	s_waitcnt lgkmcnt(0)
	v_cmp_ne_u64_e32 vcc, v[28:29], v[20:21]
	s_and_saveexec_b64 s[30:31], vcc
	s_xor_b64 s[30:31], exec, s[30:31]
	s_cbranch_execz .LBB167_23
; %bb.16:                               ;   in Loop: Header=BB167_15 Depth=3
	v_cmp_ne_u64_e32 vcc, s[44:45], v[28:29]
                                        ; implicit-def: $sgpr34_sgpr35
	s_and_saveexec_b64 s[36:37], vcc
	s_xor_b64 s[36:37], exec, s[36:37]
; %bb.17:                               ;   in Loop: Header=BB167_15 Depth=3
	v_add_u32_e32 v26, 1, v26
	v_and_b32_e32 v26, 0x1fff, v26
	s_mov_b64 s[34:35], -1
                                        ; implicit-def: $vgpr37
; %bb.18:                               ;   in Loop: Header=BB167_15 Depth=3
	s_andn2_saveexec_b64 s[36:37], s[36:37]
	s_cbranch_execz .LBB167_22
; %bb.19:                               ;   in Loop: Header=BB167_15 Depth=3
	v_pk_mov_b32 v[28:29], s[44:45], s[44:45] op_sel:[0,1]
	ds_cmpst_rtn_b64 v[28:29], v37, v[28:29], v[20:21]
	s_mov_b64 s[42:43], -1
	s_waitcnt lgkmcnt(0)
	v_cmp_eq_u64_e32 vcc, s[44:45], v[28:29]
	s_and_saveexec_b64 s[40:41], vcc
	s_cbranch_execz .LBB167_21
; %bb.20:                               ;   in Loop: Header=BB167_15 Depth=3
	v_lshl_add_u32 v28, v26, 4, 0
	v_add_u32_e32 v28, 0x10000, v28
	ds_add_f64 v28, v[22:23]
	ds_add_f64 v28, v[24:25] offset:8
	s_xor_b64 s[42:43], exec, -1
.LBB167_21:                             ;   in Loop: Header=BB167_15 Depth=3
	s_or_b64 exec, exec, s[40:41]
	s_andn2_b64 s[34:35], s[34:35], exec
	s_and_b64 s[40:41], s[42:43], exec
	s_or_b64 s[34:35], s[34:35], s[40:41]
.LBB167_22:                             ;   in Loop: Header=BB167_15 Depth=3
	s_or_b64 exec, exec, s[36:37]
	s_and_b64 s[34:35], s[34:35], exec
.LBB167_23:                             ;   in Loop: Header=BB167_15 Depth=3
	s_andn2_saveexec_b64 s[30:31], s[30:31]
	s_cbranch_execz .LBB167_14
; %bb.24:                               ;   in Loop: Header=BB167_15 Depth=3
	v_lshl_add_u32 v28, v26, 4, 0
	v_add_u32_e32 v28, 0x10000, v28
	ds_add_f64 v28, v[22:23]
	ds_add_f64 v28, v[24:25] offset:8
	s_andn2_b64 s[34:35], s[34:35], exec
	s_branch .LBB167_14
.LBB167_25:
	s_or_b64 exec, exec, s[18:19]
.LBB167_26:
	s_load_dwordx2 s[48:49], s[4:5], 0x90
	s_load_dwordx4 s[40:43], s[4:5], 0x80
	s_andn2_b64 vcc, exec, s[16:17]
	s_cbranch_vccnz .LBB167_43
; %bb.27:
	s_load_dwordx2 s[6:7], s[4:5], 0x68
	s_waitcnt lgkmcnt(0)
	s_lshl_b64 s[8:9], s[46:47], 3
	s_waitcnt vmcnt(0)
	v_subrev_co_u32_e32 v6, vcc, s39, v0
	s_mov_b32 s14, 0
	s_add_u32 s6, s6, s8
	s_addc_u32 s7, s7, s9
	s_load_dwordx4 s[16:19], s[6:7], 0x0
	v_subb_co_u32_e64 v7, s[6:7], 0, 0, vcc
	s_waitcnt lgkmcnt(0)
	s_sub_u32 s8, s18, s39
	v_mov_b32_e32 v8, s17
	v_add_co_u32_e32 v6, vcc, s16, v6
	s_subb_u32 s9, s19, 0
	v_addc_co_u32_e32 v7, vcc, v8, v7, vcc
	v_cmp_gt_i64_e32 vcc, s[8:9], v[6:7]
	s_and_saveexec_b64 s[10:11], vcc
	s_cbranch_execz .LBB167_42
; %bb.28:
	s_load_dwordx4 s[4:7], s[4:5], 0x70
	s_mov_b32 s26, s39
	s_mov_b64 s[12:13], 0
	v_mov_b32_e32 v15, s14
	s_waitcnt lgkmcnt(0)
	v_mov_b32_e32 v18, s5
	v_mov_b32_e32 v19, s7
	s_movk_i32 s5, 0x89
	s_branch .LBB167_30
.LBB167_29:                             ;   in Loop: Header=BB167_30 Depth=1
	s_or_b64 exec, exec, s[14:15]
	v_add_co_u32_e32 v6, vcc, 0x400, v6
	v_addc_co_u32_e32 v7, vcc, 0, v7, vcc
	v_cmp_le_i64_e32 vcc, s[8:9], v[6:7]
	s_or_b64 s[12:13], vcc, s[12:13]
	s_andn2_b64 exec, exec, s[12:13]
	s_cbranch_execz .LBB167_42
.LBB167_30:                             ; =>This Loop Header: Depth=1
                                        ;     Child Loop BB167_32 Depth 2
	v_lshlrev_b64 v[8:9], 3, v[6:7]
	v_add_co_u32_e32 v8, vcc, s4, v8
	v_addc_co_u32_e32 v9, vcc, v18, v9, vcc
	v_lshlrev_b64 v[10:11], 4, v[6:7]
	v_add_co_u32_e32 v10, vcc, s6, v10
	global_load_dwordx2 v[8:9], v[8:9], off
	v_addc_co_u32_e32 v11, vcc, v19, v11, vcc
	global_load_dwordx4 v[20:23], v[10:11], off
	s_mov_b64 s[14:15], 0
	s_waitcnt vmcnt(1)
	v_subrev_co_u32_e32 v8, vcc, s26, v8
	v_mul_lo_u32 v14, v8, s5
	s_waitcnt vmcnt(0)
	v_mul_f64 v[10:11], v[22:23], -v[2:3]
	v_mul_f64 v[12:13], v[4:5], v[22:23]
	v_subb_co_u32_e32 v9, vcc, v9, v15, vcc
	v_fmac_f64_e32 v[10:11], v[4:5], v[20:21]
	v_fmac_f64_e32 v[12:13], v[2:3], v[20:21]
	v_and_b32_e32 v14, 0x1fff, v14
	s_branch .LBB167_32
.LBB167_31:                             ;   in Loop: Header=BB167_32 Depth=2
	s_or_b64 exec, exec, s[16:17]
	s_xor_b64 s[16:17], s[18:19], -1
	s_and_b64 s[16:17], exec, s[16:17]
	s_or_b64 s[14:15], s[16:17], s[14:15]
	s_andn2_b64 exec, exec, s[14:15]
	s_cbranch_execz .LBB167_29
.LBB167_32:                             ;   Parent Loop BB167_30 Depth=1
                                        ; =>  This Inner Loop Header: Depth=2
	v_lshl_add_u32 v20, v14, 3, 0
	ds_read_b64 v[16:17], v20
                                        ; implicit-def: $sgpr18_sgpr19
	s_waitcnt lgkmcnt(0)
	v_cmp_ne_u64_e32 vcc, v[16:17], v[8:9]
	s_and_saveexec_b64 s[16:17], vcc
	s_xor_b64 s[16:17], exec, s[16:17]
	s_cbranch_execz .LBB167_40
; %bb.33:                               ;   in Loop: Header=BB167_32 Depth=2
	v_cmp_ne_u64_e32 vcc, s[44:45], v[16:17]
                                        ; implicit-def: $sgpr18_sgpr19
	s_and_saveexec_b64 s[20:21], vcc
	s_xor_b64 s[20:21], exec, s[20:21]
; %bb.34:                               ;   in Loop: Header=BB167_32 Depth=2
	v_add_u32_e32 v14, 1, v14
	v_and_b32_e32 v14, 0x1fff, v14
	s_mov_b64 s[18:19], -1
                                        ; implicit-def: $vgpr20
; %bb.35:                               ;   in Loop: Header=BB167_32 Depth=2
	s_andn2_saveexec_b64 s[20:21], s[20:21]
	s_cbranch_execz .LBB167_39
; %bb.36:                               ;   in Loop: Header=BB167_32 Depth=2
	v_pk_mov_b32 v[16:17], s[44:45], s[44:45] op_sel:[0,1]
	ds_cmpst_rtn_b64 v[16:17], v20, v[16:17], v[8:9]
	s_mov_b64 s[24:25], -1
	s_waitcnt lgkmcnt(0)
	v_cmp_eq_u64_e32 vcc, s[44:45], v[16:17]
	s_and_saveexec_b64 s[22:23], vcc
	s_cbranch_execz .LBB167_38
; %bb.37:                               ;   in Loop: Header=BB167_32 Depth=2
	v_lshl_add_u32 v16, v14, 4, 0
	v_add_u32_e32 v16, 0x10000, v16
	ds_add_f64 v16, v[10:11]
	ds_add_f64 v16, v[12:13] offset:8
	s_xor_b64 s[24:25], exec, -1
.LBB167_38:                             ;   in Loop: Header=BB167_32 Depth=2
	s_or_b64 exec, exec, s[22:23]
	s_andn2_b64 s[18:19], s[18:19], exec
	s_and_b64 s[22:23], s[24:25], exec
	s_or_b64 s[18:19], s[18:19], s[22:23]
.LBB167_39:                             ;   in Loop: Header=BB167_32 Depth=2
	s_or_b64 exec, exec, s[20:21]
	s_and_b64 s[18:19], s[18:19], exec
.LBB167_40:                             ;   in Loop: Header=BB167_32 Depth=2
	s_andn2_saveexec_b64 s[16:17], s[16:17]
	s_cbranch_execz .LBB167_31
; %bb.41:                               ;   in Loop: Header=BB167_32 Depth=2
	v_lshl_add_u32 v16, v14, 4, 0
	v_add_u32_e32 v16, 0x10000, v16
	ds_add_f64 v16, v[10:11]
	ds_add_f64 v16, v[12:13] offset:8
	s_andn2_b64 s[18:19], s[18:19], exec
	s_branch .LBB167_31
.LBB167_42:
	s_or_b64 exec, exec, s[10:11]
.LBB167_43:
	s_waitcnt vmcnt(0)
	v_mbcnt_lo_u32_b32 v2, -1, 0
	v_mbcnt_hi_u32_b32 v2, -1, v2
	v_sub_u32_e32 v2, 63, v2
	s_add_i32 s33, 0, 0x30000
	s_movk_i32 s4, 0x3ff
	s_movk_i32 s6, 0x7f
	;; [unrolled: 1-line block ×15, first 2 shown]
	v_mov_b32_e32 v3, 0
	v_lshrrev_b64 v[4:5], v2, -1
	v_lshl_add_u32 v12, v30, 3, s33
	v_cmp_eq_u32_e32 vcc, s4, v0
	v_cmp_lt_u32_e64 s[4:5], 63, v0
	v_cmp_lt_u32_e64 s[6:7], s6, v0
	;; [unrolled: 1-line block ×15, first 2 shown]
	v_or_b32_e32 v13, 0xfffffc00, v0
	v_add_u32_e32 v14, 0x10000, v27
	s_mov_b64 s[50:51], 0
	v_pk_mov_b32 v[6:7], 0, 0
	s_add_i32 s39, 0, 0x30008
	s_add_i32 s54, 0, 0x30010
	;; [unrolled: 1-line block ×15, first 2 shown]
	s_movk_i32 s68, 0x1bff
	s_waitcnt lgkmcnt(0)
	s_barrier
	s_branch .LBB167_45
.LBB167_44:                             ;   in Loop: Header=BB167_45 Depth=1
	s_or_b64 exec, exec, s[36:37]
	v_mov_b32_e32 v2, s67
	s_waitcnt lgkmcnt(0)
	s_barrier
	ds_read_b64 v[8:9], v2
	v_add_u32_e32 v13, 0x400, v13
	v_add_u32_e32 v14, 0x4000, v14
	v_add_u32_e32 v1, 0x2000, v1
	s_waitcnt lgkmcnt(0)
	v_add_co_u32_e64 v6, s[36:37], v8, v6
	v_addc_co_u32_e64 v7, s[36:37], v9, v7, s[36:37]
	v_cmp_lt_u32_e64 s[36:37], s68, v13
	s_or_b64 s[50:51], s[36:37], s[50:51]
	s_andn2_b64 exec, exec, s[50:51]
	s_cbranch_execz .LBB167_79
.LBB167_45:                             ; =>This Inner Loop Header: Depth=1
	ds_read2_b64 v[16:19], v14 offset1:1
	ds_read_b64 v[10:11], v1
	s_waitcnt lgkmcnt(1)
	buffer_store_dword v19, off, s[0:3], 0 offset:12
	buffer_store_dword v18, off, s[0:3], 0 offset:8
	;; [unrolled: 1-line block ×3, first 2 shown]
	buffer_store_dword v16, off, s[0:3], 0
	s_waitcnt lgkmcnt(0)
	v_cmp_gt_i64_e64 s[36:37], s[44:45], v[10:11]
	v_and_b32_e32 v9, s36, v4
	s_bcnt1_i32_b64 s52, s[36:37]
	v_and_b32_e32 v8, s37, v5
	v_bcnt_u32_b32 v9, v9, 0
	v_mov_b32_e32 v2, s52
	v_bcnt_u32_b32 v8, v8, v9
	s_barrier
	ds_write_b64 v12, v[2:3]
	s_waitcnt lgkmcnt(0)
	s_barrier
	s_and_saveexec_b64 s[52:53], s[4:5]
	s_cbranch_execnz .LBB167_62
; %bb.46:                               ;   in Loop: Header=BB167_45 Depth=1
	s_or_b64 exec, exec, s[52:53]
	s_and_saveexec_b64 s[52:53], s[6:7]
	s_cbranch_execnz .LBB167_63
.LBB167_47:                             ;   in Loop: Header=BB167_45 Depth=1
	s_or_b64 exec, exec, s[52:53]
	s_and_saveexec_b64 s[52:53], s[8:9]
	s_cbranch_execnz .LBB167_64
.LBB167_48:                             ;   in Loop: Header=BB167_45 Depth=1
	s_or_b64 exec, exec, s[52:53]
	s_and_saveexec_b64 s[52:53], s[10:11]
	s_cbranch_execnz .LBB167_65
.LBB167_49:                             ;   in Loop: Header=BB167_45 Depth=1
	s_or_b64 exec, exec, s[52:53]
	s_and_saveexec_b64 s[52:53], s[12:13]
	s_cbranch_execnz .LBB167_66
.LBB167_50:                             ;   in Loop: Header=BB167_45 Depth=1
	s_or_b64 exec, exec, s[52:53]
	s_and_saveexec_b64 s[52:53], s[14:15]
	s_cbranch_execnz .LBB167_67
.LBB167_51:                             ;   in Loop: Header=BB167_45 Depth=1
	s_or_b64 exec, exec, s[52:53]
	s_and_saveexec_b64 s[52:53], s[16:17]
	s_cbranch_execnz .LBB167_68
.LBB167_52:                             ;   in Loop: Header=BB167_45 Depth=1
	s_or_b64 exec, exec, s[52:53]
	s_and_saveexec_b64 s[52:53], s[18:19]
	s_cbranch_execnz .LBB167_69
.LBB167_53:                             ;   in Loop: Header=BB167_45 Depth=1
	s_or_b64 exec, exec, s[52:53]
	s_and_saveexec_b64 s[52:53], s[20:21]
	s_cbranch_execnz .LBB167_70
.LBB167_54:                             ;   in Loop: Header=BB167_45 Depth=1
	s_or_b64 exec, exec, s[52:53]
	s_and_saveexec_b64 s[52:53], s[22:23]
	s_cbranch_execnz .LBB167_71
.LBB167_55:                             ;   in Loop: Header=BB167_45 Depth=1
	s_or_b64 exec, exec, s[52:53]
	s_and_saveexec_b64 s[52:53], s[24:25]
	s_cbranch_execnz .LBB167_72
.LBB167_56:                             ;   in Loop: Header=BB167_45 Depth=1
	s_or_b64 exec, exec, s[52:53]
	s_and_saveexec_b64 s[52:53], s[26:27]
	s_cbranch_execnz .LBB167_73
.LBB167_57:                             ;   in Loop: Header=BB167_45 Depth=1
	s_or_b64 exec, exec, s[52:53]
	s_and_saveexec_b64 s[52:53], s[28:29]
	s_cbranch_execnz .LBB167_74
.LBB167_58:                             ;   in Loop: Header=BB167_45 Depth=1
	s_or_b64 exec, exec, s[52:53]
	s_and_saveexec_b64 s[52:53], s[30:31]
	s_cbranch_execnz .LBB167_75
.LBB167_59:                             ;   in Loop: Header=BB167_45 Depth=1
	s_or_b64 exec, exec, s[52:53]
	s_and_saveexec_b64 s[52:53], s[34:35]
	s_cbranch_execnz .LBB167_76
.LBB167_60:                             ;   in Loop: Header=BB167_45 Depth=1
	s_or_b64 exec, exec, s[52:53]
	v_ashrrev_i32_e32 v9, 31, v8
	s_and_saveexec_b64 s[52:53], s[36:37]
	s_cbranch_execnz .LBB167_77
.LBB167_61:                             ;   in Loop: Header=BB167_45 Depth=1
	s_or_b64 exec, exec, s[52:53]
	s_and_saveexec_b64 s[36:37], vcc
	s_cbranch_execz .LBB167_44
	s_branch .LBB167_78
.LBB167_62:                             ;   in Loop: Header=BB167_45 Depth=1
	v_mov_b32_e32 v2, s33
	ds_read_b32 v2, v2
	s_waitcnt lgkmcnt(0)
	v_add_u32_e32 v8, v2, v8
	s_or_b64 exec, exec, s[52:53]
	s_and_saveexec_b64 s[52:53], s[6:7]
	s_cbranch_execz .LBB167_47
.LBB167_63:                             ;   in Loop: Header=BB167_45 Depth=1
	v_mov_b32_e32 v2, s39
	ds_read_b32 v2, v2
	s_waitcnt lgkmcnt(0)
	v_add_u32_e32 v8, v8, v2
	s_or_b64 exec, exec, s[52:53]
	s_and_saveexec_b64 s[52:53], s[8:9]
	s_cbranch_execz .LBB167_48
.LBB167_64:                             ;   in Loop: Header=BB167_45 Depth=1
	v_mov_b32_e32 v2, s54
	ds_read_b32 v2, v2
	s_waitcnt lgkmcnt(0)
	v_add_u32_e32 v8, v8, v2
	s_or_b64 exec, exec, s[52:53]
	s_and_saveexec_b64 s[52:53], s[10:11]
	s_cbranch_execz .LBB167_49
.LBB167_65:                             ;   in Loop: Header=BB167_45 Depth=1
	v_mov_b32_e32 v2, s55
	ds_read_b32 v2, v2
	s_waitcnt lgkmcnt(0)
	v_add_u32_e32 v8, v8, v2
	s_or_b64 exec, exec, s[52:53]
	s_and_saveexec_b64 s[52:53], s[12:13]
	s_cbranch_execz .LBB167_50
.LBB167_66:                             ;   in Loop: Header=BB167_45 Depth=1
	v_mov_b32_e32 v2, s56
	ds_read_b32 v2, v2
	s_waitcnt lgkmcnt(0)
	v_add_u32_e32 v8, v8, v2
	s_or_b64 exec, exec, s[52:53]
	s_and_saveexec_b64 s[52:53], s[14:15]
	s_cbranch_execz .LBB167_51
.LBB167_67:                             ;   in Loop: Header=BB167_45 Depth=1
	v_mov_b32_e32 v2, s57
	ds_read_b32 v2, v2
	s_waitcnt lgkmcnt(0)
	v_add_u32_e32 v8, v8, v2
	s_or_b64 exec, exec, s[52:53]
	s_and_saveexec_b64 s[52:53], s[16:17]
	s_cbranch_execz .LBB167_52
.LBB167_68:                             ;   in Loop: Header=BB167_45 Depth=1
	v_mov_b32_e32 v2, s58
	ds_read_b32 v2, v2
	s_waitcnt lgkmcnt(0)
	v_add_u32_e32 v8, v8, v2
	s_or_b64 exec, exec, s[52:53]
	s_and_saveexec_b64 s[52:53], s[18:19]
	s_cbranch_execz .LBB167_53
.LBB167_69:                             ;   in Loop: Header=BB167_45 Depth=1
	v_mov_b32_e32 v2, s59
	ds_read_b32 v2, v2
	s_waitcnt lgkmcnt(0)
	v_add_u32_e32 v8, v8, v2
	s_or_b64 exec, exec, s[52:53]
	s_and_saveexec_b64 s[52:53], s[20:21]
	s_cbranch_execz .LBB167_54
.LBB167_70:                             ;   in Loop: Header=BB167_45 Depth=1
	v_mov_b32_e32 v2, s60
	ds_read_b32 v2, v2
	s_waitcnt lgkmcnt(0)
	v_add_u32_e32 v8, v8, v2
	s_or_b64 exec, exec, s[52:53]
	s_and_saveexec_b64 s[52:53], s[22:23]
	s_cbranch_execz .LBB167_55
.LBB167_71:                             ;   in Loop: Header=BB167_45 Depth=1
	v_mov_b32_e32 v2, s61
	ds_read_b32 v2, v2
	s_waitcnt lgkmcnt(0)
	v_add_u32_e32 v8, v8, v2
	s_or_b64 exec, exec, s[52:53]
	s_and_saveexec_b64 s[52:53], s[24:25]
	s_cbranch_execz .LBB167_56
.LBB167_72:                             ;   in Loop: Header=BB167_45 Depth=1
	v_mov_b32_e32 v2, s62
	ds_read_b32 v2, v2
	s_waitcnt lgkmcnt(0)
	v_add_u32_e32 v8, v8, v2
	s_or_b64 exec, exec, s[52:53]
	s_and_saveexec_b64 s[52:53], s[26:27]
	s_cbranch_execz .LBB167_57
.LBB167_73:                             ;   in Loop: Header=BB167_45 Depth=1
	v_mov_b32_e32 v2, s63
	ds_read_b32 v2, v2
	s_waitcnt lgkmcnt(0)
	v_add_u32_e32 v8, v8, v2
	s_or_b64 exec, exec, s[52:53]
	s_and_saveexec_b64 s[52:53], s[28:29]
	s_cbranch_execz .LBB167_58
.LBB167_74:                             ;   in Loop: Header=BB167_45 Depth=1
	v_mov_b32_e32 v2, s64
	ds_read_b32 v2, v2
	s_waitcnt lgkmcnt(0)
	v_add_u32_e32 v8, v8, v2
	s_or_b64 exec, exec, s[52:53]
	s_and_saveexec_b64 s[52:53], s[30:31]
	s_cbranch_execz .LBB167_59
.LBB167_75:                             ;   in Loop: Header=BB167_45 Depth=1
	v_mov_b32_e32 v2, s65
	ds_read_b32 v2, v2
	s_waitcnt lgkmcnt(0)
	v_add_u32_e32 v8, v8, v2
	s_or_b64 exec, exec, s[52:53]
	s_and_saveexec_b64 s[52:53], s[34:35]
	s_cbranch_execz .LBB167_60
.LBB167_76:                             ;   in Loop: Header=BB167_45 Depth=1
	v_mov_b32_e32 v2, s66
	ds_read_b32 v2, v2
	s_waitcnt lgkmcnt(0)
	v_add_u32_e32 v8, v8, v2
	s_or_b64 exec, exec, s[52:53]
	v_ashrrev_i32_e32 v9, 31, v8
	s_and_saveexec_b64 s[52:53], s[36:37]
	s_cbranch_execz .LBB167_61
.LBB167_77:                             ;   in Loop: Header=BB167_45 Depth=1
	buffer_load_dword v16, off, s[0:3], 0
	buffer_load_dword v17, off, s[0:3], 0 offset:4
	buffer_load_dword v18, off, s[0:3], 0 offset:8
	;; [unrolled: 1-line block ×3, first 2 shown]
	v_add3_u32 v2, v6, -1, v8
	v_lshl_add_u32 v15, v2, 3, 0
	v_lshl_add_u32 v2, v2, 4, 0
	v_add_u32_e32 v2, 0x10000, v2
	ds_write_b64 v15, v[10:11]
	s_waitcnt vmcnt(0)
	ds_write2_b64 v2, v[16:17], v[18:19] offset1:1
	s_or_b64 exec, exec, s[52:53]
	s_and_saveexec_b64 s[36:37], vcc
	s_cbranch_execz .LBB167_44
.LBB167_78:                             ;   in Loop: Header=BB167_45 Depth=1
	v_mov_b32_e32 v2, s67
	ds_write_b64 v2, v[8:9]
	s_branch .LBB167_44
.LBB167_79:
	s_or_b64 exec, exec, s[50:51]
	s_lshl_b64 s[4:5], s[46:47], 3
	s_add_u32 s4, s40, s4
	s_addc_u32 s5, s41, s5
	s_load_dwordx4 s[4:7], s[4:5], 0x0
	v_mov_b32_e32 v1, 0
	s_waitcnt lgkmcnt(0)
	s_sub_u32 s8, s6, s4
	s_subb_u32 s9, s7, s5
	v_cmp_gt_i64_e32 vcc, s[8:9], v[0:1]
	s_and_saveexec_b64 s[10:11], vcc
	s_cbranch_execz .LBB167_89
; %bb.80:
	s_sub_u32 s10, s4, s38
	s_subb_u32 s11, s5, 0
	s_and_b32 s12, s8, 7
	s_sub_u32 s4, s4, s6
	s_mov_b32 s20, 0
	s_subb_u32 s5, s5, s7
	s_mov_b32 s13, s20
	s_and_b32 s6, s8, -8
	v_cmp_lt_u64_e64 s[4:5], s[4:5], -7
	s_cmp_lg_u64 s[12:13], 0
	v_cndmask_b32_e64 v2, 0, 1, s[4:5]
	s_mov_b32 s7, s9
	s_mov_b64 s[14:15], 0
	s_cselect_b64 s[16:17], -1, 0
	v_cmp_ne_u32_e64 s[4:5], 1, v2
	s_branch .LBB167_82
.LBB167_81:                             ;   in Loop: Header=BB167_82 Depth=1
	v_lshl_add_u32 v6, v0, 4, 0
	v_add_u32_e32 v8, 0x10000, v6
	v_mov_b32_e32 v6, s20
	s_waitcnt lgkmcnt(0)
	v_add_co_u32_e32 v2, vcc, s38, v2
	v_addc_co_u32_e32 v3, vcc, v3, v6, vcc
	v_lshlrev_b64 v[6:7], 3, v[4:5]
	v_mov_b32_e32 v9, s43
	v_add_co_u32_e32 v6, vcc, s42, v6
	v_addc_co_u32_e32 v7, vcc, v9, v7, vcc
	global_store_dwordx2 v[6:7], v[2:3], off
	v_lshlrev_b64 v[2:3], 4, v[4:5]
	v_mov_b32_e32 v4, s49
	v_add_co_u32_e32 v6, vcc, s48, v2
	v_addc_co_u32_e32 v7, vcc, v4, v3, vcc
	ds_read2_b64 v[2:5], v8 offset1:1
	v_add_co_u32_e32 v0, vcc, 0x400, v0
	v_addc_co_u32_e32 v1, vcc, 0, v1, vcc
	v_cmp_le_i64_e32 vcc, s[8:9], v[0:1]
	s_or_b64 s[14:15], vcc, s[14:15]
	s_waitcnt lgkmcnt(0)
	global_store_dwordx4 v[6:7], v[2:5], off
	s_andn2_b64 exec, exec, s[14:15]
	s_cbranch_execz .LBB167_89
.LBB167_82:                             ; =>This Loop Header: Depth=1
                                        ;     Child Loop BB167_84 Depth 2
                                        ;     Child Loop BB167_88 Depth 2
	v_lshl_add_u32 v2, v0, 3, 0
	ds_read_b64 v[2:3], v2
	s_and_b64 vcc, exec, s[4:5]
	v_pk_mov_b32 v[4:5], s[10:11], s[10:11] op_sel:[0,1]
	s_mov_b64 s[18:19], 0
	s_cbranch_vccnz .LBB167_86
; %bb.83:                               ;   in Loop: Header=BB167_82 Depth=1
	s_mov_b32 s21, 0
	v_pk_mov_b32 v[4:5], s[10:11], s[10:11] op_sel:[0,1]
.LBB167_84:                             ;   Parent Loop BB167_82 Depth=1
                                        ; =>  This Inner Loop Header: Depth=2
	v_mov_b32_e32 v18, s21
	ds_read2_b64 v[6:9], v18 offset1:1
	ds_read2_b64 v[10:13], v18 offset0:2 offset1:3
	ds_read2_b64 v[14:17], v18 offset0:4 offset1:5
	;; [unrolled: 1-line block ×3, first 2 shown]
	s_add_u32 s18, s18, 8
	s_waitcnt lgkmcnt(3)
	v_cmp_gt_i64_e32 vcc, v[2:3], v[6:7]
	v_cndmask_b32_e64 v6, 0, 1, vcc
	v_cmp_gt_i64_e32 vcc, v[2:3], v[8:9]
	v_cndmask_b32_e64 v7, 0, 1, vcc
	s_waitcnt lgkmcnt(2)
	v_cmp_gt_i64_e32 vcc, v[2:3], v[10:11]
	v_cndmask_b32_e64 v8, 0, 1, vcc
	v_cmp_gt_i64_e32 vcc, v[2:3], v[12:13]
	v_cndmask_b32_e64 v9, 0, 1, vcc
	;; [unrolled: 5-line block ×4, first 2 shown]
	v_add_co_u32_e32 v4, vcc, v4, v6
	v_addc_co_u32_e32 v5, vcc, 0, v5, vcc
	v_add_co_u32_e32 v4, vcc, v4, v7
	v_addc_co_u32_e32 v5, vcc, 0, v5, vcc
	;; [unrolled: 2-line block ×7, first 2 shown]
	s_addc_u32 s19, s19, 0
	s_add_i32 s21, s21, 64
	v_add_co_u32_e32 v4, vcc, v4, v13
	s_cmp_eq_u64 s[6:7], s[18:19]
	v_addc_co_u32_e32 v5, vcc, 0, v5, vcc
	s_cbranch_scc0 .LBB167_84
; %bb.85:                               ;   in Loop: Header=BB167_82 Depth=1
	s_mov_b64 s[18:19], s[6:7]
.LBB167_86:                             ;   in Loop: Header=BB167_82 Depth=1
	s_andn2_b64 vcc, exec, s[16:17]
	s_cbranch_vccnz .LBB167_81
; %bb.87:                               ;   in Loop: Header=BB167_82 Depth=1
	s_lshl_b32 s18, s18, 3
	s_add_i32 s21, s18, 0
	s_mov_b64 s[18:19], s[12:13]
.LBB167_88:                             ;   Parent Loop BB167_82 Depth=1
                                        ; =>  This Inner Loop Header: Depth=2
	v_mov_b32_e32 v6, s21
	ds_read_b64 v[6:7], v6
	s_add_i32 s21, s21, 8
	s_add_u32 s18, s18, -1
	s_addc_u32 s19, s19, -1
	s_cmp_lg_u64 s[18:19], 0
	s_waitcnt lgkmcnt(0)
	v_cmp_gt_i64_e32 vcc, v[2:3], v[6:7]
	v_cndmask_b32_e64 v6, 0, 1, vcc
	v_add_co_u32_e32 v4, vcc, v4, v6
	v_addc_co_u32_e32 v5, vcc, 0, v5, vcc
	s_cbranch_scc1 .LBB167_88
	s_branch .LBB167_81
.LBB167_89:
	s_endpgm
	.section	.rodata,"a",@progbits
	.p2align	6, 0x0
	.amdhsa_kernel _ZN9rocsparseL26csrgemm_fill_block_per_rowILj1024ELj64ELj8192ELj137ELj64Ell21rocsparse_complex_numIdEEEvT5_PKS3_S5_NS_24const_host_device_scalarIT6_EEPKT4_S5_PKS7_SB_S5_SD_S8_SB_S5_SD_SB_PS3_PS7_21rocsparse_index_base_SG_SG_SG_bbb
		.amdhsa_group_segment_fixed_size 0
		.amdhsa_private_segment_fixed_size 40
		.amdhsa_kernarg_size 172
		.amdhsa_user_sgpr_count 8
		.amdhsa_user_sgpr_private_segment_buffer 1
		.amdhsa_user_sgpr_dispatch_ptr 0
		.amdhsa_user_sgpr_queue_ptr 0
		.amdhsa_user_sgpr_kernarg_segment_ptr 1
		.amdhsa_user_sgpr_dispatch_id 0
		.amdhsa_user_sgpr_flat_scratch_init 1
		.amdhsa_user_sgpr_kernarg_preload_length 0
		.amdhsa_user_sgpr_kernarg_preload_offset 0
		.amdhsa_user_sgpr_private_segment_size 0
		.amdhsa_uses_dynamic_stack 0
		.amdhsa_system_sgpr_private_segment_wavefront_offset 1
		.amdhsa_system_sgpr_workgroup_id_x 1
		.amdhsa_system_sgpr_workgroup_id_y 0
		.amdhsa_system_sgpr_workgroup_id_z 0
		.amdhsa_system_sgpr_workgroup_info 0
		.amdhsa_system_vgpr_workitem_id 0
		.amdhsa_next_free_vgpr 42
		.amdhsa_next_free_sgpr 69
		.amdhsa_accum_offset 44
		.amdhsa_reserve_vcc 1
		.amdhsa_reserve_flat_scratch 1
		.amdhsa_float_round_mode_32 0
		.amdhsa_float_round_mode_16_64 0
		.amdhsa_float_denorm_mode_32 3
		.amdhsa_float_denorm_mode_16_64 3
		.amdhsa_dx10_clamp 1
		.amdhsa_ieee_mode 1
		.amdhsa_fp16_overflow 0
		.amdhsa_tg_split 0
		.amdhsa_exception_fp_ieee_invalid_op 0
		.amdhsa_exception_fp_denorm_src 0
		.amdhsa_exception_fp_ieee_div_zero 0
		.amdhsa_exception_fp_ieee_overflow 0
		.amdhsa_exception_fp_ieee_underflow 0
		.amdhsa_exception_fp_ieee_inexact 0
		.amdhsa_exception_int_div_zero 0
	.end_amdhsa_kernel
	.section	.text._ZN9rocsparseL26csrgemm_fill_block_per_rowILj1024ELj64ELj8192ELj137ELj64Ell21rocsparse_complex_numIdEEEvT5_PKS3_S5_NS_24const_host_device_scalarIT6_EEPKT4_S5_PKS7_SB_S5_SD_S8_SB_S5_SD_SB_PS3_PS7_21rocsparse_index_base_SG_SG_SG_bbb,"axG",@progbits,_ZN9rocsparseL26csrgemm_fill_block_per_rowILj1024ELj64ELj8192ELj137ELj64Ell21rocsparse_complex_numIdEEEvT5_PKS3_S5_NS_24const_host_device_scalarIT6_EEPKT4_S5_PKS7_SB_S5_SD_S8_SB_S5_SD_SB_PS3_PS7_21rocsparse_index_base_SG_SG_SG_bbb,comdat
.Lfunc_end167:
	.size	_ZN9rocsparseL26csrgemm_fill_block_per_rowILj1024ELj64ELj8192ELj137ELj64Ell21rocsparse_complex_numIdEEEvT5_PKS3_S5_NS_24const_host_device_scalarIT6_EEPKT4_S5_PKS7_SB_S5_SD_S8_SB_S5_SD_SB_PS3_PS7_21rocsparse_index_base_SG_SG_SG_bbb, .Lfunc_end167-_ZN9rocsparseL26csrgemm_fill_block_per_rowILj1024ELj64ELj8192ELj137ELj64Ell21rocsparse_complex_numIdEEEvT5_PKS3_S5_NS_24const_host_device_scalarIT6_EEPKT4_S5_PKS7_SB_S5_SD_S8_SB_S5_SD_SB_PS3_PS7_21rocsparse_index_base_SG_SG_SG_bbb
                                        ; -- End function
	.section	.AMDGPU.csdata,"",@progbits
; Kernel info:
; codeLenInByte = 4000
; NumSgprs: 75
; NumVgprs: 42
; NumAgprs: 0
; TotalNumVgprs: 42
; ScratchSize: 40
; MemoryBound: 0
; FloatMode: 240
; IeeeMode: 1
; LDSByteSize: 0 bytes/workgroup (compile time only)
; SGPRBlocks: 9
; VGPRBlocks: 5
; NumSGPRsForWavesPerEU: 75
; NumVGPRsForWavesPerEU: 42
; AccumOffset: 44
; Occupancy: 8
; WaveLimiterHint : 1
; COMPUTE_PGM_RSRC2:SCRATCH_EN: 1
; COMPUTE_PGM_RSRC2:USER_SGPR: 8
; COMPUTE_PGM_RSRC2:TRAP_HANDLER: 0
; COMPUTE_PGM_RSRC2:TGID_X_EN: 1
; COMPUTE_PGM_RSRC2:TGID_Y_EN: 0
; COMPUTE_PGM_RSRC2:TGID_Z_EN: 0
; COMPUTE_PGM_RSRC2:TIDIG_COMP_CNT: 0
; COMPUTE_PGM_RSRC3_GFX90A:ACCUM_OFFSET: 10
; COMPUTE_PGM_RSRC3_GFX90A:TG_SPLIT: 0
	.section	.text._ZN9rocsparseL26csrgemm_fill_block_per_rowILj1024ELj64ELj16384ELj137ELj32Ell21rocsparse_complex_numIdEEEvT5_PKS3_S5_NS_24const_host_device_scalarIT6_EEPKT4_S5_PKS7_SB_S5_SD_S8_SB_S5_SD_SB_PS3_PS7_21rocsparse_index_base_SG_SG_SG_bbb,"axG",@progbits,_ZN9rocsparseL26csrgemm_fill_block_per_rowILj1024ELj64ELj16384ELj137ELj32Ell21rocsparse_complex_numIdEEEvT5_PKS3_S5_NS_24const_host_device_scalarIT6_EEPKT4_S5_PKS7_SB_S5_SD_S8_SB_S5_SD_SB_PS3_PS7_21rocsparse_index_base_SG_SG_SG_bbb,comdat
	.globl	_ZN9rocsparseL26csrgemm_fill_block_per_rowILj1024ELj64ELj16384ELj137ELj32Ell21rocsparse_complex_numIdEEEvT5_PKS3_S5_NS_24const_host_device_scalarIT6_EEPKT4_S5_PKS7_SB_S5_SD_S8_SB_S5_SD_SB_PS3_PS7_21rocsparse_index_base_SG_SG_SG_bbb ; -- Begin function _ZN9rocsparseL26csrgemm_fill_block_per_rowILj1024ELj64ELj16384ELj137ELj32Ell21rocsparse_complex_numIdEEEvT5_PKS3_S5_NS_24const_host_device_scalarIT6_EEPKT4_S5_PKS7_SB_S5_SD_S8_SB_S5_SD_SB_PS3_PS7_21rocsparse_index_base_SG_SG_SG_bbb
	.p2align	8
	.type	_ZN9rocsparseL26csrgemm_fill_block_per_rowILj1024ELj64ELj16384ELj137ELj32Ell21rocsparse_complex_numIdEEEvT5_PKS3_S5_NS_24const_host_device_scalarIT6_EEPKT4_S5_PKS7_SB_S5_SD_S8_SB_S5_SD_SB_PS3_PS7_21rocsparse_index_base_SG_SG_SG_bbb,@function
_ZN9rocsparseL26csrgemm_fill_block_per_rowILj1024ELj64ELj16384ELj137ELj32Ell21rocsparse_complex_numIdEEEvT5_PKS3_S5_NS_24const_host_device_scalarIT6_EEPKT4_S5_PKS7_SB_S5_SD_S8_SB_S5_SD_SB_PS3_PS7_21rocsparse_index_base_SG_SG_SG_bbb: ; @_ZN9rocsparseL26csrgemm_fill_block_per_rowILj1024ELj64ELj16384ELj137ELj32Ell21rocsparse_complex_numIdEEEvT5_PKS3_S5_NS_24const_host_device_scalarIT6_EEPKT4_S5_PKS7_SB_S5_SD_S8_SB_S5_SD_SB_PS3_PS7_21rocsparse_index_base_SG_SG_SG_bbb
; %bb.0:
	s_add_u32 flat_scratch_lo, s6, s9
	s_addc_u32 flat_scratch_hi, s7, 0
	s_load_dwordx4 s[12:15], s[4:5], 0x18
	s_load_dwordx4 s[28:31], s[4:5], 0x58
	s_add_u32 s0, s0, s9
	s_load_dword s9, s[4:5], 0xa8
	s_load_dwordx4 s[44:47], s[4:5], 0x98
	s_addc_u32 s1, s1, 0
	s_waitcnt lgkmcnt(0)
	v_mov_b32_e32 v1, s13
	buffer_store_dword v1, off, s[0:3], 0 offset:20
	s_bitcmp1_b32 s9, 0
	s_cselect_b64 s[36:37], -1, 0
	s_bitcmp1_b32 s9, 16
	v_mov_b32_e32 v1, s12
	s_cselect_b64 s[6:7], -1, 0
	buffer_store_dword v1, off, s[0:3], 0 offset:16
	v_mov_b32_e32 v1, s29
	buffer_store_dword v1, off, s[0:3], 0 offset:28
	v_mov_b32_e32 v1, s28
	s_xor_b64 s[10:11], s[6:7], -1
	buffer_store_dword v1, off, s[0:3], 0 offset:24
	v_pk_mov_b32 v[2:3], 0, 0
	v_cndmask_b32_e64 v1, 0, 1, s[10:11]
	s_bitcmp0_b32 s9, 0
	v_cmp_ne_u32_e64 s[10:11], 1, v1
	v_pk_mov_b32 v[6:7], v[2:3], v[2:3] op_sel:[0,1]
	v_pk_mov_b32 v[8:9], v[2:3], v[2:3] op_sel:[0,1]
	s_cbranch_scc1 .LBB168_3
; %bb.1:
	s_mov_b64 s[16:17], src_private_base
	s_and_b64 s[18:19], s[6:7], exec
	s_cselect_b32 s16, s17, s13
	v_mov_b32_e32 v1, 16
	v_mov_b32_e32 v4, s12
	v_cndmask_b32_e64 v4, v4, v1, s[6:7]
	v_mov_b32_e32 v5, s16
	flat_load_dwordx2 v[6:7], v[4:5]
	s_and_b64 vcc, exec, s[10:11]
	v_pk_mov_b32 v[8:9], s[14:15], s[14:15] op_sel:[0,1]
	s_cbranch_vccnz .LBB168_3
; %bb.2:
	v_pk_mov_b32 v[4:5], s[12:13], s[12:13] op_sel:[0,1]
	flat_load_dwordx2 v[8:9], v[4:5] offset:8
.LBB168_3:
	s_load_dwordx4 s[12:15], s[4:5], 0x88
                                        ; implicit-def: $vgpr42 : SGPR spill to VGPR lane
	s_bitcmp1_b32 s9, 8
	s_cselect_b64 s[34:35], -1, 0
	s_bfe_u32 s9, s9, 0x10008
	s_mov_b64 s[38:39], 0
	s_waitcnt lgkmcnt(0)
	v_writelane_b32 v42, s12, 0
	v_writelane_b32 v42, s13, 1
	;; [unrolled: 1-line block ×4, first 2 shown]
	s_load_dwordx8 s[48:55], s[4:5], 0x68
	s_load_dwordx4 s[20:23], s[4:5], 0x48
	s_load_dwordx4 s[24:27], s[4:5], 0x8
	s_load_dwordx8 s[12:19], s[4:5], 0x28
	s_cmp_eq_u32 s9, 0
	v_pk_mov_b32 v[4:5], v[2:3], v[2:3] op_sel:[0,1]
	s_cbranch_scc1 .LBB168_6
; %bb.4:
	s_mov_b64 s[40:41], src_private_base
	s_and_b64 s[42:43], s[6:7], exec
	s_cselect_b32 s9, s41, s29
	v_mov_b32_e32 v1, 24
	v_mov_b32_e32 v2, s28
	v_cndmask_b32_e64 v2, v2, v1, s[6:7]
	v_mov_b32_e32 v3, s9
	flat_load_dwordx2 v[4:5], v[2:3]
	s_and_b64 vcc, exec, s[10:11]
	v_pk_mov_b32 v[2:3], s[30:31], s[30:31] op_sel:[0,1]
	s_cbranch_vccnz .LBB168_6
; %bb.5:
	v_pk_mov_b32 v[2:3], s[28:29], s[28:29] op_sel:[0,1]
	flat_load_dwordx2 v[2:3], v[2:3] offset:8
.LBB168_6:
	s_load_dwordx2 s[80:81], s[4:5], 0x0
	v_lshlrev_b32_e32 v10, 4, v0
	s_mov_b32 s4, 0
	v_or_b32_e32 v1, 0xfffffc00, v0
	v_add_u32_e32 v30, 0, v10
	v_lshl_add_u32 v27, v0, 3, 0
	s_mov_b32 s5, s4
	s_mov_b32 s6, s4
	;; [unrolled: 1-line block ×3, first 2 shown]
	v_add_u32_e32 v16, 0x20008, v30
	s_waitcnt lgkmcnt(0)
	v_pk_mov_b32 v[10:11], s[80:81], s[80:81] op_sel:[0,1]
	v_pk_mov_b32 v[12:13], s[4:5], s[4:5] op_sel:[0,1]
	;; [unrolled: 1-line block ×3, first 2 shown]
	s_movk_i32 s4, 0x3bff
	v_mov_b32_e32 v17, v27
	v_mov_b32_e32 v18, v1
.LBB168_7:                              ; =>This Inner Loop Header: Depth=1
	v_add_u32_e32 v18, 0x400, v18
	v_cmp_lt_u32_e32 vcc, s4, v18
	ds_write_b64 v17, v[10:11]
	v_add_u32_e32 v19, -8, v16
	v_add_u32_e32 v16, 0x4000, v16
	v_add_u32_e32 v17, 0x2000, v17
	s_or_b64 s[38:39], vcc, s[38:39]
	ds_write2_b64 v19, v[12:13], v[14:15] offset1:1
	s_andn2_b64 exec, exec, s[38:39]
	s_cbranch_execnz .LBB168_7
; %bb.8:
	s_or_b64 exec, exec, s[38:39]
	s_waitcnt lgkmcnt(0)
	s_barrier
	s_load_dwordx2 s[4:5], s[24:25], 0x0
	s_mov_b32 s9, 0
	s_waitcnt lgkmcnt(0)
	s_lshl_b64 s[4:5], s[4:5], 3
	s_add_u32 s6, s26, s4
	s_addc_u32 s7, s27, s5
	s_lshl_b64 s[4:5], s[8:9], 3
	s_add_u32 s4, s6, s4
	s_addc_u32 s5, s7, s5
	s_load_dwordx2 s[56:57], s[4:5], 0x0
	s_and_b64 vcc, exec, s[36:37]
	s_cbranch_vccz .LBB168_28
; %bb.9:
	s_waitcnt lgkmcnt(0)
	s_lshl_b64 s[4:5], s[56:57], 3
	s_add_u32 s4, s12, s4
	s_addc_u32 s5, s13, s5
	s_load_dwordx4 s[24:27], s[4:5], 0x0
	v_lshrrev_b32_e32 v10, 6, v0
	v_subrev_co_u32_e32 v10, vcc, s44, v10
	v_subb_co_u32_e64 v11, s[6:7], 0, 0, vcc
	s_waitcnt lgkmcnt(0)
	s_sub_u32 s4, s26, s44
	v_mov_b32_e32 v12, s25
	v_add_co_u32_e32 v10, vcc, s24, v10
	s_subb_u32 s5, s27, 0
	v_addc_co_u32_e32 v11, vcc, v12, v11, vcc
	v_cmp_gt_i64_e32 vcc, s[4:5], v[10:11]
	s_and_saveexec_b64 s[6:7], vcc
	s_cbranch_execz .LBB168_27
; %bb.10:
	v_and_b32_e32 v12, 63, v0
	v_subrev_co_u32_e32 v31, vcc, s45, v12
	s_mov_b32 s8, 0
	v_subb_co_u32_e64 v32, s[10:11], 0, 0, vcc
	s_mov_b32 s33, s44
	s_mov_b32 s40, s45
	s_mov_b64 s[10:11], 0
	v_mov_b32_e32 v33, s15
	v_mov_b32_e32 v34, s9
	;; [unrolled: 1-line block ×4, first 2 shown]
	s_movk_i32 s15, 0x89
	s_branch .LBB168_12
.LBB168_11:                             ;   in Loop: Header=BB168_12 Depth=1
	s_or_b64 exec, exec, s[8:9]
	v_add_co_u32_e32 v10, vcc, 16, v10
	v_addc_co_u32_e32 v11, vcc, 0, v11, vcc
	v_cmp_le_i64_e32 vcc, s[4:5], v[10:11]
	s_or_b64 s[10:11], vcc, s[10:11]
	s_andn2_b64 exec, exec, s[10:11]
	s_cbranch_execz .LBB168_27
.LBB168_12:                             ; =>This Loop Header: Depth=1
                                        ;     Child Loop BB168_15 Depth 2
                                        ;       Child Loop BB168_17 Depth 3
	v_lshlrev_b64 v[12:13], 3, v[10:11]
	v_add_co_u32_e32 v12, vcc, s14, v12
	v_addc_co_u32_e32 v13, vcc, v33, v13, vcc
	global_load_dwordx2 v[12:13], v[12:13], off
	s_waitcnt vmcnt(0)
	v_subrev_co_u32_e32 v12, vcc, s33, v12
	v_subb_co_u32_e32 v13, vcc, v13, v34, vcc
	v_lshlrev_b64 v[12:13], 3, v[12:13]
	v_add_co_u32_e32 v12, vcc, s18, v12
	v_addc_co_u32_e32 v13, vcc, v35, v13, vcc
	global_load_dwordx4 v[14:17], v[12:13], off
	s_waitcnt vmcnt(0)
	v_subrev_co_u32_e32 v12, vcc, s40, v16
	v_subb_co_u32_e32 v13, vcc, v17, v36, vcc
	v_add_co_u32_e32 v14, vcc, v14, v31
	v_addc_co_u32_e32 v15, vcc, v15, v32, vcc
	v_cmp_lt_i64_e32 vcc, v[14:15], v[12:13]
	s_and_saveexec_b64 s[8:9], vcc
	s_cbranch_execz .LBB168_11
; %bb.13:                               ;   in Loop: Header=BB168_12 Depth=1
	v_lshlrev_b64 v[16:17], 4, v[10:11]
	v_mov_b32_e32 v18, s17
	v_add_co_u32_e32 v16, vcc, s16, v16
	v_addc_co_u32_e32 v17, vcc, v18, v17, vcc
	global_load_dwordx4 v[20:23], v[16:17], off
	s_mov_b64 s[12:13], 0
	s_waitcnt vmcnt(0)
	v_mul_f64 v[16:17], v[22:23], -v[8:9]
	v_mul_f64 v[18:19], v[6:7], v[22:23]
	v_fmac_f64_e32 v[16:17], v[6:7], v[20:21]
	v_fmac_f64_e32 v[18:19], v[8:9], v[20:21]
	s_branch .LBB168_15
.LBB168_14:                             ;   in Loop: Header=BB168_15 Depth=2
	s_or_b64 exec, exec, s[24:25]
	v_add_co_u32_e32 v14, vcc, 64, v14
	v_addc_co_u32_e32 v15, vcc, 0, v15, vcc
	v_cmp_ge_i64_e32 vcc, v[14:15], v[12:13]
	s_or_b64 s[12:13], vcc, s[12:13]
	s_andn2_b64 exec, exec, s[12:13]
	s_cbranch_execz .LBB168_11
.LBB168_15:                             ;   Parent Loop BB168_12 Depth=1
                                        ; =>  This Loop Header: Depth=2
                                        ;       Child Loop BB168_17 Depth 3
	v_lshlrev_b64 v[20:21], 3, v[14:15]
	v_mov_b32_e32 v22, s21
	v_add_co_u32_e32 v20, vcc, s20, v20
	v_addc_co_u32_e32 v21, vcc, v22, v21, vcc
	v_lshlrev_b64 v[22:23], 4, v[14:15]
	v_mov_b32_e32 v24, s23
	v_add_co_u32_e32 v22, vcc, s22, v22
	global_load_dwordx2 v[20:21], v[20:21], off
	v_addc_co_u32_e32 v23, vcc, v24, v23, vcc
	global_load_dwordx4 v[38:41], v[22:23], off
	s_mov_b64 s[24:25], 0
	s_waitcnt vmcnt(1)
	v_subrev_co_u32_e32 v20, vcc, s40, v20
	v_mul_lo_u32 v26, v20, s15
	s_waitcnt vmcnt(0)
	v_mul_f64 v[22:23], v[40:41], -v[18:19]
	v_mul_f64 v[24:25], v[16:17], v[40:41]
	v_subb_co_u32_e32 v21, vcc, v21, v36, vcc
	v_fmac_f64_e32 v[22:23], v[16:17], v[38:39]
	v_fmac_f64_e32 v[24:25], v[18:19], v[38:39]
	v_and_b32_e32 v26, 0x3fff, v26
	s_branch .LBB168_17
.LBB168_16:                             ;   in Loop: Header=BB168_17 Depth=3
	s_or_b64 exec, exec, s[26:27]
	s_xor_b64 s[26:27], s[28:29], -1
	s_and_b64 s[26:27], exec, s[26:27]
	s_or_b64 s[24:25], s[26:27], s[24:25]
	s_andn2_b64 exec, exec, s[24:25]
	s_cbranch_execz .LBB168_14
.LBB168_17:                             ;   Parent Loop BB168_12 Depth=1
                                        ;     Parent Loop BB168_15 Depth=2
                                        ; =>    This Inner Loop Header: Depth=3
	v_lshl_add_u32 v37, v26, 3, 0
	ds_read_b64 v[28:29], v37
                                        ; implicit-def: $sgpr28_sgpr29
	s_waitcnt lgkmcnt(0)
	v_cmp_ne_u64_e32 vcc, v[28:29], v[20:21]
	s_and_saveexec_b64 s[26:27], vcc
	s_xor_b64 s[26:27], exec, s[26:27]
	s_cbranch_execz .LBB168_25
; %bb.18:                               ;   in Loop: Header=BB168_17 Depth=3
	v_cmp_ne_u64_e32 vcc, s[80:81], v[28:29]
                                        ; implicit-def: $sgpr28_sgpr29
	s_and_saveexec_b64 s[30:31], vcc
	s_xor_b64 s[30:31], exec, s[30:31]
; %bb.19:                               ;   in Loop: Header=BB168_17 Depth=3
	v_add_u32_e32 v26, 1, v26
	v_and_b32_e32 v26, 0x3fff, v26
	s_mov_b64 s[28:29], -1
                                        ; implicit-def: $vgpr37
; %bb.20:                               ;   in Loop: Header=BB168_17 Depth=3
	s_andn2_saveexec_b64 s[30:31], s[30:31]
	s_cbranch_execz .LBB168_24
; %bb.21:                               ;   in Loop: Header=BB168_17 Depth=3
	v_pk_mov_b32 v[28:29], s[80:81], s[80:81] op_sel:[0,1]
	ds_cmpst_rtn_b64 v[28:29], v37, v[28:29], v[20:21]
	s_mov_b64 s[38:39], -1
	s_waitcnt lgkmcnt(0)
	v_cmp_eq_u64_e32 vcc, s[80:81], v[28:29]
	s_and_saveexec_b64 s[36:37], vcc
	s_cbranch_execz .LBB168_23
; %bb.22:                               ;   in Loop: Header=BB168_17 Depth=3
	v_lshl_add_u32 v28, v26, 4, 0
	v_add_u32_e32 v28, 0x20000, v28
	ds_add_f64 v28, v[22:23]
	ds_add_f64 v28, v[24:25] offset:8
	s_xor_b64 s[38:39], exec, -1
.LBB168_23:                             ;   in Loop: Header=BB168_17 Depth=3
	s_or_b64 exec, exec, s[36:37]
	s_andn2_b64 s[28:29], s[28:29], exec
	s_and_b64 s[36:37], s[38:39], exec
	s_or_b64 s[28:29], s[28:29], s[36:37]
.LBB168_24:                             ;   in Loop: Header=BB168_17 Depth=3
	s_or_b64 exec, exec, s[30:31]
	s_and_b64 s[28:29], s[28:29], exec
.LBB168_25:                             ;   in Loop: Header=BB168_17 Depth=3
	s_andn2_saveexec_b64 s[26:27], s[26:27]
	s_cbranch_execz .LBB168_16
; %bb.26:                               ;   in Loop: Header=BB168_17 Depth=3
	v_lshl_add_u32 v28, v26, 4, 0
	v_add_u32_e32 v28, 0x20000, v28
	ds_add_f64 v28, v[22:23]
	ds_add_f64 v28, v[24:25] offset:8
	s_andn2_b64 s[28:29], s[28:29], exec
	s_branch .LBB168_16
.LBB168_27:
	s_or_b64 exec, exec, s[6:7]
.LBB168_28:
	s_andn2_b64 vcc, exec, s[34:35]
	s_cbranch_vccnz .LBB168_45
; %bb.29:
	s_waitcnt lgkmcnt(0)
	s_lshl_b64 s[4:5], s[56:57], 3
	s_add_u32 s4, s48, s4
	s_addc_u32 s5, s49, s5
	s_load_dwordx4 s[12:15], s[4:5], 0x0
	s_waitcnt vmcnt(0)
	v_subrev_co_u32_e32 v6, vcc, s47, v0
	v_subb_co_u32_e64 v7, s[6:7], 0, 0, vcc
	s_waitcnt lgkmcnt(0)
	s_sub_u32 s4, s14, s47
	v_mov_b32_e32 v8, s13
	v_add_co_u32_e32 v6, vcc, s12, v6
	s_subb_u32 s5, s15, 0
	v_addc_co_u32_e32 v7, vcc, v8, v7, vcc
	s_mov_b32 s10, 0
	v_cmp_gt_i64_e32 vcc, s[4:5], v[6:7]
	s_and_saveexec_b64 s[6:7], vcc
	s_cbranch_execz .LBB168_44
; %bb.30:
	s_mov_b32 s22, s47
	s_mov_b64 s[8:9], 0
	v_mov_b32_e32 v15, s51
	v_mov_b32_e32 v18, s10
	;; [unrolled: 1-line block ×3, first 2 shown]
	s_movk_i32 s23, 0x89
	s_branch .LBB168_32
.LBB168_31:                             ;   in Loop: Header=BB168_32 Depth=1
	s_or_b64 exec, exec, s[10:11]
	v_add_co_u32_e32 v6, vcc, 0x400, v6
	v_addc_co_u32_e32 v7, vcc, 0, v7, vcc
	v_cmp_le_i64_e32 vcc, s[4:5], v[6:7]
	s_or_b64 s[8:9], vcc, s[8:9]
	s_andn2_b64 exec, exec, s[8:9]
	s_cbranch_execz .LBB168_44
.LBB168_32:                             ; =>This Loop Header: Depth=1
                                        ;     Child Loop BB168_34 Depth 2
	v_lshlrev_b64 v[8:9], 3, v[6:7]
	v_add_co_u32_e32 v8, vcc, s50, v8
	v_addc_co_u32_e32 v9, vcc, v15, v9, vcc
	v_lshlrev_b64 v[10:11], 4, v[6:7]
	v_add_co_u32_e32 v10, vcc, s52, v10
	global_load_dwordx2 v[8:9], v[8:9], off
	v_addc_co_u32_e32 v11, vcc, v19, v11, vcc
	global_load_dwordx4 v[20:23], v[10:11], off
	s_mov_b64 s[10:11], 0
	s_waitcnt vmcnt(1)
	v_subrev_co_u32_e32 v8, vcc, s22, v8
	v_mul_lo_u32 v14, v8, s23
	s_waitcnt vmcnt(0)
	v_mul_f64 v[10:11], v[22:23], -v[2:3]
	v_mul_f64 v[12:13], v[4:5], v[22:23]
	v_subb_co_u32_e32 v9, vcc, v9, v18, vcc
	v_fmac_f64_e32 v[10:11], v[4:5], v[20:21]
	v_fmac_f64_e32 v[12:13], v[2:3], v[20:21]
	v_and_b32_e32 v14, 0x3fff, v14
	s_branch .LBB168_34
.LBB168_33:                             ;   in Loop: Header=BB168_34 Depth=2
	s_or_b64 exec, exec, s[12:13]
	s_xor_b64 s[12:13], s[14:15], -1
	s_and_b64 s[12:13], exec, s[12:13]
	s_or_b64 s[10:11], s[12:13], s[10:11]
	s_andn2_b64 exec, exec, s[10:11]
	s_cbranch_execz .LBB168_31
.LBB168_34:                             ;   Parent Loop BB168_32 Depth=1
                                        ; =>  This Inner Loop Header: Depth=2
	v_lshl_add_u32 v20, v14, 3, 0
	ds_read_b64 v[16:17], v20
                                        ; implicit-def: $sgpr14_sgpr15
	s_waitcnt lgkmcnt(0)
	v_cmp_ne_u64_e32 vcc, v[16:17], v[8:9]
	s_and_saveexec_b64 s[12:13], vcc
	s_xor_b64 s[12:13], exec, s[12:13]
	s_cbranch_execz .LBB168_42
; %bb.35:                               ;   in Loop: Header=BB168_34 Depth=2
	v_cmp_ne_u64_e32 vcc, s[80:81], v[16:17]
                                        ; implicit-def: $sgpr14_sgpr15
	s_and_saveexec_b64 s[16:17], vcc
	s_xor_b64 s[16:17], exec, s[16:17]
; %bb.36:                               ;   in Loop: Header=BB168_34 Depth=2
	v_add_u32_e32 v14, 1, v14
	v_and_b32_e32 v14, 0x3fff, v14
	s_mov_b64 s[14:15], -1
                                        ; implicit-def: $vgpr20
; %bb.37:                               ;   in Loop: Header=BB168_34 Depth=2
	s_andn2_saveexec_b64 s[16:17], s[16:17]
	s_cbranch_execz .LBB168_41
; %bb.38:                               ;   in Loop: Header=BB168_34 Depth=2
	v_pk_mov_b32 v[16:17], s[80:81], s[80:81] op_sel:[0,1]
	ds_cmpst_rtn_b64 v[16:17], v20, v[16:17], v[8:9]
	s_mov_b64 s[20:21], -1
	s_waitcnt lgkmcnt(0)
	v_cmp_eq_u64_e32 vcc, s[80:81], v[16:17]
	s_and_saveexec_b64 s[18:19], vcc
	s_cbranch_execz .LBB168_40
; %bb.39:                               ;   in Loop: Header=BB168_34 Depth=2
	v_lshl_add_u32 v16, v14, 4, 0
	v_add_u32_e32 v16, 0x20000, v16
	ds_add_f64 v16, v[10:11]
	ds_add_f64 v16, v[12:13] offset:8
	s_xor_b64 s[20:21], exec, -1
.LBB168_40:                             ;   in Loop: Header=BB168_34 Depth=2
	s_or_b64 exec, exec, s[18:19]
	s_andn2_b64 s[14:15], s[14:15], exec
	s_and_b64 s[18:19], s[20:21], exec
	s_or_b64 s[14:15], s[14:15], s[18:19]
.LBB168_41:                             ;   in Loop: Header=BB168_34 Depth=2
	s_or_b64 exec, exec, s[16:17]
	s_and_b64 s[14:15], s[14:15], exec
.LBB168_42:                             ;   in Loop: Header=BB168_34 Depth=2
	s_andn2_saveexec_b64 s[12:13], s[12:13]
	s_cbranch_execz .LBB168_33
; %bb.43:                               ;   in Loop: Header=BB168_34 Depth=2
	v_lshl_add_u32 v16, v14, 4, 0
	v_add_u32_e32 v16, 0x20000, v16
	ds_add_f64 v16, v[10:11]
	ds_add_f64 v16, v[12:13] offset:8
	s_andn2_b64 s[14:15], s[14:15], exec
	s_branch .LBB168_33
.LBB168_44:
	s_or_b64 exec, exec, s[6:7]
.LBB168_45:
	s_waitcnt lgkmcnt(0)
	v_writelane_b32 v42, s56, 4
	v_writelane_b32 v42, s57, 5
	;; [unrolled: 1-line block ×8, first 2 shown]
	s_movk_i32 s33, 0x21f
	v_writelane_b32 v42, s54, 12
	v_cmp_lt_u32_e64 s[34:35], s33, v0
	s_movk_i32 s33, 0x23f
	v_writelane_b32 v42, s55, 13
	v_cmp_lt_u32_e64 s[36:37], s33, v0
	;; [unrolled: 3-line block ×6, first 2 shown]
	s_movk_i32 s33, 0x2df
	v_cmp_lt_u32_e64 s[46:47], s33, v0
	s_movk_i32 s33, 0x2ff
	v_cmp_lt_u32_e64 s[48:49], s33, v0
	;; [unrolled: 2-line block ×7, first 2 shown]
	s_movk_i32 s33, 0x3bf
	s_add_i32 s4, 0, 0x60000
	v_cmp_lt_u32_e64 s[60:61], s33, v0
	s_movk_i32 s33, 0x3df
	v_writelane_b32 v42, s4, 18
	v_cmp_lt_u32_e64 s[62:63], s33, v0
	s_add_i32 s33, 0, 0x60008
	v_writelane_b32 v42, s33, 19
	s_add_i32 s33, 0, 0x60010
	s_waitcnt vmcnt(0)
	v_mbcnt_lo_u32_b32 v2, -1, 0
	v_writelane_b32 v42, s33, 20
	s_add_i32 s33, 0, 0x60018
	v_mbcnt_hi_u32_b32 v2, -1, v2
	v_writelane_b32 v42, s33, 21
	s_add_i32 s33, 0, 0x60020
	v_sub_u32_e32 v2, 63, v2
	v_writelane_b32 v42, s33, 22
	s_add_i32 s33, 0, 0x60028
	v_lshrrev_b64 v[4:5], v2, -1
	v_lshrrev_b32_e32 v2, 2, v0
	v_writelane_b32 v42, s33, 23
	s_add_i32 s33, 0, 0x60030
	v_and_b32_e32 v2, 0xf8, v2
	v_writelane_b32 v42, s33, 24
	s_add_i32 s33, 0, 0x60038
	v_add_u32_e32 v12, s4, v2
	s_movk_i32 s4, 0x3ff
	v_writelane_b32 v42, s33, 25
	s_add_i32 s33, 0, 0x60040
	v_cmp_eq_u32_e32 vcc, s4, v0
	s_movk_i32 s4, 0x5f
	s_movk_i32 s6, 0x7f
	;; [unrolled: 1-line block ×14, first 2 shown]
	v_writelane_b32 v42, s33, 26
	s_add_i32 s33, 0, 0x60048
	v_mov_b32_e32 v3, 0
	v_cmp_lt_u32_e64 s[4:5], s4, v0
	v_cmp_lt_u32_e64 s[6:7], s6, v0
	;; [unrolled: 1-line block ×14, first 2 shown]
	v_add_u32_e32 v13, 0x20000, v30
	v_pk_mov_b32 v[6:7], 0, 0
	v_writelane_b32 v42, s33, 27
	s_add_i32 s94, 0, 0x60050
	s_add_i32 s95, 0, 0x60058
	;; [unrolled: 1-line block ×22, first 2 shown]
	s_movk_i32 s91, 0x3bff
	v_cmp_lt_u32_e64 s[64:65], 31, v0
	v_cmp_lt_u32_e64 s[66:67], 63, v0
	s_mov_b64 s[72:73], 0
	s_barrier
	s_branch .LBB168_47
.LBB168_46:                             ;   in Loop: Header=BB168_47 Depth=1
	s_or_b64 exec, exec, s[68:69]
	v_mov_b32_e32 v2, s90
	s_waitcnt lgkmcnt(0)
	s_barrier
	ds_read_b64 v[8:9], v2
	v_add_u32_e32 v1, 0x400, v1
	v_add_u32_e32 v13, 0x4000, v13
	;; [unrolled: 1-line block ×3, first 2 shown]
	s_waitcnt lgkmcnt(0)
	v_add_co_u32_e64 v6, s[68:69], v8, v6
	v_addc_co_u32_e64 v7, s[68:69], v9, v7, s[68:69]
	v_cmp_lt_u32_e64 s[68:69], s91, v1
	s_or_b64 s[72:73], s[68:69], s[72:73]
	s_andn2_b64 exec, exec, s[72:73]
	s_cbranch_execz .LBB168_113
.LBB168_47:                             ; =>This Inner Loop Header: Depth=1
	ds_read2_b64 v[14:17], v13 offset1:1
	ds_read_b64 v[10:11], v27
	s_waitcnt lgkmcnt(1)
	buffer_store_dword v17, off, s[0:3], 0 offset:12
	buffer_store_dword v16, off, s[0:3], 0 offset:8
	;; [unrolled: 1-line block ×3, first 2 shown]
	buffer_store_dword v14, off, s[0:3], 0
	s_waitcnt lgkmcnt(0)
	v_cmp_gt_i64_e64 s[68:69], s[80:81], v[10:11]
	v_and_b32_e32 v9, s68, v4
	s_bcnt1_i32_b64 s84, s[68:69]
	v_and_b32_e32 v8, s69, v5
	v_bcnt_u32_b32 v9, v9, 0
	v_mov_b32_e32 v2, s84
	v_bcnt_u32_b32 v8, v8, v9
	s_barrier
	ds_write_b64 v12, v[2:3]
	s_waitcnt lgkmcnt(0)
	s_barrier
	s_and_saveexec_b64 s[84:85], s[64:65]
	s_cbranch_execnz .LBB168_80
; %bb.48:                               ;   in Loop: Header=BB168_47 Depth=1
	s_or_b64 exec, exec, s[84:85]
	s_and_saveexec_b64 s[84:85], s[66:67]
	s_cbranch_execnz .LBB168_81
.LBB168_49:                             ;   in Loop: Header=BB168_47 Depth=1
	s_or_b64 exec, exec, s[84:85]
	s_and_saveexec_b64 s[84:85], s[4:5]
	s_cbranch_execnz .LBB168_82
.LBB168_50:                             ;   in Loop: Header=BB168_47 Depth=1
	s_or_b64 exec, exec, s[84:85]
	s_and_saveexec_b64 s[84:85], s[6:7]
	s_cbranch_execnz .LBB168_83
.LBB168_51:                             ;   in Loop: Header=BB168_47 Depth=1
	s_or_b64 exec, exec, s[84:85]
	s_and_saveexec_b64 s[84:85], s[8:9]
	s_cbranch_execnz .LBB168_84
.LBB168_52:                             ;   in Loop: Header=BB168_47 Depth=1
	s_or_b64 exec, exec, s[84:85]
	s_and_saveexec_b64 s[84:85], s[10:11]
	s_cbranch_execnz .LBB168_85
.LBB168_53:                             ;   in Loop: Header=BB168_47 Depth=1
	s_or_b64 exec, exec, s[84:85]
	s_and_saveexec_b64 s[84:85], s[12:13]
	s_cbranch_execnz .LBB168_86
.LBB168_54:                             ;   in Loop: Header=BB168_47 Depth=1
	s_or_b64 exec, exec, s[84:85]
	s_and_saveexec_b64 s[84:85], s[14:15]
	s_cbranch_execnz .LBB168_87
.LBB168_55:                             ;   in Loop: Header=BB168_47 Depth=1
	s_or_b64 exec, exec, s[84:85]
	s_and_saveexec_b64 s[84:85], s[16:17]
	s_cbranch_execnz .LBB168_88
.LBB168_56:                             ;   in Loop: Header=BB168_47 Depth=1
	s_or_b64 exec, exec, s[84:85]
	s_and_saveexec_b64 s[84:85], s[18:19]
	s_cbranch_execnz .LBB168_89
.LBB168_57:                             ;   in Loop: Header=BB168_47 Depth=1
	s_or_b64 exec, exec, s[84:85]
	s_and_saveexec_b64 s[84:85], s[20:21]
	s_cbranch_execnz .LBB168_90
.LBB168_58:                             ;   in Loop: Header=BB168_47 Depth=1
	s_or_b64 exec, exec, s[84:85]
	s_and_saveexec_b64 s[84:85], s[22:23]
	s_cbranch_execnz .LBB168_91
.LBB168_59:                             ;   in Loop: Header=BB168_47 Depth=1
	s_or_b64 exec, exec, s[84:85]
	s_and_saveexec_b64 s[84:85], s[24:25]
	s_cbranch_execnz .LBB168_92
.LBB168_60:                             ;   in Loop: Header=BB168_47 Depth=1
	s_or_b64 exec, exec, s[84:85]
	s_and_saveexec_b64 s[84:85], s[26:27]
	s_cbranch_execnz .LBB168_93
.LBB168_61:                             ;   in Loop: Header=BB168_47 Depth=1
	s_or_b64 exec, exec, s[84:85]
	s_and_saveexec_b64 s[84:85], s[28:29]
	s_cbranch_execnz .LBB168_94
.LBB168_62:                             ;   in Loop: Header=BB168_47 Depth=1
	s_or_b64 exec, exec, s[84:85]
	s_and_saveexec_b64 s[84:85], s[30:31]
	s_cbranch_execnz .LBB168_95
.LBB168_63:                             ;   in Loop: Header=BB168_47 Depth=1
	s_or_b64 exec, exec, s[84:85]
	s_and_saveexec_b64 s[84:85], s[34:35]
	s_cbranch_execnz .LBB168_96
.LBB168_64:                             ;   in Loop: Header=BB168_47 Depth=1
	s_or_b64 exec, exec, s[84:85]
	s_and_saveexec_b64 s[84:85], s[36:37]
	s_cbranch_execnz .LBB168_97
.LBB168_65:                             ;   in Loop: Header=BB168_47 Depth=1
	s_or_b64 exec, exec, s[84:85]
	s_and_saveexec_b64 s[84:85], s[38:39]
	s_cbranch_execnz .LBB168_98
.LBB168_66:                             ;   in Loop: Header=BB168_47 Depth=1
	s_or_b64 exec, exec, s[84:85]
	s_and_saveexec_b64 s[84:85], s[40:41]
	s_cbranch_execnz .LBB168_99
.LBB168_67:                             ;   in Loop: Header=BB168_47 Depth=1
	s_or_b64 exec, exec, s[84:85]
	s_and_saveexec_b64 s[84:85], s[42:43]
	s_cbranch_execnz .LBB168_100
.LBB168_68:                             ;   in Loop: Header=BB168_47 Depth=1
	s_or_b64 exec, exec, s[84:85]
	s_and_saveexec_b64 s[84:85], s[44:45]
	s_cbranch_execnz .LBB168_101
.LBB168_69:                             ;   in Loop: Header=BB168_47 Depth=1
	s_or_b64 exec, exec, s[84:85]
	s_and_saveexec_b64 s[84:85], s[46:47]
	s_cbranch_execnz .LBB168_102
.LBB168_70:                             ;   in Loop: Header=BB168_47 Depth=1
	s_or_b64 exec, exec, s[84:85]
	s_and_saveexec_b64 s[84:85], s[48:49]
	s_cbranch_execnz .LBB168_103
.LBB168_71:                             ;   in Loop: Header=BB168_47 Depth=1
	s_or_b64 exec, exec, s[84:85]
	s_and_saveexec_b64 s[84:85], s[50:51]
	s_cbranch_execnz .LBB168_104
.LBB168_72:                             ;   in Loop: Header=BB168_47 Depth=1
	s_or_b64 exec, exec, s[84:85]
	s_and_saveexec_b64 s[84:85], s[52:53]
	s_cbranch_execnz .LBB168_105
.LBB168_73:                             ;   in Loop: Header=BB168_47 Depth=1
	s_or_b64 exec, exec, s[84:85]
	s_and_saveexec_b64 s[84:85], s[54:55]
	s_cbranch_execnz .LBB168_106
.LBB168_74:                             ;   in Loop: Header=BB168_47 Depth=1
	s_or_b64 exec, exec, s[84:85]
	s_and_saveexec_b64 s[84:85], s[56:57]
	s_cbranch_execnz .LBB168_107
.LBB168_75:                             ;   in Loop: Header=BB168_47 Depth=1
	s_or_b64 exec, exec, s[84:85]
	s_and_saveexec_b64 s[84:85], s[58:59]
	s_cbranch_execnz .LBB168_108
.LBB168_76:                             ;   in Loop: Header=BB168_47 Depth=1
	s_or_b64 exec, exec, s[84:85]
	s_and_saveexec_b64 s[84:85], s[60:61]
	s_cbranch_execnz .LBB168_109
.LBB168_77:                             ;   in Loop: Header=BB168_47 Depth=1
	s_or_b64 exec, exec, s[84:85]
	s_and_saveexec_b64 s[84:85], s[62:63]
	s_cbranch_execnz .LBB168_110
.LBB168_78:                             ;   in Loop: Header=BB168_47 Depth=1
	s_or_b64 exec, exec, s[84:85]
	v_ashrrev_i32_e32 v9, 31, v8
	s_and_saveexec_b64 s[84:85], s[68:69]
	s_cbranch_execnz .LBB168_111
.LBB168_79:                             ;   in Loop: Header=BB168_47 Depth=1
	s_or_b64 exec, exec, s[84:85]
	s_and_saveexec_b64 s[68:69], vcc
	s_cbranch_execz .LBB168_46
	s_branch .LBB168_112
.LBB168_80:                             ;   in Loop: Header=BB168_47 Depth=1
	v_readlane_b32 s92, v42, 18
	v_mov_b32_e32 v2, s92
	ds_read_b32 v2, v2
	s_waitcnt lgkmcnt(0)
	v_add_u32_e32 v8, v2, v8
	s_or_b64 exec, exec, s[84:85]
	s_and_saveexec_b64 s[84:85], s[66:67]
	s_cbranch_execz .LBB168_49
.LBB168_81:                             ;   in Loop: Header=BB168_47 Depth=1
	v_readlane_b32 s92, v42, 19
	v_mov_b32_e32 v2, s92
	ds_read_b32 v2, v2
	s_waitcnt lgkmcnt(0)
	v_add_u32_e32 v8, v8, v2
	s_or_b64 exec, exec, s[84:85]
	s_and_saveexec_b64 s[84:85], s[4:5]
	s_cbranch_execz .LBB168_50
.LBB168_82:                             ;   in Loop: Header=BB168_47 Depth=1
	v_readlane_b32 s92, v42, 20
	v_mov_b32_e32 v2, s92
	ds_read_b32 v2, v2
	s_waitcnt lgkmcnt(0)
	v_add_u32_e32 v8, v8, v2
	s_or_b64 exec, exec, s[84:85]
	s_and_saveexec_b64 s[84:85], s[6:7]
	s_cbranch_execz .LBB168_51
.LBB168_83:                             ;   in Loop: Header=BB168_47 Depth=1
	v_readlane_b32 s92, v42, 21
	v_mov_b32_e32 v2, s92
	ds_read_b32 v2, v2
	s_waitcnt lgkmcnt(0)
	v_add_u32_e32 v8, v8, v2
	s_or_b64 exec, exec, s[84:85]
	s_and_saveexec_b64 s[84:85], s[8:9]
	s_cbranch_execz .LBB168_52
.LBB168_84:                             ;   in Loop: Header=BB168_47 Depth=1
	v_readlane_b32 s92, v42, 22
	v_mov_b32_e32 v2, s92
	ds_read_b32 v2, v2
	s_waitcnt lgkmcnt(0)
	v_add_u32_e32 v8, v8, v2
	s_or_b64 exec, exec, s[84:85]
	s_and_saveexec_b64 s[84:85], s[10:11]
	s_cbranch_execz .LBB168_53
.LBB168_85:                             ;   in Loop: Header=BB168_47 Depth=1
	v_readlane_b32 s92, v42, 23
	v_mov_b32_e32 v2, s92
	ds_read_b32 v2, v2
	s_waitcnt lgkmcnt(0)
	v_add_u32_e32 v8, v8, v2
	s_or_b64 exec, exec, s[84:85]
	s_and_saveexec_b64 s[84:85], s[12:13]
	s_cbranch_execz .LBB168_54
.LBB168_86:                             ;   in Loop: Header=BB168_47 Depth=1
	v_readlane_b32 s92, v42, 24
	v_mov_b32_e32 v2, s92
	ds_read_b32 v2, v2
	s_waitcnt lgkmcnt(0)
	v_add_u32_e32 v8, v8, v2
	s_or_b64 exec, exec, s[84:85]
	s_and_saveexec_b64 s[84:85], s[14:15]
	s_cbranch_execz .LBB168_55
.LBB168_87:                             ;   in Loop: Header=BB168_47 Depth=1
	v_readlane_b32 s92, v42, 25
	v_mov_b32_e32 v2, s92
	ds_read_b32 v2, v2
	s_waitcnt lgkmcnt(0)
	v_add_u32_e32 v8, v8, v2
	s_or_b64 exec, exec, s[84:85]
	s_and_saveexec_b64 s[84:85], s[16:17]
	s_cbranch_execz .LBB168_56
.LBB168_88:                             ;   in Loop: Header=BB168_47 Depth=1
	v_readlane_b32 s92, v42, 26
	v_mov_b32_e32 v2, s92
	ds_read_b32 v2, v2
	s_waitcnt lgkmcnt(0)
	v_add_u32_e32 v8, v8, v2
	s_or_b64 exec, exec, s[84:85]
	s_and_saveexec_b64 s[84:85], s[18:19]
	s_cbranch_execz .LBB168_57
.LBB168_89:                             ;   in Loop: Header=BB168_47 Depth=1
	v_readlane_b32 s92, v42, 27
	v_mov_b32_e32 v2, s92
	ds_read_b32 v2, v2
	s_waitcnt lgkmcnt(0)
	v_add_u32_e32 v8, v8, v2
	s_or_b64 exec, exec, s[84:85]
	s_and_saveexec_b64 s[84:85], s[20:21]
	s_cbranch_execz .LBB168_58
.LBB168_90:                             ;   in Loop: Header=BB168_47 Depth=1
	v_mov_b32_e32 v2, s94
	ds_read_b32 v2, v2
	s_waitcnt lgkmcnt(0)
	v_add_u32_e32 v8, v8, v2
	s_or_b64 exec, exec, s[84:85]
	s_and_saveexec_b64 s[84:85], s[22:23]
	s_cbranch_execz .LBB168_59
.LBB168_91:                             ;   in Loop: Header=BB168_47 Depth=1
	v_mov_b32_e32 v2, s95
	ds_read_b32 v2, v2
	s_waitcnt lgkmcnt(0)
	v_add_u32_e32 v8, v8, v2
	s_or_b64 exec, exec, s[84:85]
	s_and_saveexec_b64 s[84:85], s[24:25]
	s_cbranch_execz .LBB168_60
.LBB168_92:                             ;   in Loop: Header=BB168_47 Depth=1
	v_mov_b32_e32 v2, s96
	ds_read_b32 v2, v2
	s_waitcnt lgkmcnt(0)
	v_add_u32_e32 v8, v8, v2
	s_or_b64 exec, exec, s[84:85]
	s_and_saveexec_b64 s[84:85], s[26:27]
	s_cbranch_execz .LBB168_61
.LBB168_93:                             ;   in Loop: Header=BB168_47 Depth=1
	v_mov_b32_e32 v2, s97
	ds_read_b32 v2, v2
	s_waitcnt lgkmcnt(0)
	v_add_u32_e32 v8, v8, v2
	s_or_b64 exec, exec, s[84:85]
	s_and_saveexec_b64 s[84:85], s[28:29]
	s_cbranch_execz .LBB168_62
.LBB168_94:                             ;   in Loop: Header=BB168_47 Depth=1
	v_mov_b32_e32 v2, s98
	ds_read_b32 v2, v2
	s_waitcnt lgkmcnt(0)
	v_add_u32_e32 v8, v8, v2
	s_or_b64 exec, exec, s[84:85]
	s_and_saveexec_b64 s[84:85], s[30:31]
	s_cbranch_execz .LBB168_63
.LBB168_95:                             ;   in Loop: Header=BB168_47 Depth=1
	v_mov_b32_e32 v2, s99
	ds_read_b32 v2, v2
	s_waitcnt lgkmcnt(0)
	v_add_u32_e32 v8, v8, v2
	s_or_b64 exec, exec, s[84:85]
	s_and_saveexec_b64 s[84:85], s[34:35]
	s_cbranch_execz .LBB168_64
.LBB168_96:                             ;   in Loop: Header=BB168_47 Depth=1
	v_mov_b32_e32 v2, s82
	ds_read_b32 v2, v2
	s_waitcnt lgkmcnt(0)
	v_add_u32_e32 v8, v8, v2
	s_or_b64 exec, exec, s[84:85]
	s_and_saveexec_b64 s[84:85], s[36:37]
	s_cbranch_execz .LBB168_65
.LBB168_97:                             ;   in Loop: Header=BB168_47 Depth=1
	v_mov_b32_e32 v2, s83
	ds_read_b32 v2, v2
	s_waitcnt lgkmcnt(0)
	v_add_u32_e32 v8, v8, v2
	s_or_b64 exec, exec, s[84:85]
	s_and_saveexec_b64 s[84:85], s[38:39]
	s_cbranch_execz .LBB168_66
.LBB168_98:                             ;   in Loop: Header=BB168_47 Depth=1
	v_mov_b32_e32 v2, s74
	ds_read_b32 v2, v2
	s_waitcnt lgkmcnt(0)
	v_add_u32_e32 v8, v8, v2
	s_or_b64 exec, exec, s[84:85]
	s_and_saveexec_b64 s[84:85], s[40:41]
	s_cbranch_execz .LBB168_67
.LBB168_99:                             ;   in Loop: Header=BB168_47 Depth=1
	v_mov_b32_e32 v2, s70
	ds_read_b32 v2, v2
	s_waitcnt lgkmcnt(0)
	v_add_u32_e32 v8, v8, v2
	s_or_b64 exec, exec, s[84:85]
	s_and_saveexec_b64 s[84:85], s[42:43]
	s_cbranch_execz .LBB168_68
.LBB168_100:                            ;   in Loop: Header=BB168_47 Depth=1
	v_mov_b32_e32 v2, s71
	ds_read_b32 v2, v2
	s_waitcnt lgkmcnt(0)
	v_add_u32_e32 v8, v8, v2
	s_or_b64 exec, exec, s[84:85]
	s_and_saveexec_b64 s[84:85], s[44:45]
	s_cbranch_execz .LBB168_69
.LBB168_101:                            ;   in Loop: Header=BB168_47 Depth=1
	v_mov_b32_e32 v2, s76
	ds_read_b32 v2, v2
	s_waitcnt lgkmcnt(0)
	v_add_u32_e32 v8, v8, v2
	s_or_b64 exec, exec, s[84:85]
	s_and_saveexec_b64 s[84:85], s[46:47]
	s_cbranch_execz .LBB168_70
.LBB168_102:                            ;   in Loop: Header=BB168_47 Depth=1
	v_mov_b32_e32 v2, s77
	ds_read_b32 v2, v2
	s_waitcnt lgkmcnt(0)
	v_add_u32_e32 v8, v8, v2
	s_or_b64 exec, exec, s[84:85]
	s_and_saveexec_b64 s[84:85], s[48:49]
	s_cbranch_execz .LBB168_71
.LBB168_103:                            ;   in Loop: Header=BB168_47 Depth=1
	v_mov_b32_e32 v2, s78
	ds_read_b32 v2, v2
	s_waitcnt lgkmcnt(0)
	v_add_u32_e32 v8, v8, v2
	s_or_b64 exec, exec, s[84:85]
	s_and_saveexec_b64 s[84:85], s[50:51]
	s_cbranch_execz .LBB168_72
.LBB168_104:                            ;   in Loop: Header=BB168_47 Depth=1
	v_mov_b32_e32 v2, s79
	ds_read_b32 v2, v2
	s_waitcnt lgkmcnt(0)
	v_add_u32_e32 v8, v8, v2
	s_or_b64 exec, exec, s[84:85]
	s_and_saveexec_b64 s[84:85], s[52:53]
	s_cbranch_execz .LBB168_73
.LBB168_105:                            ;   in Loop: Header=BB168_47 Depth=1
	v_mov_b32_e32 v2, s33
	ds_read_b32 v2, v2
	s_waitcnt lgkmcnt(0)
	v_add_u32_e32 v8, v8, v2
	s_or_b64 exec, exec, s[84:85]
	s_and_saveexec_b64 s[84:85], s[54:55]
	s_cbranch_execz .LBB168_74
.LBB168_106:                            ;   in Loop: Header=BB168_47 Depth=1
	v_mov_b32_e32 v2, s75
	ds_read_b32 v2, v2
	s_waitcnt lgkmcnt(0)
	v_add_u32_e32 v8, v8, v2
	s_or_b64 exec, exec, s[84:85]
	s_and_saveexec_b64 s[84:85], s[56:57]
	s_cbranch_execz .LBB168_75
.LBB168_107:                            ;   in Loop: Header=BB168_47 Depth=1
	v_mov_b32_e32 v2, s86
	ds_read_b32 v2, v2
	s_waitcnt lgkmcnt(0)
	v_add_u32_e32 v8, v8, v2
	s_or_b64 exec, exec, s[84:85]
	s_and_saveexec_b64 s[84:85], s[58:59]
	s_cbranch_execz .LBB168_76
.LBB168_108:                            ;   in Loop: Header=BB168_47 Depth=1
	v_mov_b32_e32 v2, s87
	ds_read_b32 v2, v2
	s_waitcnt lgkmcnt(0)
	v_add_u32_e32 v8, v8, v2
	s_or_b64 exec, exec, s[84:85]
	s_and_saveexec_b64 s[84:85], s[60:61]
	s_cbranch_execz .LBB168_77
.LBB168_109:                            ;   in Loop: Header=BB168_47 Depth=1
	v_mov_b32_e32 v2, s88
	ds_read_b32 v2, v2
	s_waitcnt lgkmcnt(0)
	v_add_u32_e32 v8, v8, v2
	s_or_b64 exec, exec, s[84:85]
	s_and_saveexec_b64 s[84:85], s[62:63]
	s_cbranch_execz .LBB168_78
.LBB168_110:                            ;   in Loop: Header=BB168_47 Depth=1
	v_mov_b32_e32 v2, s89
	ds_read_b32 v2, v2
	s_waitcnt lgkmcnt(0)
	v_add_u32_e32 v8, v8, v2
	s_or_b64 exec, exec, s[84:85]
	v_ashrrev_i32_e32 v9, 31, v8
	s_and_saveexec_b64 s[84:85], s[68:69]
	s_cbranch_execz .LBB168_79
.LBB168_111:                            ;   in Loop: Header=BB168_47 Depth=1
	buffer_load_dword v14, off, s[0:3], 0
	buffer_load_dword v15, off, s[0:3], 0 offset:4
	buffer_load_dword v16, off, s[0:3], 0 offset:8
	;; [unrolled: 1-line block ×3, first 2 shown]
	v_add3_u32 v2, v6, -1, v8
	v_lshl_add_u32 v18, v2, 3, 0
	v_lshl_add_u32 v2, v2, 4, 0
	v_add_u32_e32 v2, 0x20000, v2
	ds_write_b64 v18, v[10:11]
	s_waitcnt vmcnt(0)
	ds_write2_b64 v2, v[14:15], v[16:17] offset1:1
	s_or_b64 exec, exec, s[84:85]
	s_and_saveexec_b64 s[68:69], vcc
	s_cbranch_execz .LBB168_46
.LBB168_112:                            ;   in Loop: Header=BB168_47 Depth=1
	v_mov_b32_e32 v2, s90
	ds_write_b64 v2, v[8:9]
	s_branch .LBB168_46
.LBB168_113:
	s_or_b64 exec, exec, s[72:73]
	v_readlane_b32 s4, v42, 4
	v_readlane_b32 s8, v42, 6
	;; [unrolled: 1-line block ×7, first 2 shown]
	s_lshl_b64 s[4:5], s[4:5], 3
	s_mov_b64 s[10:11], s[14:15]
	s_add_u32 s4, s10, s4
	s_addc_u32 s5, s11, s5
	s_load_dwordx4 s[4:7], s[4:5], 0x0
	v_readlane_b32 s9, v42, 7
	v_mov_b32_e32 v1, 0
	v_readlane_b32 s12, v42, 10
	v_readlane_b32 s13, v42, 11
	s_waitcnt lgkmcnt(0)
	s_sub_u32 s8, s6, s4
	s_subb_u32 s9, s7, s5
	v_cmp_gt_i64_e32 vcc, s[8:9], v[0:1]
	s_and_saveexec_b64 s[10:11], vcc
	v_readlane_b32 s20, v42, 14
	v_readlane_b32 s22, v42, 16
	;; [unrolled: 1-line block ×4, first 2 shown]
	s_cbranch_execz .LBB168_123
; %bb.114:
	s_sub_u32 s10, s4, s22
	s_subb_u32 s11, s5, 0
	s_and_b32 s12, s8, 7
	s_sub_u32 s4, s4, s6
	s_mov_b32 s20, 0
	s_subb_u32 s5, s5, s7
	s_mov_b32 s13, s20
	s_and_b32 s6, s8, -8
	v_cmp_lt_u64_e64 s[4:5], s[4:5], -7
	s_cmp_lg_u64 s[12:13], 0
	v_cndmask_b32_e64 v2, 0, 1, s[4:5]
	s_mov_b32 s7, s9
	s_mov_b64 s[14:15], 0
	s_cselect_b64 s[16:17], -1, 0
	v_cmp_ne_u32_e64 s[4:5], 1, v2
	s_branch .LBB168_116
.LBB168_115:                            ;   in Loop: Header=BB168_116 Depth=1
	v_lshl_add_u32 v6, v0, 4, 0
	v_add_u32_e32 v8, 0x20000, v6
	v_mov_b32_e32 v6, s20
	s_waitcnt lgkmcnt(0)
	v_add_co_u32_e32 v2, vcc, s22, v2
	v_readlane_b32 s24, v42, 0
	v_addc_co_u32_e32 v3, vcc, v3, v6, vcc
	v_lshlrev_b64 v[6:7], 3, v[4:5]
	v_readlane_b32 s25, v42, 1
	v_mov_b32_e32 v9, s25
	v_add_co_u32_e32 v6, vcc, s24, v6
	v_addc_co_u32_e32 v7, vcc, v9, v7, vcc
	v_readlane_b32 s26, v42, 2
	v_readlane_b32 s27, v42, 3
	global_store_dwordx2 v[6:7], v[2:3], off
	v_lshlrev_b64 v[2:3], 4, v[4:5]
	v_mov_b32_e32 v4, s27
	v_add_co_u32_e32 v6, vcc, s26, v2
	v_addc_co_u32_e32 v7, vcc, v4, v3, vcc
	ds_read2_b64 v[2:5], v8 offset1:1
	v_add_co_u32_e32 v0, vcc, 0x400, v0
	v_addc_co_u32_e32 v1, vcc, 0, v1, vcc
	v_cmp_le_i64_e32 vcc, s[8:9], v[0:1]
	s_or_b64 s[14:15], vcc, s[14:15]
	s_waitcnt lgkmcnt(0)
	global_store_dwordx4 v[6:7], v[2:5], off
	s_andn2_b64 exec, exec, s[14:15]
	s_cbranch_execz .LBB168_123
.LBB168_116:                            ; =>This Loop Header: Depth=1
                                        ;     Child Loop BB168_118 Depth 2
                                        ;     Child Loop BB168_122 Depth 2
	v_lshl_add_u32 v2, v0, 3, 0
	ds_read_b64 v[2:3], v2
	s_and_b64 vcc, exec, s[4:5]
	v_pk_mov_b32 v[4:5], s[10:11], s[10:11] op_sel:[0,1]
	s_mov_b64 s[18:19], 0
	s_cbranch_vccnz .LBB168_120
; %bb.117:                              ;   in Loop: Header=BB168_116 Depth=1
	s_mov_b32 s21, 0
	v_pk_mov_b32 v[4:5], s[10:11], s[10:11] op_sel:[0,1]
.LBB168_118:                            ;   Parent Loop BB168_116 Depth=1
                                        ; =>  This Inner Loop Header: Depth=2
	v_mov_b32_e32 v18, s21
	ds_read2_b64 v[6:9], v18 offset1:1
	ds_read2_b64 v[10:13], v18 offset0:2 offset1:3
	ds_read2_b64 v[14:17], v18 offset0:4 offset1:5
	;; [unrolled: 1-line block ×3, first 2 shown]
	s_add_u32 s18, s18, 8
	s_waitcnt lgkmcnt(3)
	v_cmp_gt_i64_e32 vcc, v[2:3], v[6:7]
	v_cndmask_b32_e64 v6, 0, 1, vcc
	v_cmp_gt_i64_e32 vcc, v[2:3], v[8:9]
	v_cndmask_b32_e64 v7, 0, 1, vcc
	s_waitcnt lgkmcnt(2)
	v_cmp_gt_i64_e32 vcc, v[2:3], v[10:11]
	v_cndmask_b32_e64 v8, 0, 1, vcc
	v_cmp_gt_i64_e32 vcc, v[2:3], v[12:13]
	v_cndmask_b32_e64 v9, 0, 1, vcc
	;; [unrolled: 5-line block ×4, first 2 shown]
	v_add_co_u32_e32 v4, vcc, v4, v6
	v_addc_co_u32_e32 v5, vcc, 0, v5, vcc
	v_add_co_u32_e32 v4, vcc, v4, v7
	v_addc_co_u32_e32 v5, vcc, 0, v5, vcc
	;; [unrolled: 2-line block ×7, first 2 shown]
	s_addc_u32 s19, s19, 0
	s_add_i32 s21, s21, 64
	v_add_co_u32_e32 v4, vcc, v4, v13
	s_cmp_eq_u64 s[6:7], s[18:19]
	v_addc_co_u32_e32 v5, vcc, 0, v5, vcc
	s_cbranch_scc0 .LBB168_118
; %bb.119:                              ;   in Loop: Header=BB168_116 Depth=1
	s_mov_b64 s[18:19], s[6:7]
.LBB168_120:                            ;   in Loop: Header=BB168_116 Depth=1
	s_andn2_b64 vcc, exec, s[16:17]
	s_cbranch_vccnz .LBB168_115
; %bb.121:                              ;   in Loop: Header=BB168_116 Depth=1
	s_lshl_b32 s18, s18, 3
	s_add_i32 s21, s18, 0
	s_mov_b64 s[18:19], s[12:13]
.LBB168_122:                            ;   Parent Loop BB168_116 Depth=1
                                        ; =>  This Inner Loop Header: Depth=2
	v_mov_b32_e32 v6, s21
	ds_read_b64 v[6:7], v6
	s_add_i32 s21, s21, 8
	s_add_u32 s18, s18, -1
	s_addc_u32 s19, s19, -1
	s_cmp_lg_u64 s[18:19], 0
	s_waitcnt lgkmcnt(0)
	v_cmp_gt_i64_e32 vcc, v[2:3], v[6:7]
	v_cndmask_b32_e64 v6, 0, 1, vcc
	v_add_co_u32_e32 v4, vcc, v4, v6
	v_addc_co_u32_e32 v5, vcc, 0, v5, vcc
	s_cbranch_scc1 .LBB168_122
	s_branch .LBB168_115
.LBB168_123:
	s_endpgm
	.section	.rodata,"a",@progbits
	.p2align	6, 0x0
	.amdhsa_kernel _ZN9rocsparseL26csrgemm_fill_block_per_rowILj1024ELj64ELj16384ELj137ELj32Ell21rocsparse_complex_numIdEEEvT5_PKS3_S5_NS_24const_host_device_scalarIT6_EEPKT4_S5_PKS7_SB_S5_SD_S8_SB_S5_SD_SB_PS3_PS7_21rocsparse_index_base_SG_SG_SG_bbb
		.amdhsa_group_segment_fixed_size 0
		.amdhsa_private_segment_fixed_size 40
		.amdhsa_kernarg_size 172
		.amdhsa_user_sgpr_count 8
		.amdhsa_user_sgpr_private_segment_buffer 1
		.amdhsa_user_sgpr_dispatch_ptr 0
		.amdhsa_user_sgpr_queue_ptr 0
		.amdhsa_user_sgpr_kernarg_segment_ptr 1
		.amdhsa_user_sgpr_dispatch_id 0
		.amdhsa_user_sgpr_flat_scratch_init 1
		.amdhsa_user_sgpr_kernarg_preload_length 0
		.amdhsa_user_sgpr_kernarg_preload_offset 0
		.amdhsa_user_sgpr_private_segment_size 0
		.amdhsa_uses_dynamic_stack 0
		.amdhsa_system_sgpr_private_segment_wavefront_offset 1
		.amdhsa_system_sgpr_workgroup_id_x 1
		.amdhsa_system_sgpr_workgroup_id_y 0
		.amdhsa_system_sgpr_workgroup_id_z 0
		.amdhsa_system_sgpr_workgroup_info 0
		.amdhsa_system_vgpr_workitem_id 0
		.amdhsa_next_free_vgpr 43
		.amdhsa_next_free_sgpr 100
		.amdhsa_accum_offset 44
		.amdhsa_reserve_vcc 1
		.amdhsa_reserve_flat_scratch 1
		.amdhsa_float_round_mode_32 0
		.amdhsa_float_round_mode_16_64 0
		.amdhsa_float_denorm_mode_32 3
		.amdhsa_float_denorm_mode_16_64 3
		.amdhsa_dx10_clamp 1
		.amdhsa_ieee_mode 1
		.amdhsa_fp16_overflow 0
		.amdhsa_tg_split 0
		.amdhsa_exception_fp_ieee_invalid_op 0
		.amdhsa_exception_fp_denorm_src 0
		.amdhsa_exception_fp_ieee_div_zero 0
		.amdhsa_exception_fp_ieee_overflow 0
		.amdhsa_exception_fp_ieee_underflow 0
		.amdhsa_exception_fp_ieee_inexact 0
		.amdhsa_exception_int_div_zero 0
	.end_amdhsa_kernel
	.section	.text._ZN9rocsparseL26csrgemm_fill_block_per_rowILj1024ELj64ELj16384ELj137ELj32Ell21rocsparse_complex_numIdEEEvT5_PKS3_S5_NS_24const_host_device_scalarIT6_EEPKT4_S5_PKS7_SB_S5_SD_S8_SB_S5_SD_SB_PS3_PS7_21rocsparse_index_base_SG_SG_SG_bbb,"axG",@progbits,_ZN9rocsparseL26csrgemm_fill_block_per_rowILj1024ELj64ELj16384ELj137ELj32Ell21rocsparse_complex_numIdEEEvT5_PKS3_S5_NS_24const_host_device_scalarIT6_EEPKT4_S5_PKS7_SB_S5_SD_S8_SB_S5_SD_SB_PS3_PS7_21rocsparse_index_base_SG_SG_SG_bbb,comdat
.Lfunc_end168:
	.size	_ZN9rocsparseL26csrgemm_fill_block_per_rowILj1024ELj64ELj16384ELj137ELj32Ell21rocsparse_complex_numIdEEEvT5_PKS3_S5_NS_24const_host_device_scalarIT6_EEPKT4_S5_PKS7_SB_S5_SD_S8_SB_S5_SD_SB_PS3_PS7_21rocsparse_index_base_SG_SG_SG_bbb, .Lfunc_end168-_ZN9rocsparseL26csrgemm_fill_block_per_rowILj1024ELj64ELj16384ELj137ELj32Ell21rocsparse_complex_numIdEEEvT5_PKS3_S5_NS_24const_host_device_scalarIT6_EEPKT4_S5_PKS7_SB_S5_SD_S8_SB_S5_SD_SB_PS3_PS7_21rocsparse_index_base_SG_SG_SG_bbb
                                        ; -- End function
	.section	.AMDGPU.csdata,"",@progbits
; Kernel info:
; codeLenInByte = 5332
; NumSgprs: 106
; NumVgprs: 43
; NumAgprs: 0
; TotalNumVgprs: 43
; ScratchSize: 40
; MemoryBound: 0
; FloatMode: 240
; IeeeMode: 1
; LDSByteSize: 0 bytes/workgroup (compile time only)
; SGPRBlocks: 13
; VGPRBlocks: 5
; NumSGPRsForWavesPerEU: 106
; NumVGPRsForWavesPerEU: 43
; AccumOffset: 44
; Occupancy: 7
; WaveLimiterHint : 1
; COMPUTE_PGM_RSRC2:SCRATCH_EN: 1
; COMPUTE_PGM_RSRC2:USER_SGPR: 8
; COMPUTE_PGM_RSRC2:TRAP_HANDLER: 0
; COMPUTE_PGM_RSRC2:TGID_X_EN: 1
; COMPUTE_PGM_RSRC2:TGID_Y_EN: 0
; COMPUTE_PGM_RSRC2:TGID_Z_EN: 0
; COMPUTE_PGM_RSRC2:TIDIG_COMP_CNT: 0
; COMPUTE_PGM_RSRC3_GFX90A:ACCUM_OFFSET: 10
; COMPUTE_PGM_RSRC3_GFX90A:TG_SPLIT: 0
	.section	.text._ZN9rocsparseL26csrgemm_fill_block_per_rowILj1024ELj64ELj16384ELj137ELj64Ell21rocsparse_complex_numIdEEEvT5_PKS3_S5_NS_24const_host_device_scalarIT6_EEPKT4_S5_PKS7_SB_S5_SD_S8_SB_S5_SD_SB_PS3_PS7_21rocsparse_index_base_SG_SG_SG_bbb,"axG",@progbits,_ZN9rocsparseL26csrgemm_fill_block_per_rowILj1024ELj64ELj16384ELj137ELj64Ell21rocsparse_complex_numIdEEEvT5_PKS3_S5_NS_24const_host_device_scalarIT6_EEPKT4_S5_PKS7_SB_S5_SD_S8_SB_S5_SD_SB_PS3_PS7_21rocsparse_index_base_SG_SG_SG_bbb,comdat
	.globl	_ZN9rocsparseL26csrgemm_fill_block_per_rowILj1024ELj64ELj16384ELj137ELj64Ell21rocsparse_complex_numIdEEEvT5_PKS3_S5_NS_24const_host_device_scalarIT6_EEPKT4_S5_PKS7_SB_S5_SD_S8_SB_S5_SD_SB_PS3_PS7_21rocsparse_index_base_SG_SG_SG_bbb ; -- Begin function _ZN9rocsparseL26csrgemm_fill_block_per_rowILj1024ELj64ELj16384ELj137ELj64Ell21rocsparse_complex_numIdEEEvT5_PKS3_S5_NS_24const_host_device_scalarIT6_EEPKT4_S5_PKS7_SB_S5_SD_S8_SB_S5_SD_SB_PS3_PS7_21rocsparse_index_base_SG_SG_SG_bbb
	.p2align	8
	.type	_ZN9rocsparseL26csrgemm_fill_block_per_rowILj1024ELj64ELj16384ELj137ELj64Ell21rocsparse_complex_numIdEEEvT5_PKS3_S5_NS_24const_host_device_scalarIT6_EEPKT4_S5_PKS7_SB_S5_SD_S8_SB_S5_SD_SB_PS3_PS7_21rocsparse_index_base_SG_SG_SG_bbb,@function
_ZN9rocsparseL26csrgemm_fill_block_per_rowILj1024ELj64ELj16384ELj137ELj64Ell21rocsparse_complex_numIdEEEvT5_PKS3_S5_NS_24const_host_device_scalarIT6_EEPKT4_S5_PKS7_SB_S5_SD_S8_SB_S5_SD_SB_PS3_PS7_21rocsparse_index_base_SG_SG_SG_bbb: ; @_ZN9rocsparseL26csrgemm_fill_block_per_rowILj1024ELj64ELj16384ELj137ELj64Ell21rocsparse_complex_numIdEEEvT5_PKS3_S5_NS_24const_host_device_scalarIT6_EEPKT4_S5_PKS7_SB_S5_SD_S8_SB_S5_SD_SB_PS3_PS7_21rocsparse_index_base_SG_SG_SG_bbb
; %bb.0:
	s_add_u32 flat_scratch_lo, s6, s9
	s_addc_u32 flat_scratch_hi, s7, 0
	s_load_dwordx4 s[12:15], s[4:5], 0x18
	s_load_dwordx4 s[28:31], s[4:5], 0x58
	s_add_u32 s0, s0, s9
	s_load_dword s9, s[4:5], 0xa8
	s_load_dwordx4 s[44:47], s[4:5], 0x98
	s_addc_u32 s1, s1, 0
	s_waitcnt lgkmcnt(0)
	v_mov_b32_e32 v1, s13
	buffer_store_dword v1, off, s[0:3], 0 offset:20
	s_bitcmp1_b32 s9, 0
	s_cselect_b64 s[56:57], -1, 0
	s_bitcmp1_b32 s9, 16
	v_mov_b32_e32 v1, s12
	s_cselect_b64 s[6:7], -1, 0
	buffer_store_dword v1, off, s[0:3], 0 offset:16
	v_mov_b32_e32 v1, s29
	buffer_store_dword v1, off, s[0:3], 0 offset:28
	v_mov_b32_e32 v1, s28
	s_xor_b64 s[10:11], s[6:7], -1
	buffer_store_dword v1, off, s[0:3], 0 offset:24
	v_pk_mov_b32 v[2:3], 0, 0
	v_cndmask_b32_e64 v1, 0, 1, s[10:11]
	s_bitcmp0_b32 s9, 0
	v_cmp_ne_u32_e64 s[10:11], 1, v1
	v_pk_mov_b32 v[6:7], v[2:3], v[2:3] op_sel:[0,1]
	v_pk_mov_b32 v[8:9], v[2:3], v[2:3] op_sel:[0,1]
	s_cbranch_scc1 .LBB169_3
; %bb.1:
	s_mov_b64 s[16:17], src_private_base
	s_and_b64 s[18:19], s[6:7], exec
	s_cselect_b32 s16, s17, s13
	v_mov_b32_e32 v1, 16
	v_mov_b32_e32 v4, s12
	v_cndmask_b32_e64 v4, v4, v1, s[6:7]
	v_mov_b32_e32 v5, s16
	flat_load_dwordx2 v[6:7], v[4:5]
	s_and_b64 vcc, exec, s[10:11]
	v_pk_mov_b32 v[8:9], s[14:15], s[14:15] op_sel:[0,1]
	s_cbranch_vccnz .LBB169_3
; %bb.2:
	v_pk_mov_b32 v[4:5], s[12:13], s[12:13] op_sel:[0,1]
	flat_load_dwordx2 v[8:9], v[4:5] offset:8
.LBB169_3:
	s_load_dwordx4 s[48:51], s[4:5], 0x88
	s_load_dwordx8 s[36:43], s[4:5], 0x68
	s_load_dwordx4 s[20:23], s[4:5], 0x48
	s_load_dwordx4 s[24:27], s[4:5], 0x8
	s_load_dwordx8 s[12:19], s[4:5], 0x28
	s_bitcmp1_b32 s9, 8
	s_cselect_b64 s[34:35], -1, 0
	s_bfe_u32 s9, s9, 0x10008
	s_mov_b64 s[54:55], 0
	s_cmp_eq_u32 s9, 0
	v_pk_mov_b32 v[4:5], v[2:3], v[2:3] op_sel:[0,1]
	s_cbranch_scc1 .LBB169_6
; %bb.4:
	s_mov_b64 s[52:53], src_private_base
	s_and_b64 s[58:59], s[6:7], exec
	s_cselect_b32 s9, s53, s29
	v_mov_b32_e32 v1, 24
	v_mov_b32_e32 v2, s28
	v_cndmask_b32_e64 v2, v2, v1, s[6:7]
	v_mov_b32_e32 v3, s9
	flat_load_dwordx2 v[4:5], v[2:3]
	s_and_b64 vcc, exec, s[10:11]
	v_pk_mov_b32 v[2:3], s[30:31], s[30:31] op_sel:[0,1]
	s_cbranch_vccnz .LBB169_6
; %bb.5:
	v_pk_mov_b32 v[2:3], s[28:29], s[28:29] op_sel:[0,1]
	flat_load_dwordx2 v[2:3], v[2:3] offset:8
.LBB169_6:
	s_load_dwordx2 s[52:53], s[4:5], 0x0
	v_lshlrev_b32_e32 v10, 4, v0
	s_mov_b32 s4, 0
	v_or_b32_e32 v1, 0xfffffc00, v0
	v_add_u32_e32 v30, 0, v10
	v_lshl_add_u32 v27, v0, 3, 0
	s_mov_b32 s5, s4
	s_mov_b32 s6, s4
	;; [unrolled: 1-line block ×3, first 2 shown]
	v_add_u32_e32 v16, 0x20008, v30
	s_waitcnt lgkmcnt(0)
	v_pk_mov_b32 v[10:11], s[52:53], s[52:53] op_sel:[0,1]
	v_pk_mov_b32 v[12:13], s[4:5], s[4:5] op_sel:[0,1]
	v_pk_mov_b32 v[14:15], s[6:7], s[6:7] op_sel:[0,1]
	s_movk_i32 s4, 0x3bff
	v_mov_b32_e32 v17, v27
	v_mov_b32_e32 v18, v1
.LBB169_7:                              ; =>This Inner Loop Header: Depth=1
	v_add_u32_e32 v18, 0x400, v18
	v_cmp_lt_u32_e32 vcc, s4, v18
	ds_write_b64 v17, v[10:11]
	v_add_u32_e32 v19, -8, v16
	v_add_u32_e32 v16, 0x4000, v16
	v_add_u32_e32 v17, 0x2000, v17
	s_or_b64 s[54:55], vcc, s[54:55]
	ds_write2_b64 v19, v[12:13], v[14:15] offset1:1
	s_andn2_b64 exec, exec, s[54:55]
	s_cbranch_execnz .LBB169_7
; %bb.8:
	s_or_b64 exec, exec, s[54:55]
	s_waitcnt lgkmcnt(0)
	s_barrier
	s_load_dwordx2 s[4:5], s[24:25], 0x0
	s_mov_b32 s9, 0
	v_lshrrev_b32_e32 v31, 6, v0
	s_waitcnt lgkmcnt(0)
	s_lshl_b64 s[4:5], s[4:5], 3
	s_add_u32 s6, s26, s4
	s_addc_u32 s7, s27, s5
	s_lshl_b64 s[4:5], s[8:9], 3
	s_add_u32 s4, s6, s4
	s_addc_u32 s5, s7, s5
	s_load_dwordx2 s[54:55], s[4:5], 0x0
	s_and_b64 vcc, exec, s[56:57]
	s_cbranch_vccz .LBB169_28
; %bb.9:
	s_waitcnt lgkmcnt(0)
	s_lshl_b64 s[4:5], s[54:55], 3
	s_add_u32 s4, s12, s4
	s_addc_u32 s5, s13, s5
	s_load_dwordx4 s[24:27], s[4:5], 0x0
	v_subrev_co_u32_e32 v10, vcc, s44, v31
	v_subb_co_u32_e64 v11, s[6:7], 0, 0, vcc
	s_waitcnt lgkmcnt(0)
	s_sub_u32 s4, s26, s44
	v_mov_b32_e32 v12, s25
	v_add_co_u32_e32 v10, vcc, s24, v10
	s_subb_u32 s5, s27, 0
	v_addc_co_u32_e32 v11, vcc, v12, v11, vcc
	v_cmp_gt_i64_e32 vcc, s[4:5], v[10:11]
	s_and_saveexec_b64 s[6:7], vcc
	s_cbranch_execz .LBB169_27
; %bb.10:
	v_and_b32_e32 v12, 63, v0
	v_subrev_co_u32_e32 v32, vcc, s45, v12
	s_mov_b32 s8, 0
	v_subb_co_u32_e64 v33, s[10:11], 0, 0, vcc
	s_mov_b32 s33, s44
	s_mov_b32 s58, s45
	s_mov_b64 s[10:11], 0
	v_mov_b32_e32 v34, s15
	v_mov_b32_e32 v35, s9
	;; [unrolled: 1-line block ×4, first 2 shown]
	s_movk_i32 s15, 0x89
	s_branch .LBB169_12
.LBB169_11:                             ;   in Loop: Header=BB169_12 Depth=1
	s_or_b64 exec, exec, s[8:9]
	v_add_co_u32_e32 v10, vcc, 16, v10
	v_addc_co_u32_e32 v11, vcc, 0, v11, vcc
	v_cmp_le_i64_e32 vcc, s[4:5], v[10:11]
	s_or_b64 s[10:11], vcc, s[10:11]
	s_andn2_b64 exec, exec, s[10:11]
	s_cbranch_execz .LBB169_27
.LBB169_12:                             ; =>This Loop Header: Depth=1
                                        ;     Child Loop BB169_15 Depth 2
                                        ;       Child Loop BB169_17 Depth 3
	v_lshlrev_b64 v[12:13], 3, v[10:11]
	v_add_co_u32_e32 v12, vcc, s14, v12
	v_addc_co_u32_e32 v13, vcc, v34, v13, vcc
	global_load_dwordx2 v[12:13], v[12:13], off
	s_waitcnt vmcnt(0)
	v_subrev_co_u32_e32 v12, vcc, s33, v12
	v_subb_co_u32_e32 v13, vcc, v13, v35, vcc
	v_lshlrev_b64 v[12:13], 3, v[12:13]
	v_add_co_u32_e32 v12, vcc, s18, v12
	v_addc_co_u32_e32 v13, vcc, v36, v13, vcc
	global_load_dwordx4 v[14:17], v[12:13], off
	s_waitcnt vmcnt(0)
	v_subrev_co_u32_e32 v12, vcc, s58, v16
	v_subb_co_u32_e32 v13, vcc, v17, v37, vcc
	v_add_co_u32_e32 v14, vcc, v14, v32
	v_addc_co_u32_e32 v15, vcc, v15, v33, vcc
	v_cmp_lt_i64_e32 vcc, v[14:15], v[12:13]
	s_and_saveexec_b64 s[8:9], vcc
	s_cbranch_execz .LBB169_11
; %bb.13:                               ;   in Loop: Header=BB169_12 Depth=1
	v_lshlrev_b64 v[16:17], 4, v[10:11]
	v_mov_b32_e32 v18, s17
	v_add_co_u32_e32 v16, vcc, s16, v16
	v_addc_co_u32_e32 v17, vcc, v18, v17, vcc
	global_load_dwordx4 v[20:23], v[16:17], off
	s_mov_b64 s[12:13], 0
	s_waitcnt vmcnt(0)
	v_mul_f64 v[16:17], v[22:23], -v[8:9]
	v_mul_f64 v[18:19], v[6:7], v[22:23]
	v_fmac_f64_e32 v[16:17], v[6:7], v[20:21]
	v_fmac_f64_e32 v[18:19], v[8:9], v[20:21]
	s_branch .LBB169_15
.LBB169_14:                             ;   in Loop: Header=BB169_15 Depth=2
	s_or_b64 exec, exec, s[24:25]
	v_add_co_u32_e32 v14, vcc, 64, v14
	v_addc_co_u32_e32 v15, vcc, 0, v15, vcc
	v_cmp_ge_i64_e32 vcc, v[14:15], v[12:13]
	s_or_b64 s[12:13], vcc, s[12:13]
	s_andn2_b64 exec, exec, s[12:13]
	s_cbranch_execz .LBB169_11
.LBB169_15:                             ;   Parent Loop BB169_12 Depth=1
                                        ; =>  This Loop Header: Depth=2
                                        ;       Child Loop BB169_17 Depth 3
	v_lshlrev_b64 v[20:21], 3, v[14:15]
	v_mov_b32_e32 v22, s21
	v_add_co_u32_e32 v20, vcc, s20, v20
	v_addc_co_u32_e32 v21, vcc, v22, v21, vcc
	v_lshlrev_b64 v[22:23], 4, v[14:15]
	v_mov_b32_e32 v24, s23
	v_add_co_u32_e32 v22, vcc, s22, v22
	global_load_dwordx2 v[20:21], v[20:21], off
	v_addc_co_u32_e32 v23, vcc, v24, v23, vcc
	global_load_dwordx4 v[38:41], v[22:23], off
	s_mov_b64 s[24:25], 0
	s_waitcnt vmcnt(1)
	v_subrev_co_u32_e32 v20, vcc, s58, v20
	v_mul_lo_u32 v26, v20, s15
	s_waitcnt vmcnt(0)
	v_mul_f64 v[22:23], v[40:41], -v[18:19]
	v_mul_f64 v[24:25], v[16:17], v[40:41]
	v_subb_co_u32_e32 v21, vcc, v21, v37, vcc
	v_fmac_f64_e32 v[22:23], v[16:17], v[38:39]
	v_fmac_f64_e32 v[24:25], v[18:19], v[38:39]
	v_and_b32_e32 v26, 0x3fff, v26
	s_branch .LBB169_17
.LBB169_16:                             ;   in Loop: Header=BB169_17 Depth=3
	s_or_b64 exec, exec, s[26:27]
	s_xor_b64 s[26:27], s[28:29], -1
	s_and_b64 s[26:27], exec, s[26:27]
	s_or_b64 s[24:25], s[26:27], s[24:25]
	s_andn2_b64 exec, exec, s[24:25]
	s_cbranch_execz .LBB169_14
.LBB169_17:                             ;   Parent Loop BB169_12 Depth=1
                                        ;     Parent Loop BB169_15 Depth=2
                                        ; =>    This Inner Loop Header: Depth=3
	v_lshl_add_u32 v38, v26, 3, 0
	ds_read_b64 v[28:29], v38
                                        ; implicit-def: $sgpr28_sgpr29
	s_waitcnt lgkmcnt(0)
	v_cmp_ne_u64_e32 vcc, v[28:29], v[20:21]
	s_and_saveexec_b64 s[26:27], vcc
	s_xor_b64 s[26:27], exec, s[26:27]
	s_cbranch_execz .LBB169_25
; %bb.18:                               ;   in Loop: Header=BB169_17 Depth=3
	v_cmp_ne_u64_e32 vcc, s[52:53], v[28:29]
                                        ; implicit-def: $sgpr28_sgpr29
	s_and_saveexec_b64 s[30:31], vcc
	s_xor_b64 s[30:31], exec, s[30:31]
; %bb.19:                               ;   in Loop: Header=BB169_17 Depth=3
	v_add_u32_e32 v26, 1, v26
	v_and_b32_e32 v26, 0x3fff, v26
	s_mov_b64 s[28:29], -1
                                        ; implicit-def: $vgpr38
; %bb.20:                               ;   in Loop: Header=BB169_17 Depth=3
	s_andn2_saveexec_b64 s[30:31], s[30:31]
	s_cbranch_execz .LBB169_24
; %bb.21:                               ;   in Loop: Header=BB169_17 Depth=3
	v_pk_mov_b32 v[28:29], s[52:53], s[52:53] op_sel:[0,1]
	ds_cmpst_rtn_b64 v[28:29], v38, v[28:29], v[20:21]
	s_mov_b64 s[56:57], -1
	s_waitcnt lgkmcnt(0)
	v_cmp_eq_u64_e32 vcc, s[52:53], v[28:29]
	s_and_saveexec_b64 s[44:45], vcc
	s_cbranch_execz .LBB169_23
; %bb.22:                               ;   in Loop: Header=BB169_17 Depth=3
	v_lshl_add_u32 v28, v26, 4, 0
	v_add_u32_e32 v28, 0x20000, v28
	ds_add_f64 v28, v[22:23]
	ds_add_f64 v28, v[24:25] offset:8
	s_xor_b64 s[56:57], exec, -1
.LBB169_23:                             ;   in Loop: Header=BB169_17 Depth=3
	s_or_b64 exec, exec, s[44:45]
	s_andn2_b64 s[28:29], s[28:29], exec
	s_and_b64 s[44:45], s[56:57], exec
	s_or_b64 s[28:29], s[28:29], s[44:45]
.LBB169_24:                             ;   in Loop: Header=BB169_17 Depth=3
	s_or_b64 exec, exec, s[30:31]
	s_and_b64 s[28:29], s[28:29], exec
.LBB169_25:                             ;   in Loop: Header=BB169_17 Depth=3
	s_andn2_saveexec_b64 s[26:27], s[26:27]
	s_cbranch_execz .LBB169_16
; %bb.26:                               ;   in Loop: Header=BB169_17 Depth=3
	v_lshl_add_u32 v28, v26, 4, 0
	v_add_u32_e32 v28, 0x20000, v28
	ds_add_f64 v28, v[22:23]
	ds_add_f64 v28, v[24:25] offset:8
	s_andn2_b64 s[28:29], s[28:29], exec
	s_branch .LBB169_16
.LBB169_27:
	s_or_b64 exec, exec, s[6:7]
.LBB169_28:
	s_andn2_b64 vcc, exec, s[34:35]
	s_cbranch_vccnz .LBB169_45
; %bb.29:
	s_waitcnt lgkmcnt(0)
	s_lshl_b64 s[4:5], s[54:55], 3
	s_add_u32 s4, s36, s4
	s_addc_u32 s5, s37, s5
	s_load_dwordx4 s[12:15], s[4:5], 0x0
	s_waitcnt vmcnt(0)
	v_subrev_co_u32_e32 v6, vcc, s47, v0
	v_subb_co_u32_e64 v7, s[6:7], 0, 0, vcc
	s_waitcnt lgkmcnt(0)
	s_sub_u32 s4, s14, s47
	v_mov_b32_e32 v8, s13
	v_add_co_u32_e32 v6, vcc, s12, v6
	s_subb_u32 s5, s15, 0
	v_addc_co_u32_e32 v7, vcc, v8, v7, vcc
	s_mov_b32 s10, 0
	v_cmp_gt_i64_e32 vcc, s[4:5], v[6:7]
	s_and_saveexec_b64 s[6:7], vcc
	s_cbranch_execz .LBB169_44
; %bb.30:
	s_mov_b32 s22, s47
	s_mov_b64 s[8:9], 0
	v_mov_b32_e32 v15, s39
	v_mov_b32_e32 v18, s10
	;; [unrolled: 1-line block ×3, first 2 shown]
	s_movk_i32 s23, 0x89
	s_branch .LBB169_32
.LBB169_31:                             ;   in Loop: Header=BB169_32 Depth=1
	s_or_b64 exec, exec, s[10:11]
	v_add_co_u32_e32 v6, vcc, 0x400, v6
	v_addc_co_u32_e32 v7, vcc, 0, v7, vcc
	v_cmp_le_i64_e32 vcc, s[4:5], v[6:7]
	s_or_b64 s[8:9], vcc, s[8:9]
	s_andn2_b64 exec, exec, s[8:9]
	s_cbranch_execz .LBB169_44
.LBB169_32:                             ; =>This Loop Header: Depth=1
                                        ;     Child Loop BB169_34 Depth 2
	v_lshlrev_b64 v[8:9], 3, v[6:7]
	v_add_co_u32_e32 v8, vcc, s38, v8
	v_addc_co_u32_e32 v9, vcc, v15, v9, vcc
	v_lshlrev_b64 v[10:11], 4, v[6:7]
	v_add_co_u32_e32 v10, vcc, s40, v10
	global_load_dwordx2 v[8:9], v[8:9], off
	v_addc_co_u32_e32 v11, vcc, v19, v11, vcc
	global_load_dwordx4 v[20:23], v[10:11], off
	s_mov_b64 s[10:11], 0
	s_waitcnt vmcnt(1)
	v_subrev_co_u32_e32 v8, vcc, s22, v8
	v_mul_lo_u32 v14, v8, s23
	s_waitcnt vmcnt(0)
	v_mul_f64 v[10:11], v[22:23], -v[2:3]
	v_mul_f64 v[12:13], v[4:5], v[22:23]
	v_subb_co_u32_e32 v9, vcc, v9, v18, vcc
	v_fmac_f64_e32 v[10:11], v[4:5], v[20:21]
	v_fmac_f64_e32 v[12:13], v[2:3], v[20:21]
	v_and_b32_e32 v14, 0x3fff, v14
	s_branch .LBB169_34
.LBB169_33:                             ;   in Loop: Header=BB169_34 Depth=2
	s_or_b64 exec, exec, s[12:13]
	s_xor_b64 s[12:13], s[14:15], -1
	s_and_b64 s[12:13], exec, s[12:13]
	s_or_b64 s[10:11], s[12:13], s[10:11]
	s_andn2_b64 exec, exec, s[10:11]
	s_cbranch_execz .LBB169_31
.LBB169_34:                             ;   Parent Loop BB169_32 Depth=1
                                        ; =>  This Inner Loop Header: Depth=2
	v_lshl_add_u32 v20, v14, 3, 0
	ds_read_b64 v[16:17], v20
                                        ; implicit-def: $sgpr14_sgpr15
	s_waitcnt lgkmcnt(0)
	v_cmp_ne_u64_e32 vcc, v[16:17], v[8:9]
	s_and_saveexec_b64 s[12:13], vcc
	s_xor_b64 s[12:13], exec, s[12:13]
	s_cbranch_execz .LBB169_42
; %bb.35:                               ;   in Loop: Header=BB169_34 Depth=2
	v_cmp_ne_u64_e32 vcc, s[52:53], v[16:17]
                                        ; implicit-def: $sgpr14_sgpr15
	s_and_saveexec_b64 s[16:17], vcc
	s_xor_b64 s[16:17], exec, s[16:17]
; %bb.36:                               ;   in Loop: Header=BB169_34 Depth=2
	v_add_u32_e32 v14, 1, v14
	v_and_b32_e32 v14, 0x3fff, v14
	s_mov_b64 s[14:15], -1
                                        ; implicit-def: $vgpr20
; %bb.37:                               ;   in Loop: Header=BB169_34 Depth=2
	s_andn2_saveexec_b64 s[16:17], s[16:17]
	s_cbranch_execz .LBB169_41
; %bb.38:                               ;   in Loop: Header=BB169_34 Depth=2
	v_pk_mov_b32 v[16:17], s[52:53], s[52:53] op_sel:[0,1]
	ds_cmpst_rtn_b64 v[16:17], v20, v[16:17], v[8:9]
	s_mov_b64 s[20:21], -1
	s_waitcnt lgkmcnt(0)
	v_cmp_eq_u64_e32 vcc, s[52:53], v[16:17]
	s_and_saveexec_b64 s[18:19], vcc
	s_cbranch_execz .LBB169_40
; %bb.39:                               ;   in Loop: Header=BB169_34 Depth=2
	v_lshl_add_u32 v16, v14, 4, 0
	v_add_u32_e32 v16, 0x20000, v16
	ds_add_f64 v16, v[10:11]
	ds_add_f64 v16, v[12:13] offset:8
	s_xor_b64 s[20:21], exec, -1
.LBB169_40:                             ;   in Loop: Header=BB169_34 Depth=2
	s_or_b64 exec, exec, s[18:19]
	s_andn2_b64 s[14:15], s[14:15], exec
	s_and_b64 s[18:19], s[20:21], exec
	s_or_b64 s[14:15], s[14:15], s[18:19]
.LBB169_41:                             ;   in Loop: Header=BB169_34 Depth=2
	s_or_b64 exec, exec, s[16:17]
	s_and_b64 s[14:15], s[14:15], exec
.LBB169_42:                             ;   in Loop: Header=BB169_34 Depth=2
	s_andn2_saveexec_b64 s[12:13], s[12:13]
	s_cbranch_execz .LBB169_33
; %bb.43:                               ;   in Loop: Header=BB169_34 Depth=2
	v_lshl_add_u32 v16, v14, 4, 0
	v_add_u32_e32 v16, 0x20000, v16
	ds_add_f64 v16, v[10:11]
	ds_add_f64 v16, v[12:13] offset:8
	s_andn2_b64 s[14:15], s[14:15], exec
	s_branch .LBB169_33
.LBB169_44:
	s_or_b64 exec, exec, s[6:7]
.LBB169_45:
	s_waitcnt vmcnt(0)
	v_mbcnt_lo_u32_b32 v2, -1, 0
	v_mbcnt_hi_u32_b32 v2, -1, v2
	v_sub_u32_e32 v2, 63, v2
	s_add_i32 s33, 0, 0x60000
	s_movk_i32 s4, 0x3ff
	s_movk_i32 s6, 0x7f
	;; [unrolled: 1-line block ×15, first 2 shown]
	v_mov_b32_e32 v3, 0
	v_lshrrev_b64 v[4:5], v2, -1
	v_lshl_add_u32 v12, v31, 3, s33
	v_cmp_eq_u32_e32 vcc, s4, v0
	v_cmp_lt_u32_e64 s[4:5], 63, v0
	v_cmp_lt_u32_e64 s[6:7], s6, v0
	;; [unrolled: 1-line block ×15, first 2 shown]
	v_add_u32_e32 v13, 0x20000, v30
	s_mov_b64 s[38:39], 0
	v_pk_mov_b32 v[6:7], 0, 0
	s_add_i32 s44, 0, 0x60008
	s_add_i32 s45, 0, 0x60010
	;; [unrolled: 1-line block ×15, first 2 shown]
	s_movk_i32 s68, 0x3bff
	s_waitcnt lgkmcnt(0)
	s_barrier
	s_branch .LBB169_47
.LBB169_46:                             ;   in Loop: Header=BB169_47 Depth=1
	s_or_b64 exec, exec, s[36:37]
	v_mov_b32_e32 v2, s67
	s_waitcnt lgkmcnt(0)
	s_barrier
	ds_read_b64 v[8:9], v2
	v_add_u32_e32 v1, 0x400, v1
	v_add_u32_e32 v13, 0x4000, v13
	;; [unrolled: 1-line block ×3, first 2 shown]
	s_waitcnt lgkmcnt(0)
	v_add_co_u32_e64 v6, s[36:37], v8, v6
	v_addc_co_u32_e64 v7, s[36:37], v9, v7, s[36:37]
	v_cmp_lt_u32_e64 s[36:37], s68, v1
	s_or_b64 s[38:39], s[36:37], s[38:39]
	s_andn2_b64 exec, exec, s[38:39]
	s_cbranch_execz .LBB169_81
.LBB169_47:                             ; =>This Inner Loop Header: Depth=1
	ds_read2_b64 v[14:17], v13 offset1:1
	ds_read_b64 v[10:11], v27
	s_waitcnt lgkmcnt(1)
	buffer_store_dword v17, off, s[0:3], 0 offset:12
	buffer_store_dword v16, off, s[0:3], 0 offset:8
	;; [unrolled: 1-line block ×3, first 2 shown]
	buffer_store_dword v14, off, s[0:3], 0
	s_waitcnt lgkmcnt(0)
	v_cmp_gt_i64_e64 s[36:37], s[52:53], v[10:11]
	v_and_b32_e32 v9, s36, v4
	s_bcnt1_i32_b64 s40, s[36:37]
	v_and_b32_e32 v8, s37, v5
	v_bcnt_u32_b32 v9, v9, 0
	v_mov_b32_e32 v2, s40
	v_bcnt_u32_b32 v8, v8, v9
	s_barrier
	ds_write_b64 v12, v[2:3]
	s_waitcnt lgkmcnt(0)
	s_barrier
	s_and_saveexec_b64 s[40:41], s[4:5]
	s_cbranch_execnz .LBB169_64
; %bb.48:                               ;   in Loop: Header=BB169_47 Depth=1
	s_or_b64 exec, exec, s[40:41]
	s_and_saveexec_b64 s[40:41], s[6:7]
	s_cbranch_execnz .LBB169_65
.LBB169_49:                             ;   in Loop: Header=BB169_47 Depth=1
	s_or_b64 exec, exec, s[40:41]
	s_and_saveexec_b64 s[40:41], s[8:9]
	s_cbranch_execnz .LBB169_66
.LBB169_50:                             ;   in Loop: Header=BB169_47 Depth=1
	s_or_b64 exec, exec, s[40:41]
	s_and_saveexec_b64 s[40:41], s[10:11]
	s_cbranch_execnz .LBB169_67
.LBB169_51:                             ;   in Loop: Header=BB169_47 Depth=1
	s_or_b64 exec, exec, s[40:41]
	s_and_saveexec_b64 s[40:41], s[12:13]
	s_cbranch_execnz .LBB169_68
.LBB169_52:                             ;   in Loop: Header=BB169_47 Depth=1
	s_or_b64 exec, exec, s[40:41]
	s_and_saveexec_b64 s[40:41], s[14:15]
	s_cbranch_execnz .LBB169_69
.LBB169_53:                             ;   in Loop: Header=BB169_47 Depth=1
	s_or_b64 exec, exec, s[40:41]
	s_and_saveexec_b64 s[40:41], s[16:17]
	s_cbranch_execnz .LBB169_70
.LBB169_54:                             ;   in Loop: Header=BB169_47 Depth=1
	s_or_b64 exec, exec, s[40:41]
	s_and_saveexec_b64 s[40:41], s[18:19]
	s_cbranch_execnz .LBB169_71
.LBB169_55:                             ;   in Loop: Header=BB169_47 Depth=1
	s_or_b64 exec, exec, s[40:41]
	s_and_saveexec_b64 s[40:41], s[20:21]
	s_cbranch_execnz .LBB169_72
.LBB169_56:                             ;   in Loop: Header=BB169_47 Depth=1
	s_or_b64 exec, exec, s[40:41]
	s_and_saveexec_b64 s[40:41], s[22:23]
	s_cbranch_execnz .LBB169_73
.LBB169_57:                             ;   in Loop: Header=BB169_47 Depth=1
	s_or_b64 exec, exec, s[40:41]
	s_and_saveexec_b64 s[40:41], s[24:25]
	s_cbranch_execnz .LBB169_74
.LBB169_58:                             ;   in Loop: Header=BB169_47 Depth=1
	s_or_b64 exec, exec, s[40:41]
	s_and_saveexec_b64 s[40:41], s[26:27]
	s_cbranch_execnz .LBB169_75
.LBB169_59:                             ;   in Loop: Header=BB169_47 Depth=1
	s_or_b64 exec, exec, s[40:41]
	s_and_saveexec_b64 s[40:41], s[28:29]
	s_cbranch_execnz .LBB169_76
.LBB169_60:                             ;   in Loop: Header=BB169_47 Depth=1
	s_or_b64 exec, exec, s[40:41]
	s_and_saveexec_b64 s[40:41], s[30:31]
	s_cbranch_execnz .LBB169_77
.LBB169_61:                             ;   in Loop: Header=BB169_47 Depth=1
	s_or_b64 exec, exec, s[40:41]
	s_and_saveexec_b64 s[40:41], s[34:35]
	s_cbranch_execnz .LBB169_78
.LBB169_62:                             ;   in Loop: Header=BB169_47 Depth=1
	s_or_b64 exec, exec, s[40:41]
	v_ashrrev_i32_e32 v9, 31, v8
	s_and_saveexec_b64 s[40:41], s[36:37]
	s_cbranch_execnz .LBB169_79
.LBB169_63:                             ;   in Loop: Header=BB169_47 Depth=1
	s_or_b64 exec, exec, s[40:41]
	s_and_saveexec_b64 s[36:37], vcc
	s_cbranch_execz .LBB169_46
	s_branch .LBB169_80
.LBB169_64:                             ;   in Loop: Header=BB169_47 Depth=1
	v_mov_b32_e32 v2, s33
	ds_read_b32 v2, v2
	s_waitcnt lgkmcnt(0)
	v_add_u32_e32 v8, v2, v8
	s_or_b64 exec, exec, s[40:41]
	s_and_saveexec_b64 s[40:41], s[6:7]
	s_cbranch_execz .LBB169_49
.LBB169_65:                             ;   in Loop: Header=BB169_47 Depth=1
	v_mov_b32_e32 v2, s44
	ds_read_b32 v2, v2
	s_waitcnt lgkmcnt(0)
	v_add_u32_e32 v8, v8, v2
	s_or_b64 exec, exec, s[40:41]
	s_and_saveexec_b64 s[40:41], s[8:9]
	s_cbranch_execz .LBB169_50
.LBB169_66:                             ;   in Loop: Header=BB169_47 Depth=1
	v_mov_b32_e32 v2, s45
	ds_read_b32 v2, v2
	s_waitcnt lgkmcnt(0)
	v_add_u32_e32 v8, v8, v2
	s_or_b64 exec, exec, s[40:41]
	s_and_saveexec_b64 s[40:41], s[10:11]
	s_cbranch_execz .LBB169_51
.LBB169_67:                             ;   in Loop: Header=BB169_47 Depth=1
	v_mov_b32_e32 v2, s47
	ds_read_b32 v2, v2
	s_waitcnt lgkmcnt(0)
	v_add_u32_e32 v8, v8, v2
	s_or_b64 exec, exec, s[40:41]
	s_and_saveexec_b64 s[40:41], s[12:13]
	s_cbranch_execz .LBB169_52
.LBB169_68:                             ;   in Loop: Header=BB169_47 Depth=1
	v_mov_b32_e32 v2, s56
	ds_read_b32 v2, v2
	s_waitcnt lgkmcnt(0)
	v_add_u32_e32 v8, v8, v2
	s_or_b64 exec, exec, s[40:41]
	s_and_saveexec_b64 s[40:41], s[14:15]
	s_cbranch_execz .LBB169_53
.LBB169_69:                             ;   in Loop: Header=BB169_47 Depth=1
	v_mov_b32_e32 v2, s57
	ds_read_b32 v2, v2
	s_waitcnt lgkmcnt(0)
	v_add_u32_e32 v8, v8, v2
	s_or_b64 exec, exec, s[40:41]
	s_and_saveexec_b64 s[40:41], s[16:17]
	s_cbranch_execz .LBB169_54
.LBB169_70:                             ;   in Loop: Header=BB169_47 Depth=1
	v_mov_b32_e32 v2, s58
	ds_read_b32 v2, v2
	s_waitcnt lgkmcnt(0)
	v_add_u32_e32 v8, v8, v2
	s_or_b64 exec, exec, s[40:41]
	s_and_saveexec_b64 s[40:41], s[18:19]
	s_cbranch_execz .LBB169_55
.LBB169_71:                             ;   in Loop: Header=BB169_47 Depth=1
	v_mov_b32_e32 v2, s59
	ds_read_b32 v2, v2
	s_waitcnt lgkmcnt(0)
	v_add_u32_e32 v8, v8, v2
	s_or_b64 exec, exec, s[40:41]
	s_and_saveexec_b64 s[40:41], s[20:21]
	s_cbranch_execz .LBB169_56
.LBB169_72:                             ;   in Loop: Header=BB169_47 Depth=1
	v_mov_b32_e32 v2, s60
	ds_read_b32 v2, v2
	s_waitcnt lgkmcnt(0)
	v_add_u32_e32 v8, v8, v2
	s_or_b64 exec, exec, s[40:41]
	s_and_saveexec_b64 s[40:41], s[22:23]
	s_cbranch_execz .LBB169_57
.LBB169_73:                             ;   in Loop: Header=BB169_47 Depth=1
	v_mov_b32_e32 v2, s61
	ds_read_b32 v2, v2
	s_waitcnt lgkmcnt(0)
	v_add_u32_e32 v8, v8, v2
	s_or_b64 exec, exec, s[40:41]
	s_and_saveexec_b64 s[40:41], s[24:25]
	s_cbranch_execz .LBB169_58
.LBB169_74:                             ;   in Loop: Header=BB169_47 Depth=1
	v_mov_b32_e32 v2, s62
	ds_read_b32 v2, v2
	s_waitcnt lgkmcnt(0)
	v_add_u32_e32 v8, v8, v2
	s_or_b64 exec, exec, s[40:41]
	s_and_saveexec_b64 s[40:41], s[26:27]
	s_cbranch_execz .LBB169_59
.LBB169_75:                             ;   in Loop: Header=BB169_47 Depth=1
	v_mov_b32_e32 v2, s63
	ds_read_b32 v2, v2
	s_waitcnt lgkmcnt(0)
	v_add_u32_e32 v8, v8, v2
	s_or_b64 exec, exec, s[40:41]
	s_and_saveexec_b64 s[40:41], s[28:29]
	s_cbranch_execz .LBB169_60
.LBB169_76:                             ;   in Loop: Header=BB169_47 Depth=1
	v_mov_b32_e32 v2, s64
	ds_read_b32 v2, v2
	s_waitcnt lgkmcnt(0)
	v_add_u32_e32 v8, v8, v2
	s_or_b64 exec, exec, s[40:41]
	s_and_saveexec_b64 s[40:41], s[30:31]
	s_cbranch_execz .LBB169_61
.LBB169_77:                             ;   in Loop: Header=BB169_47 Depth=1
	v_mov_b32_e32 v2, s65
	ds_read_b32 v2, v2
	s_waitcnt lgkmcnt(0)
	v_add_u32_e32 v8, v8, v2
	s_or_b64 exec, exec, s[40:41]
	s_and_saveexec_b64 s[40:41], s[34:35]
	s_cbranch_execz .LBB169_62
.LBB169_78:                             ;   in Loop: Header=BB169_47 Depth=1
	v_mov_b32_e32 v2, s66
	ds_read_b32 v2, v2
	s_waitcnt lgkmcnt(0)
	v_add_u32_e32 v8, v8, v2
	s_or_b64 exec, exec, s[40:41]
	v_ashrrev_i32_e32 v9, 31, v8
	s_and_saveexec_b64 s[40:41], s[36:37]
	s_cbranch_execz .LBB169_63
.LBB169_79:                             ;   in Loop: Header=BB169_47 Depth=1
	buffer_load_dword v14, off, s[0:3], 0
	buffer_load_dword v15, off, s[0:3], 0 offset:4
	buffer_load_dword v16, off, s[0:3], 0 offset:8
	;; [unrolled: 1-line block ×3, first 2 shown]
	v_add3_u32 v2, v6, -1, v8
	v_lshl_add_u32 v18, v2, 3, 0
	v_lshl_add_u32 v2, v2, 4, 0
	v_add_u32_e32 v2, 0x20000, v2
	ds_write_b64 v18, v[10:11]
	s_waitcnt vmcnt(0)
	ds_write2_b64 v2, v[14:15], v[16:17] offset1:1
	s_or_b64 exec, exec, s[40:41]
	s_and_saveexec_b64 s[36:37], vcc
	s_cbranch_execz .LBB169_46
.LBB169_80:                             ;   in Loop: Header=BB169_47 Depth=1
	v_mov_b32_e32 v2, s67
	ds_write_b64 v2, v[8:9]
	s_branch .LBB169_46
.LBB169_81:
	s_or_b64 exec, exec, s[38:39]
	s_lshl_b64 s[4:5], s[54:55], 3
	s_add_u32 s4, s42, s4
	s_addc_u32 s5, s43, s5
	s_load_dwordx4 s[4:7], s[4:5], 0x0
	v_mov_b32_e32 v1, 0
	s_waitcnt lgkmcnt(0)
	s_sub_u32 s8, s6, s4
	s_subb_u32 s9, s7, s5
	v_cmp_gt_i64_e32 vcc, s[8:9], v[0:1]
	s_and_saveexec_b64 s[10:11], vcc
	s_cbranch_execz .LBB169_91
; %bb.82:
	s_sub_u32 s10, s4, s46
	s_subb_u32 s11, s5, 0
	s_and_b32 s12, s8, 7
	s_sub_u32 s4, s4, s6
	s_mov_b32 s20, 0
	s_subb_u32 s5, s5, s7
	s_mov_b32 s13, s20
	s_and_b32 s6, s8, -8
	v_cmp_lt_u64_e64 s[4:5], s[4:5], -7
	s_cmp_lg_u64 s[12:13], 0
	v_cndmask_b32_e64 v2, 0, 1, s[4:5]
	s_mov_b32 s7, s9
	s_mov_b64 s[14:15], 0
	s_cselect_b64 s[16:17], -1, 0
	v_cmp_ne_u32_e64 s[4:5], 1, v2
	s_branch .LBB169_84
.LBB169_83:                             ;   in Loop: Header=BB169_84 Depth=1
	v_lshl_add_u32 v6, v0, 4, 0
	v_add_u32_e32 v8, 0x20000, v6
	v_mov_b32_e32 v6, s20
	s_waitcnt lgkmcnt(0)
	v_add_co_u32_e32 v2, vcc, s46, v2
	v_addc_co_u32_e32 v3, vcc, v3, v6, vcc
	v_lshlrev_b64 v[6:7], 3, v[4:5]
	v_mov_b32_e32 v9, s49
	v_add_co_u32_e32 v6, vcc, s48, v6
	v_addc_co_u32_e32 v7, vcc, v9, v7, vcc
	global_store_dwordx2 v[6:7], v[2:3], off
	v_lshlrev_b64 v[2:3], 4, v[4:5]
	v_mov_b32_e32 v4, s51
	v_add_co_u32_e32 v6, vcc, s50, v2
	v_addc_co_u32_e32 v7, vcc, v4, v3, vcc
	ds_read2_b64 v[2:5], v8 offset1:1
	v_add_co_u32_e32 v0, vcc, 0x400, v0
	v_addc_co_u32_e32 v1, vcc, 0, v1, vcc
	v_cmp_le_i64_e32 vcc, s[8:9], v[0:1]
	s_or_b64 s[14:15], vcc, s[14:15]
	s_waitcnt lgkmcnt(0)
	global_store_dwordx4 v[6:7], v[2:5], off
	s_andn2_b64 exec, exec, s[14:15]
	s_cbranch_execz .LBB169_91
.LBB169_84:                             ; =>This Loop Header: Depth=1
                                        ;     Child Loop BB169_86 Depth 2
                                        ;     Child Loop BB169_90 Depth 2
	v_lshl_add_u32 v2, v0, 3, 0
	ds_read_b64 v[2:3], v2
	s_and_b64 vcc, exec, s[4:5]
	v_pk_mov_b32 v[4:5], s[10:11], s[10:11] op_sel:[0,1]
	s_mov_b64 s[18:19], 0
	s_cbranch_vccnz .LBB169_88
; %bb.85:                               ;   in Loop: Header=BB169_84 Depth=1
	s_mov_b32 s21, 0
	v_pk_mov_b32 v[4:5], s[10:11], s[10:11] op_sel:[0,1]
.LBB169_86:                             ;   Parent Loop BB169_84 Depth=1
                                        ; =>  This Inner Loop Header: Depth=2
	v_mov_b32_e32 v18, s21
	ds_read2_b64 v[6:9], v18 offset1:1
	ds_read2_b64 v[10:13], v18 offset0:2 offset1:3
	ds_read2_b64 v[14:17], v18 offset0:4 offset1:5
	ds_read2_b64 v[18:21], v18 offset0:6 offset1:7
	s_add_u32 s18, s18, 8
	s_waitcnt lgkmcnt(3)
	v_cmp_gt_i64_e32 vcc, v[2:3], v[6:7]
	v_cndmask_b32_e64 v6, 0, 1, vcc
	v_cmp_gt_i64_e32 vcc, v[2:3], v[8:9]
	v_cndmask_b32_e64 v7, 0, 1, vcc
	s_waitcnt lgkmcnt(2)
	v_cmp_gt_i64_e32 vcc, v[2:3], v[10:11]
	v_cndmask_b32_e64 v8, 0, 1, vcc
	v_cmp_gt_i64_e32 vcc, v[2:3], v[12:13]
	v_cndmask_b32_e64 v9, 0, 1, vcc
	;; [unrolled: 5-line block ×4, first 2 shown]
	v_add_co_u32_e32 v4, vcc, v4, v6
	v_addc_co_u32_e32 v5, vcc, 0, v5, vcc
	v_add_co_u32_e32 v4, vcc, v4, v7
	v_addc_co_u32_e32 v5, vcc, 0, v5, vcc
	;; [unrolled: 2-line block ×7, first 2 shown]
	s_addc_u32 s19, s19, 0
	s_add_i32 s21, s21, 64
	v_add_co_u32_e32 v4, vcc, v4, v13
	s_cmp_eq_u64 s[6:7], s[18:19]
	v_addc_co_u32_e32 v5, vcc, 0, v5, vcc
	s_cbranch_scc0 .LBB169_86
; %bb.87:                               ;   in Loop: Header=BB169_84 Depth=1
	s_mov_b64 s[18:19], s[6:7]
.LBB169_88:                             ;   in Loop: Header=BB169_84 Depth=1
	s_andn2_b64 vcc, exec, s[16:17]
	s_cbranch_vccnz .LBB169_83
; %bb.89:                               ;   in Loop: Header=BB169_84 Depth=1
	s_lshl_b32 s18, s18, 3
	s_add_i32 s21, s18, 0
	s_mov_b64 s[18:19], s[12:13]
.LBB169_90:                             ;   Parent Loop BB169_84 Depth=1
                                        ; =>  This Inner Loop Header: Depth=2
	v_mov_b32_e32 v6, s21
	ds_read_b64 v[6:7], v6
	s_add_i32 s21, s21, 8
	s_add_u32 s18, s18, -1
	s_addc_u32 s19, s19, -1
	s_cmp_lg_u64 s[18:19], 0
	s_waitcnt lgkmcnt(0)
	v_cmp_gt_i64_e32 vcc, v[2:3], v[6:7]
	v_cndmask_b32_e64 v6, 0, 1, vcc
	v_add_co_u32_e32 v4, vcc, v4, v6
	v_addc_co_u32_e32 v5, vcc, 0, v5, vcc
	s_cbranch_scc1 .LBB169_90
	s_branch .LBB169_83
.LBB169_91:
	s_endpgm
	.section	.rodata,"a",@progbits
	.p2align	6, 0x0
	.amdhsa_kernel _ZN9rocsparseL26csrgemm_fill_block_per_rowILj1024ELj64ELj16384ELj137ELj64Ell21rocsparse_complex_numIdEEEvT5_PKS3_S5_NS_24const_host_device_scalarIT6_EEPKT4_S5_PKS7_SB_S5_SD_S8_SB_S5_SD_SB_PS3_PS7_21rocsparse_index_base_SG_SG_SG_bbb
		.amdhsa_group_segment_fixed_size 0
		.amdhsa_private_segment_fixed_size 40
		.amdhsa_kernarg_size 172
		.amdhsa_user_sgpr_count 8
		.amdhsa_user_sgpr_private_segment_buffer 1
		.amdhsa_user_sgpr_dispatch_ptr 0
		.amdhsa_user_sgpr_queue_ptr 0
		.amdhsa_user_sgpr_kernarg_segment_ptr 1
		.amdhsa_user_sgpr_dispatch_id 0
		.amdhsa_user_sgpr_flat_scratch_init 1
		.amdhsa_user_sgpr_kernarg_preload_length 0
		.amdhsa_user_sgpr_kernarg_preload_offset 0
		.amdhsa_user_sgpr_private_segment_size 0
		.amdhsa_uses_dynamic_stack 0
		.amdhsa_system_sgpr_private_segment_wavefront_offset 1
		.amdhsa_system_sgpr_workgroup_id_x 1
		.amdhsa_system_sgpr_workgroup_id_y 0
		.amdhsa_system_sgpr_workgroup_id_z 0
		.amdhsa_system_sgpr_workgroup_info 0
		.amdhsa_system_vgpr_workitem_id 0
		.amdhsa_next_free_vgpr 42
		.amdhsa_next_free_sgpr 69
		.amdhsa_accum_offset 44
		.amdhsa_reserve_vcc 1
		.amdhsa_reserve_flat_scratch 1
		.amdhsa_float_round_mode_32 0
		.amdhsa_float_round_mode_16_64 0
		.amdhsa_float_denorm_mode_32 3
		.amdhsa_float_denorm_mode_16_64 3
		.amdhsa_dx10_clamp 1
		.amdhsa_ieee_mode 1
		.amdhsa_fp16_overflow 0
		.amdhsa_tg_split 0
		.amdhsa_exception_fp_ieee_invalid_op 0
		.amdhsa_exception_fp_denorm_src 0
		.amdhsa_exception_fp_ieee_div_zero 0
		.amdhsa_exception_fp_ieee_overflow 0
		.amdhsa_exception_fp_ieee_underflow 0
		.amdhsa_exception_fp_ieee_inexact 0
		.amdhsa_exception_int_div_zero 0
	.end_amdhsa_kernel
	.section	.text._ZN9rocsparseL26csrgemm_fill_block_per_rowILj1024ELj64ELj16384ELj137ELj64Ell21rocsparse_complex_numIdEEEvT5_PKS3_S5_NS_24const_host_device_scalarIT6_EEPKT4_S5_PKS7_SB_S5_SD_S8_SB_S5_SD_SB_PS3_PS7_21rocsparse_index_base_SG_SG_SG_bbb,"axG",@progbits,_ZN9rocsparseL26csrgemm_fill_block_per_rowILj1024ELj64ELj16384ELj137ELj64Ell21rocsparse_complex_numIdEEEvT5_PKS3_S5_NS_24const_host_device_scalarIT6_EEPKT4_S5_PKS7_SB_S5_SD_S8_SB_S5_SD_SB_PS3_PS7_21rocsparse_index_base_SG_SG_SG_bbb,comdat
.Lfunc_end169:
	.size	_ZN9rocsparseL26csrgemm_fill_block_per_rowILj1024ELj64ELj16384ELj137ELj64Ell21rocsparse_complex_numIdEEEvT5_PKS3_S5_NS_24const_host_device_scalarIT6_EEPKT4_S5_PKS7_SB_S5_SD_S8_SB_S5_SD_SB_PS3_PS7_21rocsparse_index_base_SG_SG_SG_bbb, .Lfunc_end169-_ZN9rocsparseL26csrgemm_fill_block_per_rowILj1024ELj64ELj16384ELj137ELj64Ell21rocsparse_complex_numIdEEEvT5_PKS3_S5_NS_24const_host_device_scalarIT6_EEPKT4_S5_PKS7_SB_S5_SD_S8_SB_S5_SD_SB_PS3_PS7_21rocsparse_index_base_SG_SG_SG_bbb
                                        ; -- End function
	.section	.AMDGPU.csdata,"",@progbits
; Kernel info:
; codeLenInByte = 3848
; NumSgprs: 75
; NumVgprs: 42
; NumAgprs: 0
; TotalNumVgprs: 42
; ScratchSize: 40
; MemoryBound: 0
; FloatMode: 240
; IeeeMode: 1
; LDSByteSize: 0 bytes/workgroup (compile time only)
; SGPRBlocks: 9
; VGPRBlocks: 5
; NumSGPRsForWavesPerEU: 75
; NumVGPRsForWavesPerEU: 42
; AccumOffset: 44
; Occupancy: 8
; WaveLimiterHint : 1
; COMPUTE_PGM_RSRC2:SCRATCH_EN: 1
; COMPUTE_PGM_RSRC2:USER_SGPR: 8
; COMPUTE_PGM_RSRC2:TRAP_HANDLER: 0
; COMPUTE_PGM_RSRC2:TGID_X_EN: 1
; COMPUTE_PGM_RSRC2:TGID_Y_EN: 0
; COMPUTE_PGM_RSRC2:TGID_Z_EN: 0
; COMPUTE_PGM_RSRC2:TIDIG_COMP_CNT: 0
; COMPUTE_PGM_RSRC3_GFX90A:ACCUM_OFFSET: 10
; COMPUTE_PGM_RSRC3_GFX90A:TG_SPLIT: 0
	.section	.text._ZN9rocsparseL26csrgemm_fill_block_per_rowILj1024ELj64ELj32768ELj137ELj32Ell21rocsparse_complex_numIdEEEvT5_PKS3_S5_NS_24const_host_device_scalarIT6_EEPKT4_S5_PKS7_SB_S5_SD_S8_SB_S5_SD_SB_PS3_PS7_21rocsparse_index_base_SG_SG_SG_bbb,"axG",@progbits,_ZN9rocsparseL26csrgemm_fill_block_per_rowILj1024ELj64ELj32768ELj137ELj32Ell21rocsparse_complex_numIdEEEvT5_PKS3_S5_NS_24const_host_device_scalarIT6_EEPKT4_S5_PKS7_SB_S5_SD_S8_SB_S5_SD_SB_PS3_PS7_21rocsparse_index_base_SG_SG_SG_bbb,comdat
	.globl	_ZN9rocsparseL26csrgemm_fill_block_per_rowILj1024ELj64ELj32768ELj137ELj32Ell21rocsparse_complex_numIdEEEvT5_PKS3_S5_NS_24const_host_device_scalarIT6_EEPKT4_S5_PKS7_SB_S5_SD_S8_SB_S5_SD_SB_PS3_PS7_21rocsparse_index_base_SG_SG_SG_bbb ; -- Begin function _ZN9rocsparseL26csrgemm_fill_block_per_rowILj1024ELj64ELj32768ELj137ELj32Ell21rocsparse_complex_numIdEEEvT5_PKS3_S5_NS_24const_host_device_scalarIT6_EEPKT4_S5_PKS7_SB_S5_SD_S8_SB_S5_SD_SB_PS3_PS7_21rocsparse_index_base_SG_SG_SG_bbb
	.p2align	8
	.type	_ZN9rocsparseL26csrgemm_fill_block_per_rowILj1024ELj64ELj32768ELj137ELj32Ell21rocsparse_complex_numIdEEEvT5_PKS3_S5_NS_24const_host_device_scalarIT6_EEPKT4_S5_PKS7_SB_S5_SD_S8_SB_S5_SD_SB_PS3_PS7_21rocsparse_index_base_SG_SG_SG_bbb,@function
_ZN9rocsparseL26csrgemm_fill_block_per_rowILj1024ELj64ELj32768ELj137ELj32Ell21rocsparse_complex_numIdEEEvT5_PKS3_S5_NS_24const_host_device_scalarIT6_EEPKT4_S5_PKS7_SB_S5_SD_S8_SB_S5_SD_SB_PS3_PS7_21rocsparse_index_base_SG_SG_SG_bbb: ; @_ZN9rocsparseL26csrgemm_fill_block_per_rowILj1024ELj64ELj32768ELj137ELj32Ell21rocsparse_complex_numIdEEEvT5_PKS3_S5_NS_24const_host_device_scalarIT6_EEPKT4_S5_PKS7_SB_S5_SD_S8_SB_S5_SD_SB_PS3_PS7_21rocsparse_index_base_SG_SG_SG_bbb
; %bb.0:
	s_add_u32 flat_scratch_lo, s6, s9
	s_addc_u32 flat_scratch_hi, s7, 0
	s_load_dwordx4 s[12:15], s[4:5], 0x18
	s_load_dwordx4 s[28:31], s[4:5], 0x58
	s_add_u32 s0, s0, s9
	s_load_dword s9, s[4:5], 0xa8
	s_load_dwordx4 s[44:47], s[4:5], 0x98
	s_addc_u32 s1, s1, 0
	s_waitcnt lgkmcnt(0)
	v_mov_b32_e32 v1, s13
	buffer_store_dword v1, off, s[0:3], 0 offset:20
	s_bitcmp1_b32 s9, 0
	s_cselect_b64 s[36:37], -1, 0
	s_bitcmp1_b32 s9, 16
	v_mov_b32_e32 v1, s12
	s_cselect_b64 s[6:7], -1, 0
	buffer_store_dword v1, off, s[0:3], 0 offset:16
	v_mov_b32_e32 v1, s29
	buffer_store_dword v1, off, s[0:3], 0 offset:28
	v_mov_b32_e32 v1, s28
	s_xor_b64 s[10:11], s[6:7], -1
	buffer_store_dword v1, off, s[0:3], 0 offset:24
	v_pk_mov_b32 v[2:3], 0, 0
	v_cndmask_b32_e64 v1, 0, 1, s[10:11]
	s_bitcmp0_b32 s9, 0
	v_cmp_ne_u32_e64 s[10:11], 1, v1
	v_pk_mov_b32 v[6:7], v[2:3], v[2:3] op_sel:[0,1]
	v_pk_mov_b32 v[8:9], v[2:3], v[2:3] op_sel:[0,1]
	s_cbranch_scc1 .LBB170_3
; %bb.1:
	s_mov_b64 s[16:17], src_private_base
	s_and_b64 s[18:19], s[6:7], exec
	s_cselect_b32 s16, s17, s13
	v_mov_b32_e32 v1, 16
	v_mov_b32_e32 v4, s12
	v_cndmask_b32_e64 v4, v4, v1, s[6:7]
	v_mov_b32_e32 v5, s16
	flat_load_dwordx2 v[6:7], v[4:5]
	s_and_b64 vcc, exec, s[10:11]
	v_pk_mov_b32 v[8:9], s[14:15], s[14:15] op_sel:[0,1]
	s_cbranch_vccnz .LBB170_3
; %bb.2:
	v_pk_mov_b32 v[4:5], s[12:13], s[12:13] op_sel:[0,1]
	flat_load_dwordx2 v[8:9], v[4:5] offset:8
.LBB170_3:
	s_load_dwordx4 s[12:15], s[4:5], 0x88
                                        ; implicit-def: $vgpr42 : SGPR spill to VGPR lane
	s_bitcmp1_b32 s9, 8
	s_cselect_b64 s[34:35], -1, 0
	s_bfe_u32 s9, s9, 0x10008
	s_mov_b64 s[38:39], 0
	s_waitcnt lgkmcnt(0)
	v_writelane_b32 v42, s12, 0
	v_writelane_b32 v42, s13, 1
	;; [unrolled: 1-line block ×4, first 2 shown]
	s_load_dwordx8 s[48:55], s[4:5], 0x68
	s_load_dwordx4 s[20:23], s[4:5], 0x48
	s_load_dwordx4 s[24:27], s[4:5], 0x8
	s_load_dwordx8 s[12:19], s[4:5], 0x28
	s_cmp_eq_u32 s9, 0
	v_pk_mov_b32 v[4:5], v[2:3], v[2:3] op_sel:[0,1]
	s_cbranch_scc1 .LBB170_6
; %bb.4:
	s_mov_b64 s[40:41], src_private_base
	s_and_b64 s[42:43], s[6:7], exec
	s_cselect_b32 s9, s41, s29
	v_mov_b32_e32 v1, 24
	v_mov_b32_e32 v2, s28
	v_cndmask_b32_e64 v2, v2, v1, s[6:7]
	v_mov_b32_e32 v3, s9
	flat_load_dwordx2 v[4:5], v[2:3]
	s_and_b64 vcc, exec, s[10:11]
	v_pk_mov_b32 v[2:3], s[30:31], s[30:31] op_sel:[0,1]
	s_cbranch_vccnz .LBB170_6
; %bb.5:
	v_pk_mov_b32 v[2:3], s[28:29], s[28:29] op_sel:[0,1]
	flat_load_dwordx2 v[2:3], v[2:3] offset:8
.LBB170_6:
	s_load_dwordx2 s[80:81], s[4:5], 0x0
	v_lshlrev_b32_e32 v10, 4, v0
	s_mov_b32 s4, 0
	v_or_b32_e32 v1, 0xfffffc00, v0
	v_add_u32_e32 v30, 0, v10
	v_lshl_add_u32 v27, v0, 3, 0
	s_mov_b32 s5, s4
	s_mov_b32 s6, s4
	;; [unrolled: 1-line block ×3, first 2 shown]
	v_add_u32_e32 v16, 0x40008, v30
	s_waitcnt lgkmcnt(0)
	v_pk_mov_b32 v[10:11], s[80:81], s[80:81] op_sel:[0,1]
	v_pk_mov_b32 v[12:13], s[4:5], s[4:5] op_sel:[0,1]
	;; [unrolled: 1-line block ×3, first 2 shown]
	s_movk_i32 s4, 0x7bff
	v_mov_b32_e32 v17, v27
	v_mov_b32_e32 v18, v1
.LBB170_7:                              ; =>This Inner Loop Header: Depth=1
	v_add_u32_e32 v18, 0x400, v18
	v_cmp_lt_u32_e32 vcc, s4, v18
	ds_write_b64 v17, v[10:11]
	v_add_u32_e32 v19, -8, v16
	v_add_u32_e32 v16, 0x4000, v16
	v_add_u32_e32 v17, 0x2000, v17
	s_or_b64 s[38:39], vcc, s[38:39]
	ds_write2_b64 v19, v[12:13], v[14:15] offset1:1
	s_andn2_b64 exec, exec, s[38:39]
	s_cbranch_execnz .LBB170_7
; %bb.8:
	s_or_b64 exec, exec, s[38:39]
	s_waitcnt lgkmcnt(0)
	s_barrier
	s_load_dwordx2 s[4:5], s[24:25], 0x0
	s_mov_b32 s9, 0
	s_waitcnt lgkmcnt(0)
	s_lshl_b64 s[4:5], s[4:5], 3
	s_add_u32 s6, s26, s4
	s_addc_u32 s7, s27, s5
	s_lshl_b64 s[4:5], s[8:9], 3
	s_add_u32 s4, s6, s4
	s_addc_u32 s5, s7, s5
	s_load_dwordx2 s[56:57], s[4:5], 0x0
	s_and_b64 vcc, exec, s[36:37]
	s_cbranch_vccz .LBB170_28
; %bb.9:
	s_waitcnt lgkmcnt(0)
	s_lshl_b64 s[4:5], s[56:57], 3
	s_add_u32 s4, s12, s4
	s_addc_u32 s5, s13, s5
	s_load_dwordx4 s[24:27], s[4:5], 0x0
	v_lshrrev_b32_e32 v10, 6, v0
	v_subrev_co_u32_e32 v10, vcc, s44, v10
	v_subb_co_u32_e64 v11, s[6:7], 0, 0, vcc
	s_waitcnt lgkmcnt(0)
	s_sub_u32 s4, s26, s44
	v_mov_b32_e32 v12, s25
	v_add_co_u32_e32 v10, vcc, s24, v10
	s_subb_u32 s5, s27, 0
	v_addc_co_u32_e32 v11, vcc, v12, v11, vcc
	v_cmp_gt_i64_e32 vcc, s[4:5], v[10:11]
	s_and_saveexec_b64 s[6:7], vcc
	s_cbranch_execz .LBB170_27
; %bb.10:
	v_and_b32_e32 v12, 63, v0
	v_subrev_co_u32_e32 v31, vcc, s45, v12
	s_mov_b32 s8, 0
	v_subb_co_u32_e64 v32, s[10:11], 0, 0, vcc
	s_mov_b32 s33, s44
	s_mov_b32 s40, s45
	s_mov_b64 s[10:11], 0
	v_mov_b32_e32 v33, s15
	v_mov_b32_e32 v34, s9
	;; [unrolled: 1-line block ×4, first 2 shown]
	s_movk_i32 s15, 0x89
	s_branch .LBB170_12
.LBB170_11:                             ;   in Loop: Header=BB170_12 Depth=1
	s_or_b64 exec, exec, s[8:9]
	v_add_co_u32_e32 v10, vcc, 16, v10
	v_addc_co_u32_e32 v11, vcc, 0, v11, vcc
	v_cmp_le_i64_e32 vcc, s[4:5], v[10:11]
	s_or_b64 s[10:11], vcc, s[10:11]
	s_andn2_b64 exec, exec, s[10:11]
	s_cbranch_execz .LBB170_27
.LBB170_12:                             ; =>This Loop Header: Depth=1
                                        ;     Child Loop BB170_15 Depth 2
                                        ;       Child Loop BB170_17 Depth 3
	v_lshlrev_b64 v[12:13], 3, v[10:11]
	v_add_co_u32_e32 v12, vcc, s14, v12
	v_addc_co_u32_e32 v13, vcc, v33, v13, vcc
	global_load_dwordx2 v[12:13], v[12:13], off
	s_waitcnt vmcnt(0)
	v_subrev_co_u32_e32 v12, vcc, s33, v12
	v_subb_co_u32_e32 v13, vcc, v13, v34, vcc
	v_lshlrev_b64 v[12:13], 3, v[12:13]
	v_add_co_u32_e32 v12, vcc, s18, v12
	v_addc_co_u32_e32 v13, vcc, v35, v13, vcc
	global_load_dwordx4 v[14:17], v[12:13], off
	s_waitcnt vmcnt(0)
	v_subrev_co_u32_e32 v12, vcc, s40, v16
	v_subb_co_u32_e32 v13, vcc, v17, v36, vcc
	v_add_co_u32_e32 v14, vcc, v14, v31
	v_addc_co_u32_e32 v15, vcc, v15, v32, vcc
	v_cmp_lt_i64_e32 vcc, v[14:15], v[12:13]
	s_and_saveexec_b64 s[8:9], vcc
	s_cbranch_execz .LBB170_11
; %bb.13:                               ;   in Loop: Header=BB170_12 Depth=1
	v_lshlrev_b64 v[16:17], 4, v[10:11]
	v_mov_b32_e32 v18, s17
	v_add_co_u32_e32 v16, vcc, s16, v16
	v_addc_co_u32_e32 v17, vcc, v18, v17, vcc
	global_load_dwordx4 v[20:23], v[16:17], off
	s_mov_b64 s[12:13], 0
	s_waitcnt vmcnt(0)
	v_mul_f64 v[16:17], v[22:23], -v[8:9]
	v_mul_f64 v[18:19], v[6:7], v[22:23]
	v_fmac_f64_e32 v[16:17], v[6:7], v[20:21]
	v_fmac_f64_e32 v[18:19], v[8:9], v[20:21]
	s_branch .LBB170_15
.LBB170_14:                             ;   in Loop: Header=BB170_15 Depth=2
	s_or_b64 exec, exec, s[24:25]
	v_add_co_u32_e32 v14, vcc, 64, v14
	v_addc_co_u32_e32 v15, vcc, 0, v15, vcc
	v_cmp_ge_i64_e32 vcc, v[14:15], v[12:13]
	s_or_b64 s[12:13], vcc, s[12:13]
	s_andn2_b64 exec, exec, s[12:13]
	s_cbranch_execz .LBB170_11
.LBB170_15:                             ;   Parent Loop BB170_12 Depth=1
                                        ; =>  This Loop Header: Depth=2
                                        ;       Child Loop BB170_17 Depth 3
	v_lshlrev_b64 v[20:21], 3, v[14:15]
	v_mov_b32_e32 v22, s21
	v_add_co_u32_e32 v20, vcc, s20, v20
	v_addc_co_u32_e32 v21, vcc, v22, v21, vcc
	v_lshlrev_b64 v[22:23], 4, v[14:15]
	v_mov_b32_e32 v24, s23
	v_add_co_u32_e32 v22, vcc, s22, v22
	global_load_dwordx2 v[20:21], v[20:21], off
	v_addc_co_u32_e32 v23, vcc, v24, v23, vcc
	global_load_dwordx4 v[38:41], v[22:23], off
	s_mov_b64 s[24:25], 0
	s_waitcnt vmcnt(1)
	v_subrev_co_u32_e32 v20, vcc, s40, v20
	v_mul_lo_u32 v26, v20, s15
	s_waitcnt vmcnt(0)
	v_mul_f64 v[22:23], v[40:41], -v[18:19]
	v_mul_f64 v[24:25], v[16:17], v[40:41]
	v_subb_co_u32_e32 v21, vcc, v21, v36, vcc
	v_fmac_f64_e32 v[22:23], v[16:17], v[38:39]
	v_fmac_f64_e32 v[24:25], v[18:19], v[38:39]
	v_and_b32_e32 v26, 0x7fff, v26
	s_branch .LBB170_17
.LBB170_16:                             ;   in Loop: Header=BB170_17 Depth=3
	s_or_b64 exec, exec, s[26:27]
	s_xor_b64 s[26:27], s[28:29], -1
	s_and_b64 s[26:27], exec, s[26:27]
	s_or_b64 s[24:25], s[26:27], s[24:25]
	s_andn2_b64 exec, exec, s[24:25]
	s_cbranch_execz .LBB170_14
.LBB170_17:                             ;   Parent Loop BB170_12 Depth=1
                                        ;     Parent Loop BB170_15 Depth=2
                                        ; =>    This Inner Loop Header: Depth=3
	v_lshl_add_u32 v37, v26, 3, 0
	ds_read_b64 v[28:29], v37
                                        ; implicit-def: $sgpr28_sgpr29
	s_waitcnt lgkmcnt(0)
	v_cmp_ne_u64_e32 vcc, v[28:29], v[20:21]
	s_and_saveexec_b64 s[26:27], vcc
	s_xor_b64 s[26:27], exec, s[26:27]
	s_cbranch_execz .LBB170_25
; %bb.18:                               ;   in Loop: Header=BB170_17 Depth=3
	v_cmp_ne_u64_e32 vcc, s[80:81], v[28:29]
                                        ; implicit-def: $sgpr28_sgpr29
	s_and_saveexec_b64 s[30:31], vcc
	s_xor_b64 s[30:31], exec, s[30:31]
; %bb.19:                               ;   in Loop: Header=BB170_17 Depth=3
	v_add_u32_e32 v26, 1, v26
	v_and_b32_e32 v26, 0x7fff, v26
	s_mov_b64 s[28:29], -1
                                        ; implicit-def: $vgpr37
; %bb.20:                               ;   in Loop: Header=BB170_17 Depth=3
	s_andn2_saveexec_b64 s[30:31], s[30:31]
	s_cbranch_execz .LBB170_24
; %bb.21:                               ;   in Loop: Header=BB170_17 Depth=3
	v_pk_mov_b32 v[28:29], s[80:81], s[80:81] op_sel:[0,1]
	ds_cmpst_rtn_b64 v[28:29], v37, v[28:29], v[20:21]
	s_mov_b64 s[38:39], -1
	s_waitcnt lgkmcnt(0)
	v_cmp_eq_u64_e32 vcc, s[80:81], v[28:29]
	s_and_saveexec_b64 s[36:37], vcc
	s_cbranch_execz .LBB170_23
; %bb.22:                               ;   in Loop: Header=BB170_17 Depth=3
	v_lshl_add_u32 v28, v26, 4, 0
	v_add_u32_e32 v28, 0x40000, v28
	ds_add_f64 v28, v[22:23]
	ds_add_f64 v28, v[24:25] offset:8
	s_xor_b64 s[38:39], exec, -1
.LBB170_23:                             ;   in Loop: Header=BB170_17 Depth=3
	s_or_b64 exec, exec, s[36:37]
	s_andn2_b64 s[28:29], s[28:29], exec
	s_and_b64 s[36:37], s[38:39], exec
	s_or_b64 s[28:29], s[28:29], s[36:37]
.LBB170_24:                             ;   in Loop: Header=BB170_17 Depth=3
	s_or_b64 exec, exec, s[30:31]
	s_and_b64 s[28:29], s[28:29], exec
.LBB170_25:                             ;   in Loop: Header=BB170_17 Depth=3
	s_andn2_saveexec_b64 s[26:27], s[26:27]
	s_cbranch_execz .LBB170_16
; %bb.26:                               ;   in Loop: Header=BB170_17 Depth=3
	v_lshl_add_u32 v28, v26, 4, 0
	v_add_u32_e32 v28, 0x40000, v28
	ds_add_f64 v28, v[22:23]
	ds_add_f64 v28, v[24:25] offset:8
	s_andn2_b64 s[28:29], s[28:29], exec
	s_branch .LBB170_16
.LBB170_27:
	s_or_b64 exec, exec, s[6:7]
.LBB170_28:
	s_andn2_b64 vcc, exec, s[34:35]
	s_cbranch_vccnz .LBB170_45
; %bb.29:
	s_waitcnt lgkmcnt(0)
	s_lshl_b64 s[4:5], s[56:57], 3
	s_add_u32 s4, s48, s4
	s_addc_u32 s5, s49, s5
	s_load_dwordx4 s[12:15], s[4:5], 0x0
	s_waitcnt vmcnt(0)
	v_subrev_co_u32_e32 v6, vcc, s47, v0
	v_subb_co_u32_e64 v7, s[6:7], 0, 0, vcc
	s_waitcnt lgkmcnt(0)
	s_sub_u32 s4, s14, s47
	v_mov_b32_e32 v8, s13
	v_add_co_u32_e32 v6, vcc, s12, v6
	s_subb_u32 s5, s15, 0
	v_addc_co_u32_e32 v7, vcc, v8, v7, vcc
	s_mov_b32 s10, 0
	v_cmp_gt_i64_e32 vcc, s[4:5], v[6:7]
	s_and_saveexec_b64 s[6:7], vcc
	s_cbranch_execz .LBB170_44
; %bb.30:
	s_mov_b32 s22, s47
	s_mov_b64 s[8:9], 0
	v_mov_b32_e32 v15, s51
	v_mov_b32_e32 v18, s10
	v_mov_b32_e32 v19, s53
	s_movk_i32 s23, 0x89
	s_branch .LBB170_32
.LBB170_31:                             ;   in Loop: Header=BB170_32 Depth=1
	s_or_b64 exec, exec, s[10:11]
	v_add_co_u32_e32 v6, vcc, 0x400, v6
	v_addc_co_u32_e32 v7, vcc, 0, v7, vcc
	v_cmp_le_i64_e32 vcc, s[4:5], v[6:7]
	s_or_b64 s[8:9], vcc, s[8:9]
	s_andn2_b64 exec, exec, s[8:9]
	s_cbranch_execz .LBB170_44
.LBB170_32:                             ; =>This Loop Header: Depth=1
                                        ;     Child Loop BB170_34 Depth 2
	v_lshlrev_b64 v[8:9], 3, v[6:7]
	v_add_co_u32_e32 v8, vcc, s50, v8
	v_addc_co_u32_e32 v9, vcc, v15, v9, vcc
	v_lshlrev_b64 v[10:11], 4, v[6:7]
	v_add_co_u32_e32 v10, vcc, s52, v10
	global_load_dwordx2 v[8:9], v[8:9], off
	v_addc_co_u32_e32 v11, vcc, v19, v11, vcc
	global_load_dwordx4 v[20:23], v[10:11], off
	s_mov_b64 s[10:11], 0
	s_waitcnt vmcnt(1)
	v_subrev_co_u32_e32 v8, vcc, s22, v8
	v_mul_lo_u32 v14, v8, s23
	s_waitcnt vmcnt(0)
	v_mul_f64 v[10:11], v[22:23], -v[2:3]
	v_mul_f64 v[12:13], v[4:5], v[22:23]
	v_subb_co_u32_e32 v9, vcc, v9, v18, vcc
	v_fmac_f64_e32 v[10:11], v[4:5], v[20:21]
	v_fmac_f64_e32 v[12:13], v[2:3], v[20:21]
	v_and_b32_e32 v14, 0x7fff, v14
	s_branch .LBB170_34
.LBB170_33:                             ;   in Loop: Header=BB170_34 Depth=2
	s_or_b64 exec, exec, s[12:13]
	s_xor_b64 s[12:13], s[14:15], -1
	s_and_b64 s[12:13], exec, s[12:13]
	s_or_b64 s[10:11], s[12:13], s[10:11]
	s_andn2_b64 exec, exec, s[10:11]
	s_cbranch_execz .LBB170_31
.LBB170_34:                             ;   Parent Loop BB170_32 Depth=1
                                        ; =>  This Inner Loop Header: Depth=2
	v_lshl_add_u32 v20, v14, 3, 0
	ds_read_b64 v[16:17], v20
                                        ; implicit-def: $sgpr14_sgpr15
	s_waitcnt lgkmcnt(0)
	v_cmp_ne_u64_e32 vcc, v[16:17], v[8:9]
	s_and_saveexec_b64 s[12:13], vcc
	s_xor_b64 s[12:13], exec, s[12:13]
	s_cbranch_execz .LBB170_42
; %bb.35:                               ;   in Loop: Header=BB170_34 Depth=2
	v_cmp_ne_u64_e32 vcc, s[80:81], v[16:17]
                                        ; implicit-def: $sgpr14_sgpr15
	s_and_saveexec_b64 s[16:17], vcc
	s_xor_b64 s[16:17], exec, s[16:17]
; %bb.36:                               ;   in Loop: Header=BB170_34 Depth=2
	v_add_u32_e32 v14, 1, v14
	v_and_b32_e32 v14, 0x7fff, v14
	s_mov_b64 s[14:15], -1
                                        ; implicit-def: $vgpr20
; %bb.37:                               ;   in Loop: Header=BB170_34 Depth=2
	s_andn2_saveexec_b64 s[16:17], s[16:17]
	s_cbranch_execz .LBB170_41
; %bb.38:                               ;   in Loop: Header=BB170_34 Depth=2
	v_pk_mov_b32 v[16:17], s[80:81], s[80:81] op_sel:[0,1]
	ds_cmpst_rtn_b64 v[16:17], v20, v[16:17], v[8:9]
	s_mov_b64 s[20:21], -1
	s_waitcnt lgkmcnt(0)
	v_cmp_eq_u64_e32 vcc, s[80:81], v[16:17]
	s_and_saveexec_b64 s[18:19], vcc
	s_cbranch_execz .LBB170_40
; %bb.39:                               ;   in Loop: Header=BB170_34 Depth=2
	v_lshl_add_u32 v16, v14, 4, 0
	v_add_u32_e32 v16, 0x40000, v16
	ds_add_f64 v16, v[10:11]
	ds_add_f64 v16, v[12:13] offset:8
	s_xor_b64 s[20:21], exec, -1
.LBB170_40:                             ;   in Loop: Header=BB170_34 Depth=2
	s_or_b64 exec, exec, s[18:19]
	s_andn2_b64 s[14:15], s[14:15], exec
	s_and_b64 s[18:19], s[20:21], exec
	s_or_b64 s[14:15], s[14:15], s[18:19]
.LBB170_41:                             ;   in Loop: Header=BB170_34 Depth=2
	s_or_b64 exec, exec, s[16:17]
	s_and_b64 s[14:15], s[14:15], exec
.LBB170_42:                             ;   in Loop: Header=BB170_34 Depth=2
	s_andn2_saveexec_b64 s[12:13], s[12:13]
	s_cbranch_execz .LBB170_33
; %bb.43:                               ;   in Loop: Header=BB170_34 Depth=2
	v_lshl_add_u32 v16, v14, 4, 0
	v_add_u32_e32 v16, 0x40000, v16
	ds_add_f64 v16, v[10:11]
	ds_add_f64 v16, v[12:13] offset:8
	s_andn2_b64 s[14:15], s[14:15], exec
	s_branch .LBB170_33
.LBB170_44:
	s_or_b64 exec, exec, s[6:7]
.LBB170_45:
	s_waitcnt lgkmcnt(0)
	v_writelane_b32 v42, s56, 4
	v_writelane_b32 v42, s57, 5
	;; [unrolled: 1-line block ×8, first 2 shown]
	s_movk_i32 s33, 0x21f
	v_writelane_b32 v42, s54, 12
	v_cmp_lt_u32_e64 s[34:35], s33, v0
	s_movk_i32 s33, 0x23f
	v_writelane_b32 v42, s55, 13
	v_cmp_lt_u32_e64 s[36:37], s33, v0
	;; [unrolled: 3-line block ×6, first 2 shown]
	s_movk_i32 s33, 0x2df
	v_cmp_lt_u32_e64 s[46:47], s33, v0
	s_movk_i32 s33, 0x2ff
	v_cmp_lt_u32_e64 s[48:49], s33, v0
	;; [unrolled: 2-line block ×7, first 2 shown]
	s_movk_i32 s33, 0x3bf
	s_add_i32 s4, 0, 0xc0000
	v_cmp_lt_u32_e64 s[60:61], s33, v0
	s_movk_i32 s33, 0x3df
	v_writelane_b32 v42, s4, 18
	v_cmp_lt_u32_e64 s[62:63], s33, v0
	s_add_i32 s33, 0, 0xc0008
	v_writelane_b32 v42, s33, 19
	s_add_i32 s33, 0, 0xc0010
	s_waitcnt vmcnt(0)
	v_mbcnt_lo_u32_b32 v2, -1, 0
	v_writelane_b32 v42, s33, 20
	s_add_i32 s33, 0, 0xc0018
	v_mbcnt_hi_u32_b32 v2, -1, v2
	v_writelane_b32 v42, s33, 21
	s_add_i32 s33, 0, 0xc0020
	v_sub_u32_e32 v2, 63, v2
	v_writelane_b32 v42, s33, 22
	s_add_i32 s33, 0, 0xc0028
	v_lshrrev_b64 v[4:5], v2, -1
	v_lshrrev_b32_e32 v2, 2, v0
	v_writelane_b32 v42, s33, 23
	s_add_i32 s33, 0, 0xc0030
	v_and_b32_e32 v2, 0xf8, v2
	v_writelane_b32 v42, s33, 24
	s_add_i32 s33, 0, 0xc0038
	v_add_u32_e32 v12, s4, v2
	s_movk_i32 s4, 0x3ff
	v_writelane_b32 v42, s33, 25
	s_add_i32 s33, 0, 0xc0040
	v_cmp_eq_u32_e32 vcc, s4, v0
	s_movk_i32 s4, 0x5f
	s_movk_i32 s6, 0x7f
	;; [unrolled: 1-line block ×14, first 2 shown]
	v_writelane_b32 v42, s33, 26
	s_add_i32 s33, 0, 0xc0048
	v_mov_b32_e32 v3, 0
	v_cmp_lt_u32_e64 s[4:5], s4, v0
	v_cmp_lt_u32_e64 s[6:7], s6, v0
	;; [unrolled: 1-line block ×14, first 2 shown]
	v_add_u32_e32 v13, 0x40000, v30
	v_pk_mov_b32 v[6:7], 0, 0
	v_writelane_b32 v42, s33, 27
	s_add_i32 s94, 0, 0xc0050
	s_add_i32 s95, 0, 0xc0058
	;; [unrolled: 1-line block ×22, first 2 shown]
	s_movk_i32 s91, 0x7bff
	v_cmp_lt_u32_e64 s[64:65], 31, v0
	v_cmp_lt_u32_e64 s[66:67], 63, v0
	s_mov_b64 s[72:73], 0
	s_barrier
	s_branch .LBB170_47
.LBB170_46:                             ;   in Loop: Header=BB170_47 Depth=1
	s_or_b64 exec, exec, s[68:69]
	v_mov_b32_e32 v2, s90
	s_waitcnt lgkmcnt(0)
	s_barrier
	ds_read_b64 v[8:9], v2
	v_add_u32_e32 v1, 0x400, v1
	v_add_u32_e32 v13, 0x4000, v13
	;; [unrolled: 1-line block ×3, first 2 shown]
	s_waitcnt lgkmcnt(0)
	v_add_co_u32_e64 v6, s[68:69], v8, v6
	v_addc_co_u32_e64 v7, s[68:69], v9, v7, s[68:69]
	v_cmp_lt_u32_e64 s[68:69], s91, v1
	s_or_b64 s[72:73], s[68:69], s[72:73]
	s_andn2_b64 exec, exec, s[72:73]
	s_cbranch_execz .LBB170_113
.LBB170_47:                             ; =>This Inner Loop Header: Depth=1
	ds_read2_b64 v[14:17], v13 offset1:1
	ds_read_b64 v[10:11], v27
	s_waitcnt lgkmcnt(1)
	buffer_store_dword v17, off, s[0:3], 0 offset:12
	buffer_store_dword v16, off, s[0:3], 0 offset:8
	buffer_store_dword v15, off, s[0:3], 0 offset:4
	buffer_store_dword v14, off, s[0:3], 0
	s_waitcnt lgkmcnt(0)
	v_cmp_gt_i64_e64 s[68:69], s[80:81], v[10:11]
	v_and_b32_e32 v9, s68, v4
	s_bcnt1_i32_b64 s84, s[68:69]
	v_and_b32_e32 v8, s69, v5
	v_bcnt_u32_b32 v9, v9, 0
	v_mov_b32_e32 v2, s84
	v_bcnt_u32_b32 v8, v8, v9
	s_barrier
	ds_write_b64 v12, v[2:3]
	s_waitcnt lgkmcnt(0)
	s_barrier
	s_and_saveexec_b64 s[84:85], s[64:65]
	s_cbranch_execnz .LBB170_80
; %bb.48:                               ;   in Loop: Header=BB170_47 Depth=1
	s_or_b64 exec, exec, s[84:85]
	s_and_saveexec_b64 s[84:85], s[66:67]
	s_cbranch_execnz .LBB170_81
.LBB170_49:                             ;   in Loop: Header=BB170_47 Depth=1
	s_or_b64 exec, exec, s[84:85]
	s_and_saveexec_b64 s[84:85], s[4:5]
	s_cbranch_execnz .LBB170_82
.LBB170_50:                             ;   in Loop: Header=BB170_47 Depth=1
	s_or_b64 exec, exec, s[84:85]
	s_and_saveexec_b64 s[84:85], s[6:7]
	s_cbranch_execnz .LBB170_83
.LBB170_51:                             ;   in Loop: Header=BB170_47 Depth=1
	s_or_b64 exec, exec, s[84:85]
	s_and_saveexec_b64 s[84:85], s[8:9]
	s_cbranch_execnz .LBB170_84
.LBB170_52:                             ;   in Loop: Header=BB170_47 Depth=1
	s_or_b64 exec, exec, s[84:85]
	s_and_saveexec_b64 s[84:85], s[10:11]
	s_cbranch_execnz .LBB170_85
.LBB170_53:                             ;   in Loop: Header=BB170_47 Depth=1
	s_or_b64 exec, exec, s[84:85]
	s_and_saveexec_b64 s[84:85], s[12:13]
	s_cbranch_execnz .LBB170_86
.LBB170_54:                             ;   in Loop: Header=BB170_47 Depth=1
	s_or_b64 exec, exec, s[84:85]
	s_and_saveexec_b64 s[84:85], s[14:15]
	s_cbranch_execnz .LBB170_87
.LBB170_55:                             ;   in Loop: Header=BB170_47 Depth=1
	s_or_b64 exec, exec, s[84:85]
	s_and_saveexec_b64 s[84:85], s[16:17]
	s_cbranch_execnz .LBB170_88
.LBB170_56:                             ;   in Loop: Header=BB170_47 Depth=1
	s_or_b64 exec, exec, s[84:85]
	s_and_saveexec_b64 s[84:85], s[18:19]
	s_cbranch_execnz .LBB170_89
.LBB170_57:                             ;   in Loop: Header=BB170_47 Depth=1
	s_or_b64 exec, exec, s[84:85]
	s_and_saveexec_b64 s[84:85], s[20:21]
	s_cbranch_execnz .LBB170_90
.LBB170_58:                             ;   in Loop: Header=BB170_47 Depth=1
	s_or_b64 exec, exec, s[84:85]
	s_and_saveexec_b64 s[84:85], s[22:23]
	s_cbranch_execnz .LBB170_91
.LBB170_59:                             ;   in Loop: Header=BB170_47 Depth=1
	s_or_b64 exec, exec, s[84:85]
	s_and_saveexec_b64 s[84:85], s[24:25]
	s_cbranch_execnz .LBB170_92
.LBB170_60:                             ;   in Loop: Header=BB170_47 Depth=1
	s_or_b64 exec, exec, s[84:85]
	s_and_saveexec_b64 s[84:85], s[26:27]
	s_cbranch_execnz .LBB170_93
.LBB170_61:                             ;   in Loop: Header=BB170_47 Depth=1
	s_or_b64 exec, exec, s[84:85]
	s_and_saveexec_b64 s[84:85], s[28:29]
	s_cbranch_execnz .LBB170_94
.LBB170_62:                             ;   in Loop: Header=BB170_47 Depth=1
	s_or_b64 exec, exec, s[84:85]
	s_and_saveexec_b64 s[84:85], s[30:31]
	s_cbranch_execnz .LBB170_95
.LBB170_63:                             ;   in Loop: Header=BB170_47 Depth=1
	s_or_b64 exec, exec, s[84:85]
	s_and_saveexec_b64 s[84:85], s[34:35]
	s_cbranch_execnz .LBB170_96
.LBB170_64:                             ;   in Loop: Header=BB170_47 Depth=1
	s_or_b64 exec, exec, s[84:85]
	s_and_saveexec_b64 s[84:85], s[36:37]
	s_cbranch_execnz .LBB170_97
.LBB170_65:                             ;   in Loop: Header=BB170_47 Depth=1
	s_or_b64 exec, exec, s[84:85]
	s_and_saveexec_b64 s[84:85], s[38:39]
	s_cbranch_execnz .LBB170_98
.LBB170_66:                             ;   in Loop: Header=BB170_47 Depth=1
	s_or_b64 exec, exec, s[84:85]
	s_and_saveexec_b64 s[84:85], s[40:41]
	s_cbranch_execnz .LBB170_99
.LBB170_67:                             ;   in Loop: Header=BB170_47 Depth=1
	s_or_b64 exec, exec, s[84:85]
	s_and_saveexec_b64 s[84:85], s[42:43]
	s_cbranch_execnz .LBB170_100
.LBB170_68:                             ;   in Loop: Header=BB170_47 Depth=1
	s_or_b64 exec, exec, s[84:85]
	s_and_saveexec_b64 s[84:85], s[44:45]
	s_cbranch_execnz .LBB170_101
.LBB170_69:                             ;   in Loop: Header=BB170_47 Depth=1
	s_or_b64 exec, exec, s[84:85]
	s_and_saveexec_b64 s[84:85], s[46:47]
	s_cbranch_execnz .LBB170_102
.LBB170_70:                             ;   in Loop: Header=BB170_47 Depth=1
	s_or_b64 exec, exec, s[84:85]
	s_and_saveexec_b64 s[84:85], s[48:49]
	s_cbranch_execnz .LBB170_103
.LBB170_71:                             ;   in Loop: Header=BB170_47 Depth=1
	s_or_b64 exec, exec, s[84:85]
	s_and_saveexec_b64 s[84:85], s[50:51]
	s_cbranch_execnz .LBB170_104
.LBB170_72:                             ;   in Loop: Header=BB170_47 Depth=1
	s_or_b64 exec, exec, s[84:85]
	s_and_saveexec_b64 s[84:85], s[52:53]
	s_cbranch_execnz .LBB170_105
.LBB170_73:                             ;   in Loop: Header=BB170_47 Depth=1
	s_or_b64 exec, exec, s[84:85]
	s_and_saveexec_b64 s[84:85], s[54:55]
	s_cbranch_execnz .LBB170_106
.LBB170_74:                             ;   in Loop: Header=BB170_47 Depth=1
	s_or_b64 exec, exec, s[84:85]
	s_and_saveexec_b64 s[84:85], s[56:57]
	s_cbranch_execnz .LBB170_107
.LBB170_75:                             ;   in Loop: Header=BB170_47 Depth=1
	s_or_b64 exec, exec, s[84:85]
	s_and_saveexec_b64 s[84:85], s[58:59]
	s_cbranch_execnz .LBB170_108
.LBB170_76:                             ;   in Loop: Header=BB170_47 Depth=1
	s_or_b64 exec, exec, s[84:85]
	s_and_saveexec_b64 s[84:85], s[60:61]
	s_cbranch_execnz .LBB170_109
.LBB170_77:                             ;   in Loop: Header=BB170_47 Depth=1
	s_or_b64 exec, exec, s[84:85]
	s_and_saveexec_b64 s[84:85], s[62:63]
	s_cbranch_execnz .LBB170_110
.LBB170_78:                             ;   in Loop: Header=BB170_47 Depth=1
	s_or_b64 exec, exec, s[84:85]
	v_ashrrev_i32_e32 v9, 31, v8
	s_and_saveexec_b64 s[84:85], s[68:69]
	s_cbranch_execnz .LBB170_111
.LBB170_79:                             ;   in Loop: Header=BB170_47 Depth=1
	s_or_b64 exec, exec, s[84:85]
	s_and_saveexec_b64 s[68:69], vcc
	s_cbranch_execz .LBB170_46
	s_branch .LBB170_112
.LBB170_80:                             ;   in Loop: Header=BB170_47 Depth=1
	v_readlane_b32 s92, v42, 18
	v_mov_b32_e32 v2, s92
	ds_read_b32 v2, v2
	s_waitcnt lgkmcnt(0)
	v_add_u32_e32 v8, v2, v8
	s_or_b64 exec, exec, s[84:85]
	s_and_saveexec_b64 s[84:85], s[66:67]
	s_cbranch_execz .LBB170_49
.LBB170_81:                             ;   in Loop: Header=BB170_47 Depth=1
	v_readlane_b32 s92, v42, 19
	v_mov_b32_e32 v2, s92
	ds_read_b32 v2, v2
	s_waitcnt lgkmcnt(0)
	v_add_u32_e32 v8, v8, v2
	s_or_b64 exec, exec, s[84:85]
	s_and_saveexec_b64 s[84:85], s[4:5]
	s_cbranch_execz .LBB170_50
.LBB170_82:                             ;   in Loop: Header=BB170_47 Depth=1
	v_readlane_b32 s92, v42, 20
	v_mov_b32_e32 v2, s92
	ds_read_b32 v2, v2
	s_waitcnt lgkmcnt(0)
	v_add_u32_e32 v8, v8, v2
	s_or_b64 exec, exec, s[84:85]
	s_and_saveexec_b64 s[84:85], s[6:7]
	s_cbranch_execz .LBB170_51
.LBB170_83:                             ;   in Loop: Header=BB170_47 Depth=1
	v_readlane_b32 s92, v42, 21
	v_mov_b32_e32 v2, s92
	ds_read_b32 v2, v2
	s_waitcnt lgkmcnt(0)
	v_add_u32_e32 v8, v8, v2
	s_or_b64 exec, exec, s[84:85]
	s_and_saveexec_b64 s[84:85], s[8:9]
	s_cbranch_execz .LBB170_52
.LBB170_84:                             ;   in Loop: Header=BB170_47 Depth=1
	v_readlane_b32 s92, v42, 22
	v_mov_b32_e32 v2, s92
	ds_read_b32 v2, v2
	s_waitcnt lgkmcnt(0)
	v_add_u32_e32 v8, v8, v2
	s_or_b64 exec, exec, s[84:85]
	s_and_saveexec_b64 s[84:85], s[10:11]
	s_cbranch_execz .LBB170_53
.LBB170_85:                             ;   in Loop: Header=BB170_47 Depth=1
	v_readlane_b32 s92, v42, 23
	v_mov_b32_e32 v2, s92
	ds_read_b32 v2, v2
	s_waitcnt lgkmcnt(0)
	v_add_u32_e32 v8, v8, v2
	s_or_b64 exec, exec, s[84:85]
	s_and_saveexec_b64 s[84:85], s[12:13]
	s_cbranch_execz .LBB170_54
.LBB170_86:                             ;   in Loop: Header=BB170_47 Depth=1
	v_readlane_b32 s92, v42, 24
	v_mov_b32_e32 v2, s92
	ds_read_b32 v2, v2
	s_waitcnt lgkmcnt(0)
	v_add_u32_e32 v8, v8, v2
	s_or_b64 exec, exec, s[84:85]
	s_and_saveexec_b64 s[84:85], s[14:15]
	s_cbranch_execz .LBB170_55
.LBB170_87:                             ;   in Loop: Header=BB170_47 Depth=1
	v_readlane_b32 s92, v42, 25
	v_mov_b32_e32 v2, s92
	ds_read_b32 v2, v2
	s_waitcnt lgkmcnt(0)
	v_add_u32_e32 v8, v8, v2
	s_or_b64 exec, exec, s[84:85]
	s_and_saveexec_b64 s[84:85], s[16:17]
	s_cbranch_execz .LBB170_56
.LBB170_88:                             ;   in Loop: Header=BB170_47 Depth=1
	v_readlane_b32 s92, v42, 26
	v_mov_b32_e32 v2, s92
	ds_read_b32 v2, v2
	s_waitcnt lgkmcnt(0)
	v_add_u32_e32 v8, v8, v2
	s_or_b64 exec, exec, s[84:85]
	s_and_saveexec_b64 s[84:85], s[18:19]
	s_cbranch_execz .LBB170_57
.LBB170_89:                             ;   in Loop: Header=BB170_47 Depth=1
	v_readlane_b32 s92, v42, 27
	v_mov_b32_e32 v2, s92
	ds_read_b32 v2, v2
	s_waitcnt lgkmcnt(0)
	v_add_u32_e32 v8, v8, v2
	s_or_b64 exec, exec, s[84:85]
	s_and_saveexec_b64 s[84:85], s[20:21]
	s_cbranch_execz .LBB170_58
.LBB170_90:                             ;   in Loop: Header=BB170_47 Depth=1
	v_mov_b32_e32 v2, s94
	ds_read_b32 v2, v2
	s_waitcnt lgkmcnt(0)
	v_add_u32_e32 v8, v8, v2
	s_or_b64 exec, exec, s[84:85]
	s_and_saveexec_b64 s[84:85], s[22:23]
	s_cbranch_execz .LBB170_59
.LBB170_91:                             ;   in Loop: Header=BB170_47 Depth=1
	v_mov_b32_e32 v2, s95
	ds_read_b32 v2, v2
	s_waitcnt lgkmcnt(0)
	v_add_u32_e32 v8, v8, v2
	s_or_b64 exec, exec, s[84:85]
	s_and_saveexec_b64 s[84:85], s[24:25]
	s_cbranch_execz .LBB170_60
.LBB170_92:                             ;   in Loop: Header=BB170_47 Depth=1
	v_mov_b32_e32 v2, s96
	ds_read_b32 v2, v2
	s_waitcnt lgkmcnt(0)
	v_add_u32_e32 v8, v8, v2
	s_or_b64 exec, exec, s[84:85]
	s_and_saveexec_b64 s[84:85], s[26:27]
	s_cbranch_execz .LBB170_61
.LBB170_93:                             ;   in Loop: Header=BB170_47 Depth=1
	v_mov_b32_e32 v2, s97
	ds_read_b32 v2, v2
	s_waitcnt lgkmcnt(0)
	v_add_u32_e32 v8, v8, v2
	s_or_b64 exec, exec, s[84:85]
	s_and_saveexec_b64 s[84:85], s[28:29]
	s_cbranch_execz .LBB170_62
.LBB170_94:                             ;   in Loop: Header=BB170_47 Depth=1
	v_mov_b32_e32 v2, s98
	ds_read_b32 v2, v2
	s_waitcnt lgkmcnt(0)
	v_add_u32_e32 v8, v8, v2
	s_or_b64 exec, exec, s[84:85]
	s_and_saveexec_b64 s[84:85], s[30:31]
	s_cbranch_execz .LBB170_63
.LBB170_95:                             ;   in Loop: Header=BB170_47 Depth=1
	v_mov_b32_e32 v2, s99
	ds_read_b32 v2, v2
	s_waitcnt lgkmcnt(0)
	v_add_u32_e32 v8, v8, v2
	s_or_b64 exec, exec, s[84:85]
	s_and_saveexec_b64 s[84:85], s[34:35]
	s_cbranch_execz .LBB170_64
.LBB170_96:                             ;   in Loop: Header=BB170_47 Depth=1
	v_mov_b32_e32 v2, s82
	ds_read_b32 v2, v2
	s_waitcnt lgkmcnt(0)
	v_add_u32_e32 v8, v8, v2
	s_or_b64 exec, exec, s[84:85]
	s_and_saveexec_b64 s[84:85], s[36:37]
	s_cbranch_execz .LBB170_65
.LBB170_97:                             ;   in Loop: Header=BB170_47 Depth=1
	v_mov_b32_e32 v2, s83
	ds_read_b32 v2, v2
	s_waitcnt lgkmcnt(0)
	v_add_u32_e32 v8, v8, v2
	s_or_b64 exec, exec, s[84:85]
	s_and_saveexec_b64 s[84:85], s[38:39]
	s_cbranch_execz .LBB170_66
.LBB170_98:                             ;   in Loop: Header=BB170_47 Depth=1
	v_mov_b32_e32 v2, s74
	ds_read_b32 v2, v2
	s_waitcnt lgkmcnt(0)
	v_add_u32_e32 v8, v8, v2
	s_or_b64 exec, exec, s[84:85]
	s_and_saveexec_b64 s[84:85], s[40:41]
	s_cbranch_execz .LBB170_67
.LBB170_99:                             ;   in Loop: Header=BB170_47 Depth=1
	v_mov_b32_e32 v2, s70
	ds_read_b32 v2, v2
	s_waitcnt lgkmcnt(0)
	v_add_u32_e32 v8, v8, v2
	s_or_b64 exec, exec, s[84:85]
	s_and_saveexec_b64 s[84:85], s[42:43]
	s_cbranch_execz .LBB170_68
.LBB170_100:                            ;   in Loop: Header=BB170_47 Depth=1
	v_mov_b32_e32 v2, s71
	ds_read_b32 v2, v2
	s_waitcnt lgkmcnt(0)
	v_add_u32_e32 v8, v8, v2
	s_or_b64 exec, exec, s[84:85]
	s_and_saveexec_b64 s[84:85], s[44:45]
	s_cbranch_execz .LBB170_69
.LBB170_101:                            ;   in Loop: Header=BB170_47 Depth=1
	v_mov_b32_e32 v2, s76
	ds_read_b32 v2, v2
	s_waitcnt lgkmcnt(0)
	v_add_u32_e32 v8, v8, v2
	s_or_b64 exec, exec, s[84:85]
	s_and_saveexec_b64 s[84:85], s[46:47]
	s_cbranch_execz .LBB170_70
.LBB170_102:                            ;   in Loop: Header=BB170_47 Depth=1
	v_mov_b32_e32 v2, s77
	ds_read_b32 v2, v2
	s_waitcnt lgkmcnt(0)
	v_add_u32_e32 v8, v8, v2
	s_or_b64 exec, exec, s[84:85]
	s_and_saveexec_b64 s[84:85], s[48:49]
	s_cbranch_execz .LBB170_71
.LBB170_103:                            ;   in Loop: Header=BB170_47 Depth=1
	v_mov_b32_e32 v2, s78
	ds_read_b32 v2, v2
	s_waitcnt lgkmcnt(0)
	v_add_u32_e32 v8, v8, v2
	s_or_b64 exec, exec, s[84:85]
	s_and_saveexec_b64 s[84:85], s[50:51]
	s_cbranch_execz .LBB170_72
.LBB170_104:                            ;   in Loop: Header=BB170_47 Depth=1
	v_mov_b32_e32 v2, s79
	ds_read_b32 v2, v2
	s_waitcnt lgkmcnt(0)
	v_add_u32_e32 v8, v8, v2
	s_or_b64 exec, exec, s[84:85]
	s_and_saveexec_b64 s[84:85], s[52:53]
	s_cbranch_execz .LBB170_73
.LBB170_105:                            ;   in Loop: Header=BB170_47 Depth=1
	v_mov_b32_e32 v2, s33
	ds_read_b32 v2, v2
	s_waitcnt lgkmcnt(0)
	v_add_u32_e32 v8, v8, v2
	s_or_b64 exec, exec, s[84:85]
	s_and_saveexec_b64 s[84:85], s[54:55]
	s_cbranch_execz .LBB170_74
.LBB170_106:                            ;   in Loop: Header=BB170_47 Depth=1
	v_mov_b32_e32 v2, s75
	ds_read_b32 v2, v2
	s_waitcnt lgkmcnt(0)
	v_add_u32_e32 v8, v8, v2
	s_or_b64 exec, exec, s[84:85]
	s_and_saveexec_b64 s[84:85], s[56:57]
	s_cbranch_execz .LBB170_75
.LBB170_107:                            ;   in Loop: Header=BB170_47 Depth=1
	v_mov_b32_e32 v2, s86
	ds_read_b32 v2, v2
	s_waitcnt lgkmcnt(0)
	v_add_u32_e32 v8, v8, v2
	s_or_b64 exec, exec, s[84:85]
	s_and_saveexec_b64 s[84:85], s[58:59]
	s_cbranch_execz .LBB170_76
.LBB170_108:                            ;   in Loop: Header=BB170_47 Depth=1
	v_mov_b32_e32 v2, s87
	ds_read_b32 v2, v2
	s_waitcnt lgkmcnt(0)
	v_add_u32_e32 v8, v8, v2
	s_or_b64 exec, exec, s[84:85]
	s_and_saveexec_b64 s[84:85], s[60:61]
	s_cbranch_execz .LBB170_77
.LBB170_109:                            ;   in Loop: Header=BB170_47 Depth=1
	v_mov_b32_e32 v2, s88
	ds_read_b32 v2, v2
	s_waitcnt lgkmcnt(0)
	v_add_u32_e32 v8, v8, v2
	s_or_b64 exec, exec, s[84:85]
	s_and_saveexec_b64 s[84:85], s[62:63]
	s_cbranch_execz .LBB170_78
.LBB170_110:                            ;   in Loop: Header=BB170_47 Depth=1
	v_mov_b32_e32 v2, s89
	ds_read_b32 v2, v2
	s_waitcnt lgkmcnt(0)
	v_add_u32_e32 v8, v8, v2
	s_or_b64 exec, exec, s[84:85]
	v_ashrrev_i32_e32 v9, 31, v8
	s_and_saveexec_b64 s[84:85], s[68:69]
	s_cbranch_execz .LBB170_79
.LBB170_111:                            ;   in Loop: Header=BB170_47 Depth=1
	buffer_load_dword v14, off, s[0:3], 0
	buffer_load_dword v15, off, s[0:3], 0 offset:4
	buffer_load_dword v16, off, s[0:3], 0 offset:8
	;; [unrolled: 1-line block ×3, first 2 shown]
	v_add3_u32 v2, v6, -1, v8
	v_lshl_add_u32 v18, v2, 3, 0
	v_lshl_add_u32 v2, v2, 4, 0
	v_add_u32_e32 v2, 0x40000, v2
	ds_write_b64 v18, v[10:11]
	s_waitcnt vmcnt(0)
	ds_write2_b64 v2, v[14:15], v[16:17] offset1:1
	s_or_b64 exec, exec, s[84:85]
	s_and_saveexec_b64 s[68:69], vcc
	s_cbranch_execz .LBB170_46
.LBB170_112:                            ;   in Loop: Header=BB170_47 Depth=1
	v_mov_b32_e32 v2, s90
	ds_write_b64 v2, v[8:9]
	s_branch .LBB170_46
.LBB170_113:
	s_or_b64 exec, exec, s[72:73]
	v_readlane_b32 s4, v42, 4
	v_readlane_b32 s8, v42, 6
	;; [unrolled: 1-line block ×7, first 2 shown]
	s_lshl_b64 s[4:5], s[4:5], 3
	s_mov_b64 s[10:11], s[14:15]
	s_add_u32 s4, s10, s4
	s_addc_u32 s5, s11, s5
	s_load_dwordx4 s[4:7], s[4:5], 0x0
	v_readlane_b32 s9, v42, 7
	v_mov_b32_e32 v1, 0
	v_readlane_b32 s12, v42, 10
	v_readlane_b32 s13, v42, 11
	s_waitcnt lgkmcnt(0)
	s_sub_u32 s8, s6, s4
	s_subb_u32 s9, s7, s5
	v_cmp_gt_i64_e32 vcc, s[8:9], v[0:1]
	s_and_saveexec_b64 s[10:11], vcc
	v_readlane_b32 s20, v42, 14
	v_readlane_b32 s22, v42, 16
	;; [unrolled: 1-line block ×4, first 2 shown]
	s_cbranch_execz .LBB170_123
; %bb.114:
	s_sub_u32 s10, s4, s22
	s_subb_u32 s11, s5, 0
	s_and_b32 s12, s8, 7
	s_sub_u32 s4, s4, s6
	s_mov_b32 s20, 0
	s_subb_u32 s5, s5, s7
	s_mov_b32 s13, s20
	s_and_b32 s6, s8, -8
	v_cmp_lt_u64_e64 s[4:5], s[4:5], -7
	s_cmp_lg_u64 s[12:13], 0
	v_cndmask_b32_e64 v2, 0, 1, s[4:5]
	s_mov_b32 s7, s9
	s_mov_b64 s[14:15], 0
	s_cselect_b64 s[16:17], -1, 0
	v_cmp_ne_u32_e64 s[4:5], 1, v2
	s_branch .LBB170_116
.LBB170_115:                            ;   in Loop: Header=BB170_116 Depth=1
	v_lshl_add_u32 v6, v0, 4, 0
	v_add_u32_e32 v8, 0x40000, v6
	v_mov_b32_e32 v6, s20
	s_waitcnt lgkmcnt(0)
	v_add_co_u32_e32 v2, vcc, s22, v2
	v_readlane_b32 s24, v42, 0
	v_addc_co_u32_e32 v3, vcc, v3, v6, vcc
	v_lshlrev_b64 v[6:7], 3, v[4:5]
	v_readlane_b32 s25, v42, 1
	v_mov_b32_e32 v9, s25
	v_add_co_u32_e32 v6, vcc, s24, v6
	v_addc_co_u32_e32 v7, vcc, v9, v7, vcc
	v_readlane_b32 s26, v42, 2
	v_readlane_b32 s27, v42, 3
	global_store_dwordx2 v[6:7], v[2:3], off
	v_lshlrev_b64 v[2:3], 4, v[4:5]
	v_mov_b32_e32 v4, s27
	v_add_co_u32_e32 v6, vcc, s26, v2
	v_addc_co_u32_e32 v7, vcc, v4, v3, vcc
	ds_read2_b64 v[2:5], v8 offset1:1
	v_add_co_u32_e32 v0, vcc, 0x400, v0
	v_addc_co_u32_e32 v1, vcc, 0, v1, vcc
	v_cmp_le_i64_e32 vcc, s[8:9], v[0:1]
	s_or_b64 s[14:15], vcc, s[14:15]
	s_waitcnt lgkmcnt(0)
	global_store_dwordx4 v[6:7], v[2:5], off
	s_andn2_b64 exec, exec, s[14:15]
	s_cbranch_execz .LBB170_123
.LBB170_116:                            ; =>This Loop Header: Depth=1
                                        ;     Child Loop BB170_118 Depth 2
                                        ;     Child Loop BB170_122 Depth 2
	v_lshl_add_u32 v2, v0, 3, 0
	ds_read_b64 v[2:3], v2
	s_and_b64 vcc, exec, s[4:5]
	v_pk_mov_b32 v[4:5], s[10:11], s[10:11] op_sel:[0,1]
	s_mov_b64 s[18:19], 0
	s_cbranch_vccnz .LBB170_120
; %bb.117:                              ;   in Loop: Header=BB170_116 Depth=1
	s_mov_b32 s21, 0
	v_pk_mov_b32 v[4:5], s[10:11], s[10:11] op_sel:[0,1]
.LBB170_118:                            ;   Parent Loop BB170_116 Depth=1
                                        ; =>  This Inner Loop Header: Depth=2
	v_mov_b32_e32 v18, s21
	ds_read2_b64 v[6:9], v18 offset1:1
	ds_read2_b64 v[10:13], v18 offset0:2 offset1:3
	ds_read2_b64 v[14:17], v18 offset0:4 offset1:5
	;; [unrolled: 1-line block ×3, first 2 shown]
	s_add_u32 s18, s18, 8
	s_waitcnt lgkmcnt(3)
	v_cmp_gt_i64_e32 vcc, v[2:3], v[6:7]
	v_cndmask_b32_e64 v6, 0, 1, vcc
	v_cmp_gt_i64_e32 vcc, v[2:3], v[8:9]
	v_cndmask_b32_e64 v7, 0, 1, vcc
	s_waitcnt lgkmcnt(2)
	v_cmp_gt_i64_e32 vcc, v[2:3], v[10:11]
	v_cndmask_b32_e64 v8, 0, 1, vcc
	v_cmp_gt_i64_e32 vcc, v[2:3], v[12:13]
	v_cndmask_b32_e64 v9, 0, 1, vcc
	;; [unrolled: 5-line block ×4, first 2 shown]
	v_add_co_u32_e32 v4, vcc, v4, v6
	v_addc_co_u32_e32 v5, vcc, 0, v5, vcc
	v_add_co_u32_e32 v4, vcc, v4, v7
	v_addc_co_u32_e32 v5, vcc, 0, v5, vcc
	;; [unrolled: 2-line block ×7, first 2 shown]
	s_addc_u32 s19, s19, 0
	s_add_i32 s21, s21, 64
	v_add_co_u32_e32 v4, vcc, v4, v13
	s_cmp_eq_u64 s[6:7], s[18:19]
	v_addc_co_u32_e32 v5, vcc, 0, v5, vcc
	s_cbranch_scc0 .LBB170_118
; %bb.119:                              ;   in Loop: Header=BB170_116 Depth=1
	s_mov_b64 s[18:19], s[6:7]
.LBB170_120:                            ;   in Loop: Header=BB170_116 Depth=1
	s_andn2_b64 vcc, exec, s[16:17]
	s_cbranch_vccnz .LBB170_115
; %bb.121:                              ;   in Loop: Header=BB170_116 Depth=1
	s_lshl_b32 s18, s18, 3
	s_add_i32 s21, s18, 0
	s_mov_b64 s[18:19], s[12:13]
.LBB170_122:                            ;   Parent Loop BB170_116 Depth=1
                                        ; =>  This Inner Loop Header: Depth=2
	v_mov_b32_e32 v6, s21
	ds_read_b64 v[6:7], v6
	s_add_i32 s21, s21, 8
	s_add_u32 s18, s18, -1
	s_addc_u32 s19, s19, -1
	s_cmp_lg_u64 s[18:19], 0
	s_waitcnt lgkmcnt(0)
	v_cmp_gt_i64_e32 vcc, v[2:3], v[6:7]
	v_cndmask_b32_e64 v6, 0, 1, vcc
	v_add_co_u32_e32 v4, vcc, v4, v6
	v_addc_co_u32_e32 v5, vcc, 0, v5, vcc
	s_cbranch_scc1 .LBB170_122
	s_branch .LBB170_115
.LBB170_123:
	s_endpgm
	.section	.rodata,"a",@progbits
	.p2align	6, 0x0
	.amdhsa_kernel _ZN9rocsparseL26csrgemm_fill_block_per_rowILj1024ELj64ELj32768ELj137ELj32Ell21rocsparse_complex_numIdEEEvT5_PKS3_S5_NS_24const_host_device_scalarIT6_EEPKT4_S5_PKS7_SB_S5_SD_S8_SB_S5_SD_SB_PS3_PS7_21rocsparse_index_base_SG_SG_SG_bbb
		.amdhsa_group_segment_fixed_size 0
		.amdhsa_private_segment_fixed_size 40
		.amdhsa_kernarg_size 172
		.amdhsa_user_sgpr_count 8
		.amdhsa_user_sgpr_private_segment_buffer 1
		.amdhsa_user_sgpr_dispatch_ptr 0
		.amdhsa_user_sgpr_queue_ptr 0
		.amdhsa_user_sgpr_kernarg_segment_ptr 1
		.amdhsa_user_sgpr_dispatch_id 0
		.amdhsa_user_sgpr_flat_scratch_init 1
		.amdhsa_user_sgpr_kernarg_preload_length 0
		.amdhsa_user_sgpr_kernarg_preload_offset 0
		.amdhsa_user_sgpr_private_segment_size 0
		.amdhsa_uses_dynamic_stack 0
		.amdhsa_system_sgpr_private_segment_wavefront_offset 1
		.amdhsa_system_sgpr_workgroup_id_x 1
		.amdhsa_system_sgpr_workgroup_id_y 0
		.amdhsa_system_sgpr_workgroup_id_z 0
		.amdhsa_system_sgpr_workgroup_info 0
		.amdhsa_system_vgpr_workitem_id 0
		.amdhsa_next_free_vgpr 43
		.amdhsa_next_free_sgpr 100
		.amdhsa_accum_offset 44
		.amdhsa_reserve_vcc 1
		.amdhsa_reserve_flat_scratch 1
		.amdhsa_float_round_mode_32 0
		.amdhsa_float_round_mode_16_64 0
		.amdhsa_float_denorm_mode_32 3
		.amdhsa_float_denorm_mode_16_64 3
		.amdhsa_dx10_clamp 1
		.amdhsa_ieee_mode 1
		.amdhsa_fp16_overflow 0
		.amdhsa_tg_split 0
		.amdhsa_exception_fp_ieee_invalid_op 0
		.amdhsa_exception_fp_denorm_src 0
		.amdhsa_exception_fp_ieee_div_zero 0
		.amdhsa_exception_fp_ieee_overflow 0
		.amdhsa_exception_fp_ieee_underflow 0
		.amdhsa_exception_fp_ieee_inexact 0
		.amdhsa_exception_int_div_zero 0
	.end_amdhsa_kernel
	.section	.text._ZN9rocsparseL26csrgemm_fill_block_per_rowILj1024ELj64ELj32768ELj137ELj32Ell21rocsparse_complex_numIdEEEvT5_PKS3_S5_NS_24const_host_device_scalarIT6_EEPKT4_S5_PKS7_SB_S5_SD_S8_SB_S5_SD_SB_PS3_PS7_21rocsparse_index_base_SG_SG_SG_bbb,"axG",@progbits,_ZN9rocsparseL26csrgemm_fill_block_per_rowILj1024ELj64ELj32768ELj137ELj32Ell21rocsparse_complex_numIdEEEvT5_PKS3_S5_NS_24const_host_device_scalarIT6_EEPKT4_S5_PKS7_SB_S5_SD_S8_SB_S5_SD_SB_PS3_PS7_21rocsparse_index_base_SG_SG_SG_bbb,comdat
.Lfunc_end170:
	.size	_ZN9rocsparseL26csrgemm_fill_block_per_rowILj1024ELj64ELj32768ELj137ELj32Ell21rocsparse_complex_numIdEEEvT5_PKS3_S5_NS_24const_host_device_scalarIT6_EEPKT4_S5_PKS7_SB_S5_SD_S8_SB_S5_SD_SB_PS3_PS7_21rocsparse_index_base_SG_SG_SG_bbb, .Lfunc_end170-_ZN9rocsparseL26csrgemm_fill_block_per_rowILj1024ELj64ELj32768ELj137ELj32Ell21rocsparse_complex_numIdEEEvT5_PKS3_S5_NS_24const_host_device_scalarIT6_EEPKT4_S5_PKS7_SB_S5_SD_S8_SB_S5_SD_SB_PS3_PS7_21rocsparse_index_base_SG_SG_SG_bbb
                                        ; -- End function
	.section	.AMDGPU.csdata,"",@progbits
; Kernel info:
; codeLenInByte = 5332
; NumSgprs: 106
; NumVgprs: 43
; NumAgprs: 0
; TotalNumVgprs: 43
; ScratchSize: 40
; MemoryBound: 0
; FloatMode: 240
; IeeeMode: 1
; LDSByteSize: 0 bytes/workgroup (compile time only)
; SGPRBlocks: 13
; VGPRBlocks: 5
; NumSGPRsForWavesPerEU: 106
; NumVGPRsForWavesPerEU: 43
; AccumOffset: 44
; Occupancy: 7
; WaveLimiterHint : 1
; COMPUTE_PGM_RSRC2:SCRATCH_EN: 1
; COMPUTE_PGM_RSRC2:USER_SGPR: 8
; COMPUTE_PGM_RSRC2:TRAP_HANDLER: 0
; COMPUTE_PGM_RSRC2:TGID_X_EN: 1
; COMPUTE_PGM_RSRC2:TGID_Y_EN: 0
; COMPUTE_PGM_RSRC2:TGID_Z_EN: 0
; COMPUTE_PGM_RSRC2:TIDIG_COMP_CNT: 0
; COMPUTE_PGM_RSRC3_GFX90A:ACCUM_OFFSET: 10
; COMPUTE_PGM_RSRC3_GFX90A:TG_SPLIT: 0
	.section	.text._ZN9rocsparseL26csrgemm_fill_block_per_rowILj1024ELj64ELj32768ELj137ELj64Ell21rocsparse_complex_numIdEEEvT5_PKS3_S5_NS_24const_host_device_scalarIT6_EEPKT4_S5_PKS7_SB_S5_SD_S8_SB_S5_SD_SB_PS3_PS7_21rocsparse_index_base_SG_SG_SG_bbb,"axG",@progbits,_ZN9rocsparseL26csrgemm_fill_block_per_rowILj1024ELj64ELj32768ELj137ELj64Ell21rocsparse_complex_numIdEEEvT5_PKS3_S5_NS_24const_host_device_scalarIT6_EEPKT4_S5_PKS7_SB_S5_SD_S8_SB_S5_SD_SB_PS3_PS7_21rocsparse_index_base_SG_SG_SG_bbb,comdat
	.globl	_ZN9rocsparseL26csrgemm_fill_block_per_rowILj1024ELj64ELj32768ELj137ELj64Ell21rocsparse_complex_numIdEEEvT5_PKS3_S5_NS_24const_host_device_scalarIT6_EEPKT4_S5_PKS7_SB_S5_SD_S8_SB_S5_SD_SB_PS3_PS7_21rocsparse_index_base_SG_SG_SG_bbb ; -- Begin function _ZN9rocsparseL26csrgemm_fill_block_per_rowILj1024ELj64ELj32768ELj137ELj64Ell21rocsparse_complex_numIdEEEvT5_PKS3_S5_NS_24const_host_device_scalarIT6_EEPKT4_S5_PKS7_SB_S5_SD_S8_SB_S5_SD_SB_PS3_PS7_21rocsparse_index_base_SG_SG_SG_bbb
	.p2align	8
	.type	_ZN9rocsparseL26csrgemm_fill_block_per_rowILj1024ELj64ELj32768ELj137ELj64Ell21rocsparse_complex_numIdEEEvT5_PKS3_S5_NS_24const_host_device_scalarIT6_EEPKT4_S5_PKS7_SB_S5_SD_S8_SB_S5_SD_SB_PS3_PS7_21rocsparse_index_base_SG_SG_SG_bbb,@function
_ZN9rocsparseL26csrgemm_fill_block_per_rowILj1024ELj64ELj32768ELj137ELj64Ell21rocsparse_complex_numIdEEEvT5_PKS3_S5_NS_24const_host_device_scalarIT6_EEPKT4_S5_PKS7_SB_S5_SD_S8_SB_S5_SD_SB_PS3_PS7_21rocsparse_index_base_SG_SG_SG_bbb: ; @_ZN9rocsparseL26csrgemm_fill_block_per_rowILj1024ELj64ELj32768ELj137ELj64Ell21rocsparse_complex_numIdEEEvT5_PKS3_S5_NS_24const_host_device_scalarIT6_EEPKT4_S5_PKS7_SB_S5_SD_S8_SB_S5_SD_SB_PS3_PS7_21rocsparse_index_base_SG_SG_SG_bbb
; %bb.0:
	s_add_u32 flat_scratch_lo, s6, s9
	s_addc_u32 flat_scratch_hi, s7, 0
	s_load_dwordx4 s[12:15], s[4:5], 0x18
	s_load_dwordx4 s[28:31], s[4:5], 0x58
	s_add_u32 s0, s0, s9
	s_load_dword s9, s[4:5], 0xa8
	s_load_dwordx4 s[44:47], s[4:5], 0x98
	s_addc_u32 s1, s1, 0
	s_waitcnt lgkmcnt(0)
	v_mov_b32_e32 v1, s13
	buffer_store_dword v1, off, s[0:3], 0 offset:20
	s_bitcmp1_b32 s9, 0
	s_cselect_b64 s[56:57], -1, 0
	s_bitcmp1_b32 s9, 16
	v_mov_b32_e32 v1, s12
	s_cselect_b64 s[6:7], -1, 0
	buffer_store_dword v1, off, s[0:3], 0 offset:16
	v_mov_b32_e32 v1, s29
	buffer_store_dword v1, off, s[0:3], 0 offset:28
	v_mov_b32_e32 v1, s28
	s_xor_b64 s[10:11], s[6:7], -1
	buffer_store_dword v1, off, s[0:3], 0 offset:24
	v_pk_mov_b32 v[2:3], 0, 0
	v_cndmask_b32_e64 v1, 0, 1, s[10:11]
	s_bitcmp0_b32 s9, 0
	v_cmp_ne_u32_e64 s[10:11], 1, v1
	v_pk_mov_b32 v[6:7], v[2:3], v[2:3] op_sel:[0,1]
	v_pk_mov_b32 v[8:9], v[2:3], v[2:3] op_sel:[0,1]
	s_cbranch_scc1 .LBB171_3
; %bb.1:
	s_mov_b64 s[16:17], src_private_base
	s_and_b64 s[18:19], s[6:7], exec
	s_cselect_b32 s16, s17, s13
	v_mov_b32_e32 v1, 16
	v_mov_b32_e32 v4, s12
	v_cndmask_b32_e64 v4, v4, v1, s[6:7]
	v_mov_b32_e32 v5, s16
	flat_load_dwordx2 v[6:7], v[4:5]
	s_and_b64 vcc, exec, s[10:11]
	v_pk_mov_b32 v[8:9], s[14:15], s[14:15] op_sel:[0,1]
	s_cbranch_vccnz .LBB171_3
; %bb.2:
	v_pk_mov_b32 v[4:5], s[12:13], s[12:13] op_sel:[0,1]
	flat_load_dwordx2 v[8:9], v[4:5] offset:8
.LBB171_3:
	s_load_dwordx4 s[48:51], s[4:5], 0x88
	s_load_dwordx8 s[36:43], s[4:5], 0x68
	s_load_dwordx4 s[20:23], s[4:5], 0x48
	s_load_dwordx4 s[24:27], s[4:5], 0x8
	s_load_dwordx8 s[12:19], s[4:5], 0x28
	s_bitcmp1_b32 s9, 8
	s_cselect_b64 s[34:35], -1, 0
	s_bfe_u32 s9, s9, 0x10008
	s_mov_b64 s[54:55], 0
	s_cmp_eq_u32 s9, 0
	v_pk_mov_b32 v[4:5], v[2:3], v[2:3] op_sel:[0,1]
	s_cbranch_scc1 .LBB171_6
; %bb.4:
	s_mov_b64 s[52:53], src_private_base
	s_and_b64 s[58:59], s[6:7], exec
	s_cselect_b32 s9, s53, s29
	v_mov_b32_e32 v1, 24
	v_mov_b32_e32 v2, s28
	v_cndmask_b32_e64 v2, v2, v1, s[6:7]
	v_mov_b32_e32 v3, s9
	flat_load_dwordx2 v[4:5], v[2:3]
	s_and_b64 vcc, exec, s[10:11]
	v_pk_mov_b32 v[2:3], s[30:31], s[30:31] op_sel:[0,1]
	s_cbranch_vccnz .LBB171_6
; %bb.5:
	v_pk_mov_b32 v[2:3], s[28:29], s[28:29] op_sel:[0,1]
	flat_load_dwordx2 v[2:3], v[2:3] offset:8
.LBB171_6:
	s_load_dwordx2 s[52:53], s[4:5], 0x0
	v_lshlrev_b32_e32 v10, 4, v0
	s_mov_b32 s4, 0
	v_or_b32_e32 v1, 0xfffffc00, v0
	v_add_u32_e32 v30, 0, v10
	v_lshl_add_u32 v27, v0, 3, 0
	s_mov_b32 s5, s4
	s_mov_b32 s6, s4
	s_mov_b32 s7, s4
	v_add_u32_e32 v16, 0x40008, v30
	s_waitcnt lgkmcnt(0)
	v_pk_mov_b32 v[10:11], s[52:53], s[52:53] op_sel:[0,1]
	v_pk_mov_b32 v[12:13], s[4:5], s[4:5] op_sel:[0,1]
	;; [unrolled: 1-line block ×3, first 2 shown]
	s_movk_i32 s4, 0x7bff
	v_mov_b32_e32 v17, v27
	v_mov_b32_e32 v18, v1
.LBB171_7:                              ; =>This Inner Loop Header: Depth=1
	v_add_u32_e32 v18, 0x400, v18
	v_cmp_lt_u32_e32 vcc, s4, v18
	ds_write_b64 v17, v[10:11]
	v_add_u32_e32 v19, -8, v16
	v_add_u32_e32 v16, 0x4000, v16
	v_add_u32_e32 v17, 0x2000, v17
	s_or_b64 s[54:55], vcc, s[54:55]
	ds_write2_b64 v19, v[12:13], v[14:15] offset1:1
	s_andn2_b64 exec, exec, s[54:55]
	s_cbranch_execnz .LBB171_7
; %bb.8:
	s_or_b64 exec, exec, s[54:55]
	s_waitcnt lgkmcnt(0)
	s_barrier
	s_load_dwordx2 s[4:5], s[24:25], 0x0
	s_mov_b32 s9, 0
	v_lshrrev_b32_e32 v31, 6, v0
	s_waitcnt lgkmcnt(0)
	s_lshl_b64 s[4:5], s[4:5], 3
	s_add_u32 s6, s26, s4
	s_addc_u32 s7, s27, s5
	s_lshl_b64 s[4:5], s[8:9], 3
	s_add_u32 s4, s6, s4
	s_addc_u32 s5, s7, s5
	s_load_dwordx2 s[54:55], s[4:5], 0x0
	s_and_b64 vcc, exec, s[56:57]
	s_cbranch_vccz .LBB171_28
; %bb.9:
	s_waitcnt lgkmcnt(0)
	s_lshl_b64 s[4:5], s[54:55], 3
	s_add_u32 s4, s12, s4
	s_addc_u32 s5, s13, s5
	s_load_dwordx4 s[24:27], s[4:5], 0x0
	v_subrev_co_u32_e32 v10, vcc, s44, v31
	v_subb_co_u32_e64 v11, s[6:7], 0, 0, vcc
	s_waitcnt lgkmcnt(0)
	s_sub_u32 s4, s26, s44
	v_mov_b32_e32 v12, s25
	v_add_co_u32_e32 v10, vcc, s24, v10
	s_subb_u32 s5, s27, 0
	v_addc_co_u32_e32 v11, vcc, v12, v11, vcc
	v_cmp_gt_i64_e32 vcc, s[4:5], v[10:11]
	s_and_saveexec_b64 s[6:7], vcc
	s_cbranch_execz .LBB171_27
; %bb.10:
	v_and_b32_e32 v12, 63, v0
	v_subrev_co_u32_e32 v32, vcc, s45, v12
	s_mov_b32 s8, 0
	v_subb_co_u32_e64 v33, s[10:11], 0, 0, vcc
	s_mov_b32 s33, s44
	s_mov_b32 s58, s45
	s_mov_b64 s[10:11], 0
	v_mov_b32_e32 v34, s15
	v_mov_b32_e32 v35, s9
	v_mov_b32_e32 v36, s19
	v_mov_b32_e32 v37, s8
	s_movk_i32 s15, 0x89
	s_branch .LBB171_12
.LBB171_11:                             ;   in Loop: Header=BB171_12 Depth=1
	s_or_b64 exec, exec, s[8:9]
	v_add_co_u32_e32 v10, vcc, 16, v10
	v_addc_co_u32_e32 v11, vcc, 0, v11, vcc
	v_cmp_le_i64_e32 vcc, s[4:5], v[10:11]
	s_or_b64 s[10:11], vcc, s[10:11]
	s_andn2_b64 exec, exec, s[10:11]
	s_cbranch_execz .LBB171_27
.LBB171_12:                             ; =>This Loop Header: Depth=1
                                        ;     Child Loop BB171_15 Depth 2
                                        ;       Child Loop BB171_17 Depth 3
	v_lshlrev_b64 v[12:13], 3, v[10:11]
	v_add_co_u32_e32 v12, vcc, s14, v12
	v_addc_co_u32_e32 v13, vcc, v34, v13, vcc
	global_load_dwordx2 v[12:13], v[12:13], off
	s_waitcnt vmcnt(0)
	v_subrev_co_u32_e32 v12, vcc, s33, v12
	v_subb_co_u32_e32 v13, vcc, v13, v35, vcc
	v_lshlrev_b64 v[12:13], 3, v[12:13]
	v_add_co_u32_e32 v12, vcc, s18, v12
	v_addc_co_u32_e32 v13, vcc, v36, v13, vcc
	global_load_dwordx4 v[14:17], v[12:13], off
	s_waitcnt vmcnt(0)
	v_subrev_co_u32_e32 v12, vcc, s58, v16
	v_subb_co_u32_e32 v13, vcc, v17, v37, vcc
	v_add_co_u32_e32 v14, vcc, v14, v32
	v_addc_co_u32_e32 v15, vcc, v15, v33, vcc
	v_cmp_lt_i64_e32 vcc, v[14:15], v[12:13]
	s_and_saveexec_b64 s[8:9], vcc
	s_cbranch_execz .LBB171_11
; %bb.13:                               ;   in Loop: Header=BB171_12 Depth=1
	v_lshlrev_b64 v[16:17], 4, v[10:11]
	v_mov_b32_e32 v18, s17
	v_add_co_u32_e32 v16, vcc, s16, v16
	v_addc_co_u32_e32 v17, vcc, v18, v17, vcc
	global_load_dwordx4 v[20:23], v[16:17], off
	s_mov_b64 s[12:13], 0
	s_waitcnt vmcnt(0)
	v_mul_f64 v[16:17], v[22:23], -v[8:9]
	v_mul_f64 v[18:19], v[6:7], v[22:23]
	v_fmac_f64_e32 v[16:17], v[6:7], v[20:21]
	v_fmac_f64_e32 v[18:19], v[8:9], v[20:21]
	s_branch .LBB171_15
.LBB171_14:                             ;   in Loop: Header=BB171_15 Depth=2
	s_or_b64 exec, exec, s[24:25]
	v_add_co_u32_e32 v14, vcc, 64, v14
	v_addc_co_u32_e32 v15, vcc, 0, v15, vcc
	v_cmp_ge_i64_e32 vcc, v[14:15], v[12:13]
	s_or_b64 s[12:13], vcc, s[12:13]
	s_andn2_b64 exec, exec, s[12:13]
	s_cbranch_execz .LBB171_11
.LBB171_15:                             ;   Parent Loop BB171_12 Depth=1
                                        ; =>  This Loop Header: Depth=2
                                        ;       Child Loop BB171_17 Depth 3
	v_lshlrev_b64 v[20:21], 3, v[14:15]
	v_mov_b32_e32 v22, s21
	v_add_co_u32_e32 v20, vcc, s20, v20
	v_addc_co_u32_e32 v21, vcc, v22, v21, vcc
	v_lshlrev_b64 v[22:23], 4, v[14:15]
	v_mov_b32_e32 v24, s23
	v_add_co_u32_e32 v22, vcc, s22, v22
	global_load_dwordx2 v[20:21], v[20:21], off
	v_addc_co_u32_e32 v23, vcc, v24, v23, vcc
	global_load_dwordx4 v[38:41], v[22:23], off
	s_mov_b64 s[24:25], 0
	s_waitcnt vmcnt(1)
	v_subrev_co_u32_e32 v20, vcc, s58, v20
	v_mul_lo_u32 v26, v20, s15
	s_waitcnt vmcnt(0)
	v_mul_f64 v[22:23], v[40:41], -v[18:19]
	v_mul_f64 v[24:25], v[16:17], v[40:41]
	v_subb_co_u32_e32 v21, vcc, v21, v37, vcc
	v_fmac_f64_e32 v[22:23], v[16:17], v[38:39]
	v_fmac_f64_e32 v[24:25], v[18:19], v[38:39]
	v_and_b32_e32 v26, 0x7fff, v26
	s_branch .LBB171_17
.LBB171_16:                             ;   in Loop: Header=BB171_17 Depth=3
	s_or_b64 exec, exec, s[26:27]
	s_xor_b64 s[26:27], s[28:29], -1
	s_and_b64 s[26:27], exec, s[26:27]
	s_or_b64 s[24:25], s[26:27], s[24:25]
	s_andn2_b64 exec, exec, s[24:25]
	s_cbranch_execz .LBB171_14
.LBB171_17:                             ;   Parent Loop BB171_12 Depth=1
                                        ;     Parent Loop BB171_15 Depth=2
                                        ; =>    This Inner Loop Header: Depth=3
	v_lshl_add_u32 v38, v26, 3, 0
	ds_read_b64 v[28:29], v38
                                        ; implicit-def: $sgpr28_sgpr29
	s_waitcnt lgkmcnt(0)
	v_cmp_ne_u64_e32 vcc, v[28:29], v[20:21]
	s_and_saveexec_b64 s[26:27], vcc
	s_xor_b64 s[26:27], exec, s[26:27]
	s_cbranch_execz .LBB171_25
; %bb.18:                               ;   in Loop: Header=BB171_17 Depth=3
	v_cmp_ne_u64_e32 vcc, s[52:53], v[28:29]
                                        ; implicit-def: $sgpr28_sgpr29
	s_and_saveexec_b64 s[30:31], vcc
	s_xor_b64 s[30:31], exec, s[30:31]
; %bb.19:                               ;   in Loop: Header=BB171_17 Depth=3
	v_add_u32_e32 v26, 1, v26
	v_and_b32_e32 v26, 0x7fff, v26
	s_mov_b64 s[28:29], -1
                                        ; implicit-def: $vgpr38
; %bb.20:                               ;   in Loop: Header=BB171_17 Depth=3
	s_andn2_saveexec_b64 s[30:31], s[30:31]
	s_cbranch_execz .LBB171_24
; %bb.21:                               ;   in Loop: Header=BB171_17 Depth=3
	v_pk_mov_b32 v[28:29], s[52:53], s[52:53] op_sel:[0,1]
	ds_cmpst_rtn_b64 v[28:29], v38, v[28:29], v[20:21]
	s_mov_b64 s[56:57], -1
	s_waitcnt lgkmcnt(0)
	v_cmp_eq_u64_e32 vcc, s[52:53], v[28:29]
	s_and_saveexec_b64 s[44:45], vcc
	s_cbranch_execz .LBB171_23
; %bb.22:                               ;   in Loop: Header=BB171_17 Depth=3
	v_lshl_add_u32 v28, v26, 4, 0
	v_add_u32_e32 v28, 0x40000, v28
	ds_add_f64 v28, v[22:23]
	ds_add_f64 v28, v[24:25] offset:8
	s_xor_b64 s[56:57], exec, -1
.LBB171_23:                             ;   in Loop: Header=BB171_17 Depth=3
	s_or_b64 exec, exec, s[44:45]
	s_andn2_b64 s[28:29], s[28:29], exec
	s_and_b64 s[44:45], s[56:57], exec
	s_or_b64 s[28:29], s[28:29], s[44:45]
.LBB171_24:                             ;   in Loop: Header=BB171_17 Depth=3
	s_or_b64 exec, exec, s[30:31]
	s_and_b64 s[28:29], s[28:29], exec
.LBB171_25:                             ;   in Loop: Header=BB171_17 Depth=3
	s_andn2_saveexec_b64 s[26:27], s[26:27]
	s_cbranch_execz .LBB171_16
; %bb.26:                               ;   in Loop: Header=BB171_17 Depth=3
	v_lshl_add_u32 v28, v26, 4, 0
	v_add_u32_e32 v28, 0x40000, v28
	ds_add_f64 v28, v[22:23]
	ds_add_f64 v28, v[24:25] offset:8
	s_andn2_b64 s[28:29], s[28:29], exec
	s_branch .LBB171_16
.LBB171_27:
	s_or_b64 exec, exec, s[6:7]
.LBB171_28:
	s_andn2_b64 vcc, exec, s[34:35]
	s_cbranch_vccnz .LBB171_45
; %bb.29:
	s_waitcnt lgkmcnt(0)
	s_lshl_b64 s[4:5], s[54:55], 3
	s_add_u32 s4, s36, s4
	s_addc_u32 s5, s37, s5
	s_load_dwordx4 s[12:15], s[4:5], 0x0
	s_waitcnt vmcnt(0)
	v_subrev_co_u32_e32 v6, vcc, s47, v0
	v_subb_co_u32_e64 v7, s[6:7], 0, 0, vcc
	s_waitcnt lgkmcnt(0)
	s_sub_u32 s4, s14, s47
	v_mov_b32_e32 v8, s13
	v_add_co_u32_e32 v6, vcc, s12, v6
	s_subb_u32 s5, s15, 0
	v_addc_co_u32_e32 v7, vcc, v8, v7, vcc
	s_mov_b32 s10, 0
	v_cmp_gt_i64_e32 vcc, s[4:5], v[6:7]
	s_and_saveexec_b64 s[6:7], vcc
	s_cbranch_execz .LBB171_44
; %bb.30:
	s_mov_b32 s22, s47
	s_mov_b64 s[8:9], 0
	v_mov_b32_e32 v15, s39
	v_mov_b32_e32 v18, s10
	;; [unrolled: 1-line block ×3, first 2 shown]
	s_movk_i32 s23, 0x89
	s_branch .LBB171_32
.LBB171_31:                             ;   in Loop: Header=BB171_32 Depth=1
	s_or_b64 exec, exec, s[10:11]
	v_add_co_u32_e32 v6, vcc, 0x400, v6
	v_addc_co_u32_e32 v7, vcc, 0, v7, vcc
	v_cmp_le_i64_e32 vcc, s[4:5], v[6:7]
	s_or_b64 s[8:9], vcc, s[8:9]
	s_andn2_b64 exec, exec, s[8:9]
	s_cbranch_execz .LBB171_44
.LBB171_32:                             ; =>This Loop Header: Depth=1
                                        ;     Child Loop BB171_34 Depth 2
	v_lshlrev_b64 v[8:9], 3, v[6:7]
	v_add_co_u32_e32 v8, vcc, s38, v8
	v_addc_co_u32_e32 v9, vcc, v15, v9, vcc
	v_lshlrev_b64 v[10:11], 4, v[6:7]
	v_add_co_u32_e32 v10, vcc, s40, v10
	global_load_dwordx2 v[8:9], v[8:9], off
	v_addc_co_u32_e32 v11, vcc, v19, v11, vcc
	global_load_dwordx4 v[20:23], v[10:11], off
	s_mov_b64 s[10:11], 0
	s_waitcnt vmcnt(1)
	v_subrev_co_u32_e32 v8, vcc, s22, v8
	v_mul_lo_u32 v14, v8, s23
	s_waitcnt vmcnt(0)
	v_mul_f64 v[10:11], v[22:23], -v[2:3]
	v_mul_f64 v[12:13], v[4:5], v[22:23]
	v_subb_co_u32_e32 v9, vcc, v9, v18, vcc
	v_fmac_f64_e32 v[10:11], v[4:5], v[20:21]
	v_fmac_f64_e32 v[12:13], v[2:3], v[20:21]
	v_and_b32_e32 v14, 0x7fff, v14
	s_branch .LBB171_34
.LBB171_33:                             ;   in Loop: Header=BB171_34 Depth=2
	s_or_b64 exec, exec, s[12:13]
	s_xor_b64 s[12:13], s[14:15], -1
	s_and_b64 s[12:13], exec, s[12:13]
	s_or_b64 s[10:11], s[12:13], s[10:11]
	s_andn2_b64 exec, exec, s[10:11]
	s_cbranch_execz .LBB171_31
.LBB171_34:                             ;   Parent Loop BB171_32 Depth=1
                                        ; =>  This Inner Loop Header: Depth=2
	v_lshl_add_u32 v20, v14, 3, 0
	ds_read_b64 v[16:17], v20
                                        ; implicit-def: $sgpr14_sgpr15
	s_waitcnt lgkmcnt(0)
	v_cmp_ne_u64_e32 vcc, v[16:17], v[8:9]
	s_and_saveexec_b64 s[12:13], vcc
	s_xor_b64 s[12:13], exec, s[12:13]
	s_cbranch_execz .LBB171_42
; %bb.35:                               ;   in Loop: Header=BB171_34 Depth=2
	v_cmp_ne_u64_e32 vcc, s[52:53], v[16:17]
                                        ; implicit-def: $sgpr14_sgpr15
	s_and_saveexec_b64 s[16:17], vcc
	s_xor_b64 s[16:17], exec, s[16:17]
; %bb.36:                               ;   in Loop: Header=BB171_34 Depth=2
	v_add_u32_e32 v14, 1, v14
	v_and_b32_e32 v14, 0x7fff, v14
	s_mov_b64 s[14:15], -1
                                        ; implicit-def: $vgpr20
; %bb.37:                               ;   in Loop: Header=BB171_34 Depth=2
	s_andn2_saveexec_b64 s[16:17], s[16:17]
	s_cbranch_execz .LBB171_41
; %bb.38:                               ;   in Loop: Header=BB171_34 Depth=2
	v_pk_mov_b32 v[16:17], s[52:53], s[52:53] op_sel:[0,1]
	ds_cmpst_rtn_b64 v[16:17], v20, v[16:17], v[8:9]
	s_mov_b64 s[20:21], -1
	s_waitcnt lgkmcnt(0)
	v_cmp_eq_u64_e32 vcc, s[52:53], v[16:17]
	s_and_saveexec_b64 s[18:19], vcc
	s_cbranch_execz .LBB171_40
; %bb.39:                               ;   in Loop: Header=BB171_34 Depth=2
	v_lshl_add_u32 v16, v14, 4, 0
	v_add_u32_e32 v16, 0x40000, v16
	ds_add_f64 v16, v[10:11]
	ds_add_f64 v16, v[12:13] offset:8
	s_xor_b64 s[20:21], exec, -1
.LBB171_40:                             ;   in Loop: Header=BB171_34 Depth=2
	s_or_b64 exec, exec, s[18:19]
	s_andn2_b64 s[14:15], s[14:15], exec
	s_and_b64 s[18:19], s[20:21], exec
	s_or_b64 s[14:15], s[14:15], s[18:19]
.LBB171_41:                             ;   in Loop: Header=BB171_34 Depth=2
	s_or_b64 exec, exec, s[16:17]
	s_and_b64 s[14:15], s[14:15], exec
.LBB171_42:                             ;   in Loop: Header=BB171_34 Depth=2
	s_andn2_saveexec_b64 s[12:13], s[12:13]
	s_cbranch_execz .LBB171_33
; %bb.43:                               ;   in Loop: Header=BB171_34 Depth=2
	v_lshl_add_u32 v16, v14, 4, 0
	v_add_u32_e32 v16, 0x40000, v16
	ds_add_f64 v16, v[10:11]
	ds_add_f64 v16, v[12:13] offset:8
	s_andn2_b64 s[14:15], s[14:15], exec
	s_branch .LBB171_33
.LBB171_44:
	s_or_b64 exec, exec, s[6:7]
.LBB171_45:
	s_waitcnt vmcnt(0)
	v_mbcnt_lo_u32_b32 v2, -1, 0
	v_mbcnt_hi_u32_b32 v2, -1, v2
	v_sub_u32_e32 v2, 63, v2
	s_add_i32 s33, 0, 0xc0000
	s_movk_i32 s4, 0x3ff
	s_movk_i32 s6, 0x7f
	;; [unrolled: 1-line block ×15, first 2 shown]
	v_mov_b32_e32 v3, 0
	v_lshrrev_b64 v[4:5], v2, -1
	v_lshl_add_u32 v12, v31, 3, s33
	v_cmp_eq_u32_e32 vcc, s4, v0
	v_cmp_lt_u32_e64 s[4:5], 63, v0
	v_cmp_lt_u32_e64 s[6:7], s6, v0
	;; [unrolled: 1-line block ×15, first 2 shown]
	v_add_u32_e32 v13, 0x40000, v30
	s_mov_b64 s[38:39], 0
	v_pk_mov_b32 v[6:7], 0, 0
	s_add_i32 s44, 0, 0xc0008
	s_add_i32 s45, 0, 0xc0010
	;; [unrolled: 1-line block ×15, first 2 shown]
	s_movk_i32 s68, 0x7bff
	s_waitcnt lgkmcnt(0)
	s_barrier
	s_branch .LBB171_47
.LBB171_46:                             ;   in Loop: Header=BB171_47 Depth=1
	s_or_b64 exec, exec, s[36:37]
	v_mov_b32_e32 v2, s67
	s_waitcnt lgkmcnt(0)
	s_barrier
	ds_read_b64 v[8:9], v2
	v_add_u32_e32 v1, 0x400, v1
	v_add_u32_e32 v13, 0x4000, v13
	;; [unrolled: 1-line block ×3, first 2 shown]
	s_waitcnt lgkmcnt(0)
	v_add_co_u32_e64 v6, s[36:37], v8, v6
	v_addc_co_u32_e64 v7, s[36:37], v9, v7, s[36:37]
	v_cmp_lt_u32_e64 s[36:37], s68, v1
	s_or_b64 s[38:39], s[36:37], s[38:39]
	s_andn2_b64 exec, exec, s[38:39]
	s_cbranch_execz .LBB171_81
.LBB171_47:                             ; =>This Inner Loop Header: Depth=1
	ds_read2_b64 v[14:17], v13 offset1:1
	ds_read_b64 v[10:11], v27
	s_waitcnt lgkmcnt(1)
	buffer_store_dword v17, off, s[0:3], 0 offset:12
	buffer_store_dword v16, off, s[0:3], 0 offset:8
	;; [unrolled: 1-line block ×3, first 2 shown]
	buffer_store_dword v14, off, s[0:3], 0
	s_waitcnt lgkmcnt(0)
	v_cmp_gt_i64_e64 s[36:37], s[52:53], v[10:11]
	v_and_b32_e32 v9, s36, v4
	s_bcnt1_i32_b64 s40, s[36:37]
	v_and_b32_e32 v8, s37, v5
	v_bcnt_u32_b32 v9, v9, 0
	v_mov_b32_e32 v2, s40
	v_bcnt_u32_b32 v8, v8, v9
	s_barrier
	ds_write_b64 v12, v[2:3]
	s_waitcnt lgkmcnt(0)
	s_barrier
	s_and_saveexec_b64 s[40:41], s[4:5]
	s_cbranch_execnz .LBB171_64
; %bb.48:                               ;   in Loop: Header=BB171_47 Depth=1
	s_or_b64 exec, exec, s[40:41]
	s_and_saveexec_b64 s[40:41], s[6:7]
	s_cbranch_execnz .LBB171_65
.LBB171_49:                             ;   in Loop: Header=BB171_47 Depth=1
	s_or_b64 exec, exec, s[40:41]
	s_and_saveexec_b64 s[40:41], s[8:9]
	s_cbranch_execnz .LBB171_66
.LBB171_50:                             ;   in Loop: Header=BB171_47 Depth=1
	s_or_b64 exec, exec, s[40:41]
	s_and_saveexec_b64 s[40:41], s[10:11]
	s_cbranch_execnz .LBB171_67
.LBB171_51:                             ;   in Loop: Header=BB171_47 Depth=1
	s_or_b64 exec, exec, s[40:41]
	s_and_saveexec_b64 s[40:41], s[12:13]
	s_cbranch_execnz .LBB171_68
.LBB171_52:                             ;   in Loop: Header=BB171_47 Depth=1
	s_or_b64 exec, exec, s[40:41]
	s_and_saveexec_b64 s[40:41], s[14:15]
	s_cbranch_execnz .LBB171_69
.LBB171_53:                             ;   in Loop: Header=BB171_47 Depth=1
	s_or_b64 exec, exec, s[40:41]
	s_and_saveexec_b64 s[40:41], s[16:17]
	s_cbranch_execnz .LBB171_70
.LBB171_54:                             ;   in Loop: Header=BB171_47 Depth=1
	s_or_b64 exec, exec, s[40:41]
	s_and_saveexec_b64 s[40:41], s[18:19]
	s_cbranch_execnz .LBB171_71
.LBB171_55:                             ;   in Loop: Header=BB171_47 Depth=1
	s_or_b64 exec, exec, s[40:41]
	s_and_saveexec_b64 s[40:41], s[20:21]
	s_cbranch_execnz .LBB171_72
.LBB171_56:                             ;   in Loop: Header=BB171_47 Depth=1
	s_or_b64 exec, exec, s[40:41]
	s_and_saveexec_b64 s[40:41], s[22:23]
	s_cbranch_execnz .LBB171_73
.LBB171_57:                             ;   in Loop: Header=BB171_47 Depth=1
	s_or_b64 exec, exec, s[40:41]
	s_and_saveexec_b64 s[40:41], s[24:25]
	s_cbranch_execnz .LBB171_74
.LBB171_58:                             ;   in Loop: Header=BB171_47 Depth=1
	s_or_b64 exec, exec, s[40:41]
	s_and_saveexec_b64 s[40:41], s[26:27]
	s_cbranch_execnz .LBB171_75
.LBB171_59:                             ;   in Loop: Header=BB171_47 Depth=1
	s_or_b64 exec, exec, s[40:41]
	s_and_saveexec_b64 s[40:41], s[28:29]
	s_cbranch_execnz .LBB171_76
.LBB171_60:                             ;   in Loop: Header=BB171_47 Depth=1
	s_or_b64 exec, exec, s[40:41]
	s_and_saveexec_b64 s[40:41], s[30:31]
	s_cbranch_execnz .LBB171_77
.LBB171_61:                             ;   in Loop: Header=BB171_47 Depth=1
	s_or_b64 exec, exec, s[40:41]
	s_and_saveexec_b64 s[40:41], s[34:35]
	s_cbranch_execnz .LBB171_78
.LBB171_62:                             ;   in Loop: Header=BB171_47 Depth=1
	s_or_b64 exec, exec, s[40:41]
	v_ashrrev_i32_e32 v9, 31, v8
	s_and_saveexec_b64 s[40:41], s[36:37]
	s_cbranch_execnz .LBB171_79
.LBB171_63:                             ;   in Loop: Header=BB171_47 Depth=1
	s_or_b64 exec, exec, s[40:41]
	s_and_saveexec_b64 s[36:37], vcc
	s_cbranch_execz .LBB171_46
	s_branch .LBB171_80
.LBB171_64:                             ;   in Loop: Header=BB171_47 Depth=1
	v_mov_b32_e32 v2, s33
	ds_read_b32 v2, v2
	s_waitcnt lgkmcnt(0)
	v_add_u32_e32 v8, v2, v8
	s_or_b64 exec, exec, s[40:41]
	s_and_saveexec_b64 s[40:41], s[6:7]
	s_cbranch_execz .LBB171_49
.LBB171_65:                             ;   in Loop: Header=BB171_47 Depth=1
	v_mov_b32_e32 v2, s44
	ds_read_b32 v2, v2
	s_waitcnt lgkmcnt(0)
	v_add_u32_e32 v8, v8, v2
	s_or_b64 exec, exec, s[40:41]
	s_and_saveexec_b64 s[40:41], s[8:9]
	s_cbranch_execz .LBB171_50
.LBB171_66:                             ;   in Loop: Header=BB171_47 Depth=1
	v_mov_b32_e32 v2, s45
	ds_read_b32 v2, v2
	s_waitcnt lgkmcnt(0)
	v_add_u32_e32 v8, v8, v2
	s_or_b64 exec, exec, s[40:41]
	s_and_saveexec_b64 s[40:41], s[10:11]
	s_cbranch_execz .LBB171_51
.LBB171_67:                             ;   in Loop: Header=BB171_47 Depth=1
	v_mov_b32_e32 v2, s47
	ds_read_b32 v2, v2
	s_waitcnt lgkmcnt(0)
	v_add_u32_e32 v8, v8, v2
	s_or_b64 exec, exec, s[40:41]
	s_and_saveexec_b64 s[40:41], s[12:13]
	s_cbranch_execz .LBB171_52
.LBB171_68:                             ;   in Loop: Header=BB171_47 Depth=1
	v_mov_b32_e32 v2, s56
	ds_read_b32 v2, v2
	s_waitcnt lgkmcnt(0)
	v_add_u32_e32 v8, v8, v2
	s_or_b64 exec, exec, s[40:41]
	s_and_saveexec_b64 s[40:41], s[14:15]
	s_cbranch_execz .LBB171_53
.LBB171_69:                             ;   in Loop: Header=BB171_47 Depth=1
	v_mov_b32_e32 v2, s57
	ds_read_b32 v2, v2
	s_waitcnt lgkmcnt(0)
	v_add_u32_e32 v8, v8, v2
	s_or_b64 exec, exec, s[40:41]
	s_and_saveexec_b64 s[40:41], s[16:17]
	s_cbranch_execz .LBB171_54
.LBB171_70:                             ;   in Loop: Header=BB171_47 Depth=1
	v_mov_b32_e32 v2, s58
	ds_read_b32 v2, v2
	s_waitcnt lgkmcnt(0)
	v_add_u32_e32 v8, v8, v2
	s_or_b64 exec, exec, s[40:41]
	s_and_saveexec_b64 s[40:41], s[18:19]
	s_cbranch_execz .LBB171_55
.LBB171_71:                             ;   in Loop: Header=BB171_47 Depth=1
	v_mov_b32_e32 v2, s59
	ds_read_b32 v2, v2
	s_waitcnt lgkmcnt(0)
	v_add_u32_e32 v8, v8, v2
	s_or_b64 exec, exec, s[40:41]
	s_and_saveexec_b64 s[40:41], s[20:21]
	s_cbranch_execz .LBB171_56
.LBB171_72:                             ;   in Loop: Header=BB171_47 Depth=1
	v_mov_b32_e32 v2, s60
	ds_read_b32 v2, v2
	s_waitcnt lgkmcnt(0)
	v_add_u32_e32 v8, v8, v2
	s_or_b64 exec, exec, s[40:41]
	s_and_saveexec_b64 s[40:41], s[22:23]
	s_cbranch_execz .LBB171_57
.LBB171_73:                             ;   in Loop: Header=BB171_47 Depth=1
	v_mov_b32_e32 v2, s61
	ds_read_b32 v2, v2
	s_waitcnt lgkmcnt(0)
	v_add_u32_e32 v8, v8, v2
	s_or_b64 exec, exec, s[40:41]
	s_and_saveexec_b64 s[40:41], s[24:25]
	s_cbranch_execz .LBB171_58
.LBB171_74:                             ;   in Loop: Header=BB171_47 Depth=1
	v_mov_b32_e32 v2, s62
	ds_read_b32 v2, v2
	s_waitcnt lgkmcnt(0)
	v_add_u32_e32 v8, v8, v2
	s_or_b64 exec, exec, s[40:41]
	s_and_saveexec_b64 s[40:41], s[26:27]
	s_cbranch_execz .LBB171_59
.LBB171_75:                             ;   in Loop: Header=BB171_47 Depth=1
	v_mov_b32_e32 v2, s63
	ds_read_b32 v2, v2
	s_waitcnt lgkmcnt(0)
	v_add_u32_e32 v8, v8, v2
	s_or_b64 exec, exec, s[40:41]
	s_and_saveexec_b64 s[40:41], s[28:29]
	s_cbranch_execz .LBB171_60
.LBB171_76:                             ;   in Loop: Header=BB171_47 Depth=1
	v_mov_b32_e32 v2, s64
	ds_read_b32 v2, v2
	s_waitcnt lgkmcnt(0)
	v_add_u32_e32 v8, v8, v2
	s_or_b64 exec, exec, s[40:41]
	s_and_saveexec_b64 s[40:41], s[30:31]
	s_cbranch_execz .LBB171_61
.LBB171_77:                             ;   in Loop: Header=BB171_47 Depth=1
	v_mov_b32_e32 v2, s65
	ds_read_b32 v2, v2
	s_waitcnt lgkmcnt(0)
	v_add_u32_e32 v8, v8, v2
	s_or_b64 exec, exec, s[40:41]
	s_and_saveexec_b64 s[40:41], s[34:35]
	s_cbranch_execz .LBB171_62
.LBB171_78:                             ;   in Loop: Header=BB171_47 Depth=1
	v_mov_b32_e32 v2, s66
	ds_read_b32 v2, v2
	s_waitcnt lgkmcnt(0)
	v_add_u32_e32 v8, v8, v2
	s_or_b64 exec, exec, s[40:41]
	v_ashrrev_i32_e32 v9, 31, v8
	s_and_saveexec_b64 s[40:41], s[36:37]
	s_cbranch_execz .LBB171_63
.LBB171_79:                             ;   in Loop: Header=BB171_47 Depth=1
	buffer_load_dword v14, off, s[0:3], 0
	buffer_load_dword v15, off, s[0:3], 0 offset:4
	buffer_load_dword v16, off, s[0:3], 0 offset:8
	;; [unrolled: 1-line block ×3, first 2 shown]
	v_add3_u32 v2, v6, -1, v8
	v_lshl_add_u32 v18, v2, 3, 0
	v_lshl_add_u32 v2, v2, 4, 0
	v_add_u32_e32 v2, 0x40000, v2
	ds_write_b64 v18, v[10:11]
	s_waitcnt vmcnt(0)
	ds_write2_b64 v2, v[14:15], v[16:17] offset1:1
	s_or_b64 exec, exec, s[40:41]
	s_and_saveexec_b64 s[36:37], vcc
	s_cbranch_execz .LBB171_46
.LBB171_80:                             ;   in Loop: Header=BB171_47 Depth=1
	v_mov_b32_e32 v2, s67
	ds_write_b64 v2, v[8:9]
	s_branch .LBB171_46
.LBB171_81:
	s_or_b64 exec, exec, s[38:39]
	s_lshl_b64 s[4:5], s[54:55], 3
	s_add_u32 s4, s42, s4
	s_addc_u32 s5, s43, s5
	s_load_dwordx4 s[4:7], s[4:5], 0x0
	v_mov_b32_e32 v1, 0
	s_waitcnt lgkmcnt(0)
	s_sub_u32 s8, s6, s4
	s_subb_u32 s9, s7, s5
	v_cmp_gt_i64_e32 vcc, s[8:9], v[0:1]
	s_and_saveexec_b64 s[10:11], vcc
	s_cbranch_execz .LBB171_91
; %bb.82:
	s_sub_u32 s10, s4, s46
	s_subb_u32 s11, s5, 0
	s_and_b32 s12, s8, 7
	s_sub_u32 s4, s4, s6
	s_mov_b32 s20, 0
	s_subb_u32 s5, s5, s7
	s_mov_b32 s13, s20
	s_and_b32 s6, s8, -8
	v_cmp_lt_u64_e64 s[4:5], s[4:5], -7
	s_cmp_lg_u64 s[12:13], 0
	v_cndmask_b32_e64 v2, 0, 1, s[4:5]
	s_mov_b32 s7, s9
	s_mov_b64 s[14:15], 0
	s_cselect_b64 s[16:17], -1, 0
	v_cmp_ne_u32_e64 s[4:5], 1, v2
	s_branch .LBB171_84
.LBB171_83:                             ;   in Loop: Header=BB171_84 Depth=1
	v_lshl_add_u32 v6, v0, 4, 0
	v_add_u32_e32 v8, 0x40000, v6
	v_mov_b32_e32 v6, s20
	s_waitcnt lgkmcnt(0)
	v_add_co_u32_e32 v2, vcc, s46, v2
	v_addc_co_u32_e32 v3, vcc, v3, v6, vcc
	v_lshlrev_b64 v[6:7], 3, v[4:5]
	v_mov_b32_e32 v9, s49
	v_add_co_u32_e32 v6, vcc, s48, v6
	v_addc_co_u32_e32 v7, vcc, v9, v7, vcc
	global_store_dwordx2 v[6:7], v[2:3], off
	v_lshlrev_b64 v[2:3], 4, v[4:5]
	v_mov_b32_e32 v4, s51
	v_add_co_u32_e32 v6, vcc, s50, v2
	v_addc_co_u32_e32 v7, vcc, v4, v3, vcc
	ds_read2_b64 v[2:5], v8 offset1:1
	v_add_co_u32_e32 v0, vcc, 0x400, v0
	v_addc_co_u32_e32 v1, vcc, 0, v1, vcc
	v_cmp_le_i64_e32 vcc, s[8:9], v[0:1]
	s_or_b64 s[14:15], vcc, s[14:15]
	s_waitcnt lgkmcnt(0)
	global_store_dwordx4 v[6:7], v[2:5], off
	s_andn2_b64 exec, exec, s[14:15]
	s_cbranch_execz .LBB171_91
.LBB171_84:                             ; =>This Loop Header: Depth=1
                                        ;     Child Loop BB171_86 Depth 2
                                        ;     Child Loop BB171_90 Depth 2
	v_lshl_add_u32 v2, v0, 3, 0
	ds_read_b64 v[2:3], v2
	s_and_b64 vcc, exec, s[4:5]
	v_pk_mov_b32 v[4:5], s[10:11], s[10:11] op_sel:[0,1]
	s_mov_b64 s[18:19], 0
	s_cbranch_vccnz .LBB171_88
; %bb.85:                               ;   in Loop: Header=BB171_84 Depth=1
	s_mov_b32 s21, 0
	v_pk_mov_b32 v[4:5], s[10:11], s[10:11] op_sel:[0,1]
.LBB171_86:                             ;   Parent Loop BB171_84 Depth=1
                                        ; =>  This Inner Loop Header: Depth=2
	v_mov_b32_e32 v18, s21
	ds_read2_b64 v[6:9], v18 offset1:1
	ds_read2_b64 v[10:13], v18 offset0:2 offset1:3
	ds_read2_b64 v[14:17], v18 offset0:4 offset1:5
	ds_read2_b64 v[18:21], v18 offset0:6 offset1:7
	s_add_u32 s18, s18, 8
	s_waitcnt lgkmcnt(3)
	v_cmp_gt_i64_e32 vcc, v[2:3], v[6:7]
	v_cndmask_b32_e64 v6, 0, 1, vcc
	v_cmp_gt_i64_e32 vcc, v[2:3], v[8:9]
	v_cndmask_b32_e64 v7, 0, 1, vcc
	s_waitcnt lgkmcnt(2)
	v_cmp_gt_i64_e32 vcc, v[2:3], v[10:11]
	v_cndmask_b32_e64 v8, 0, 1, vcc
	v_cmp_gt_i64_e32 vcc, v[2:3], v[12:13]
	v_cndmask_b32_e64 v9, 0, 1, vcc
	;; [unrolled: 5-line block ×4, first 2 shown]
	v_add_co_u32_e32 v4, vcc, v4, v6
	v_addc_co_u32_e32 v5, vcc, 0, v5, vcc
	v_add_co_u32_e32 v4, vcc, v4, v7
	v_addc_co_u32_e32 v5, vcc, 0, v5, vcc
	;; [unrolled: 2-line block ×7, first 2 shown]
	s_addc_u32 s19, s19, 0
	s_add_i32 s21, s21, 64
	v_add_co_u32_e32 v4, vcc, v4, v13
	s_cmp_eq_u64 s[6:7], s[18:19]
	v_addc_co_u32_e32 v5, vcc, 0, v5, vcc
	s_cbranch_scc0 .LBB171_86
; %bb.87:                               ;   in Loop: Header=BB171_84 Depth=1
	s_mov_b64 s[18:19], s[6:7]
.LBB171_88:                             ;   in Loop: Header=BB171_84 Depth=1
	s_andn2_b64 vcc, exec, s[16:17]
	s_cbranch_vccnz .LBB171_83
; %bb.89:                               ;   in Loop: Header=BB171_84 Depth=1
	s_lshl_b32 s18, s18, 3
	s_add_i32 s21, s18, 0
	s_mov_b64 s[18:19], s[12:13]
.LBB171_90:                             ;   Parent Loop BB171_84 Depth=1
                                        ; =>  This Inner Loop Header: Depth=2
	v_mov_b32_e32 v6, s21
	ds_read_b64 v[6:7], v6
	s_add_i32 s21, s21, 8
	s_add_u32 s18, s18, -1
	s_addc_u32 s19, s19, -1
	s_cmp_lg_u64 s[18:19], 0
	s_waitcnt lgkmcnt(0)
	v_cmp_gt_i64_e32 vcc, v[2:3], v[6:7]
	v_cndmask_b32_e64 v6, 0, 1, vcc
	v_add_co_u32_e32 v4, vcc, v4, v6
	v_addc_co_u32_e32 v5, vcc, 0, v5, vcc
	s_cbranch_scc1 .LBB171_90
	s_branch .LBB171_83
.LBB171_91:
	s_endpgm
	.section	.rodata,"a",@progbits
	.p2align	6, 0x0
	.amdhsa_kernel _ZN9rocsparseL26csrgemm_fill_block_per_rowILj1024ELj64ELj32768ELj137ELj64Ell21rocsparse_complex_numIdEEEvT5_PKS3_S5_NS_24const_host_device_scalarIT6_EEPKT4_S5_PKS7_SB_S5_SD_S8_SB_S5_SD_SB_PS3_PS7_21rocsparse_index_base_SG_SG_SG_bbb
		.amdhsa_group_segment_fixed_size 0
		.amdhsa_private_segment_fixed_size 40
		.amdhsa_kernarg_size 172
		.amdhsa_user_sgpr_count 8
		.amdhsa_user_sgpr_private_segment_buffer 1
		.amdhsa_user_sgpr_dispatch_ptr 0
		.amdhsa_user_sgpr_queue_ptr 0
		.amdhsa_user_sgpr_kernarg_segment_ptr 1
		.amdhsa_user_sgpr_dispatch_id 0
		.amdhsa_user_sgpr_flat_scratch_init 1
		.amdhsa_user_sgpr_kernarg_preload_length 0
		.amdhsa_user_sgpr_kernarg_preload_offset 0
		.amdhsa_user_sgpr_private_segment_size 0
		.amdhsa_uses_dynamic_stack 0
		.amdhsa_system_sgpr_private_segment_wavefront_offset 1
		.amdhsa_system_sgpr_workgroup_id_x 1
		.amdhsa_system_sgpr_workgroup_id_y 0
		.amdhsa_system_sgpr_workgroup_id_z 0
		.amdhsa_system_sgpr_workgroup_info 0
		.amdhsa_system_vgpr_workitem_id 0
		.amdhsa_next_free_vgpr 42
		.amdhsa_next_free_sgpr 69
		.amdhsa_accum_offset 44
		.amdhsa_reserve_vcc 1
		.amdhsa_reserve_flat_scratch 1
		.amdhsa_float_round_mode_32 0
		.amdhsa_float_round_mode_16_64 0
		.amdhsa_float_denorm_mode_32 3
		.amdhsa_float_denorm_mode_16_64 3
		.amdhsa_dx10_clamp 1
		.amdhsa_ieee_mode 1
		.amdhsa_fp16_overflow 0
		.amdhsa_tg_split 0
		.amdhsa_exception_fp_ieee_invalid_op 0
		.amdhsa_exception_fp_denorm_src 0
		.amdhsa_exception_fp_ieee_div_zero 0
		.amdhsa_exception_fp_ieee_overflow 0
		.amdhsa_exception_fp_ieee_underflow 0
		.amdhsa_exception_fp_ieee_inexact 0
		.amdhsa_exception_int_div_zero 0
	.end_amdhsa_kernel
	.section	.text._ZN9rocsparseL26csrgemm_fill_block_per_rowILj1024ELj64ELj32768ELj137ELj64Ell21rocsparse_complex_numIdEEEvT5_PKS3_S5_NS_24const_host_device_scalarIT6_EEPKT4_S5_PKS7_SB_S5_SD_S8_SB_S5_SD_SB_PS3_PS7_21rocsparse_index_base_SG_SG_SG_bbb,"axG",@progbits,_ZN9rocsparseL26csrgemm_fill_block_per_rowILj1024ELj64ELj32768ELj137ELj64Ell21rocsparse_complex_numIdEEEvT5_PKS3_S5_NS_24const_host_device_scalarIT6_EEPKT4_S5_PKS7_SB_S5_SD_S8_SB_S5_SD_SB_PS3_PS7_21rocsparse_index_base_SG_SG_SG_bbb,comdat
.Lfunc_end171:
	.size	_ZN9rocsparseL26csrgemm_fill_block_per_rowILj1024ELj64ELj32768ELj137ELj64Ell21rocsparse_complex_numIdEEEvT5_PKS3_S5_NS_24const_host_device_scalarIT6_EEPKT4_S5_PKS7_SB_S5_SD_S8_SB_S5_SD_SB_PS3_PS7_21rocsparse_index_base_SG_SG_SG_bbb, .Lfunc_end171-_ZN9rocsparseL26csrgemm_fill_block_per_rowILj1024ELj64ELj32768ELj137ELj64Ell21rocsparse_complex_numIdEEEvT5_PKS3_S5_NS_24const_host_device_scalarIT6_EEPKT4_S5_PKS7_SB_S5_SD_S8_SB_S5_SD_SB_PS3_PS7_21rocsparse_index_base_SG_SG_SG_bbb
                                        ; -- End function
	.section	.AMDGPU.csdata,"",@progbits
; Kernel info:
; codeLenInByte = 3848
; NumSgprs: 75
; NumVgprs: 42
; NumAgprs: 0
; TotalNumVgprs: 42
; ScratchSize: 40
; MemoryBound: 0
; FloatMode: 240
; IeeeMode: 1
; LDSByteSize: 0 bytes/workgroup (compile time only)
; SGPRBlocks: 9
; VGPRBlocks: 5
; NumSGPRsForWavesPerEU: 75
; NumVGPRsForWavesPerEU: 42
; AccumOffset: 44
; Occupancy: 8
; WaveLimiterHint : 1
; COMPUTE_PGM_RSRC2:SCRATCH_EN: 1
; COMPUTE_PGM_RSRC2:USER_SGPR: 8
; COMPUTE_PGM_RSRC2:TRAP_HANDLER: 0
; COMPUTE_PGM_RSRC2:TGID_X_EN: 1
; COMPUTE_PGM_RSRC2:TGID_Y_EN: 0
; COMPUTE_PGM_RSRC2:TGID_Z_EN: 0
; COMPUTE_PGM_RSRC2:TIDIG_COMP_CNT: 0
; COMPUTE_PGM_RSRC3_GFX90A:ACCUM_OFFSET: 10
; COMPUTE_PGM_RSRC3_GFX90A:TG_SPLIT: 0
	.section	.text._ZN9rocsparseL36csrgemm_fill_block_per_row_multipassILj512ELj16ELj2048ELj32Ell21rocsparse_complex_numIdEEEvT4_PKS3_S5_NS_24const_host_device_scalarIT5_EEPKT3_S5_PKS7_SB_S5_SD_S8_SB_S5_SD_SB_PS3_PS7_PS9_21rocsparse_index_base_SH_SH_SH_bbb,"axG",@progbits,_ZN9rocsparseL36csrgemm_fill_block_per_row_multipassILj512ELj16ELj2048ELj32Ell21rocsparse_complex_numIdEEEvT4_PKS3_S5_NS_24const_host_device_scalarIT5_EEPKT3_S5_PKS7_SB_S5_SD_S8_SB_S5_SD_SB_PS3_PS7_PS9_21rocsparse_index_base_SH_SH_SH_bbb,comdat
	.globl	_ZN9rocsparseL36csrgemm_fill_block_per_row_multipassILj512ELj16ELj2048ELj32Ell21rocsparse_complex_numIdEEEvT4_PKS3_S5_NS_24const_host_device_scalarIT5_EEPKT3_S5_PKS7_SB_S5_SD_S8_SB_S5_SD_SB_PS3_PS7_PS9_21rocsparse_index_base_SH_SH_SH_bbb ; -- Begin function _ZN9rocsparseL36csrgemm_fill_block_per_row_multipassILj512ELj16ELj2048ELj32Ell21rocsparse_complex_numIdEEEvT4_PKS3_S5_NS_24const_host_device_scalarIT5_EEPKT3_S5_PKS7_SB_S5_SD_S8_SB_S5_SD_SB_PS3_PS7_PS9_21rocsparse_index_base_SH_SH_SH_bbb
	.p2align	8
	.type	_ZN9rocsparseL36csrgemm_fill_block_per_row_multipassILj512ELj16ELj2048ELj32Ell21rocsparse_complex_numIdEEEvT4_PKS3_S5_NS_24const_host_device_scalarIT5_EEPKT3_S5_PKS7_SB_S5_SD_S8_SB_S5_SD_SB_PS3_PS7_PS9_21rocsparse_index_base_SH_SH_SH_bbb,@function
_ZN9rocsparseL36csrgemm_fill_block_per_row_multipassILj512ELj16ELj2048ELj32Ell21rocsparse_complex_numIdEEEvT4_PKS3_S5_NS_24const_host_device_scalarIT5_EEPKT3_S5_PKS7_SB_S5_SD_S8_SB_S5_SD_SB_PS3_PS7_PS9_21rocsparse_index_base_SH_SH_SH_bbb: ; @_ZN9rocsparseL36csrgemm_fill_block_per_row_multipassILj512ELj16ELj2048ELj32Ell21rocsparse_complex_numIdEEEvT4_PKS3_S5_NS_24const_host_device_scalarIT5_EEPKT3_S5_PKS7_SB_S5_SD_S8_SB_S5_SD_SB_PS3_PS7_PS9_21rocsparse_index_base_SH_SH_SH_bbb
; %bb.0:
	s_load_dword s9, s[6:7], 0xb0
	s_load_dwordx8 s[12:19], s[6:7], 0x8
	s_load_dwordx2 s[2:3], s[4:5], 0x4
	s_load_dwordx4 s[56:59], s[6:7], 0xa0
	s_load_dwordx4 s[20:23], s[6:7], 0x58
	v_and_b32_e32 v1, 0x3ff, v0
	s_waitcnt lgkmcnt(0)
	s_bitcmp1_b32 s9, 0
	s_cselect_b64 s[10:11], -1, 0
	s_bitcmp1_b32 s9, 16
	s_cselect_b64 s[0:1], -1, 0
	s_lshr_b32 s2, s2, 16
	s_mul_i32 s2, s2, s3
	v_bfe_u32 v3, v0, 10, 10
	v_mul_lo_u32 v2, s2, v1
	v_mul_u32_u24_e32 v3, s3, v3
	v_bfe_u32 v0, v0, 20, 10
	v_add3_u32 v0, v2, v3, v0
	s_xor_b64 s[4:5], s[0:1], -1
	v_lshlrev_b32_e32 v2, 3, v0
	v_pk_mov_b32 v[10:11], 0, 0
	v_pk_mov_b32 v[4:5], s[16:17], s[16:17] op_sel:[0,1]
	v_pk_mov_b32 v[6:7], s[20:21], s[20:21] op_sel:[0,1]
	v_add_u32_e32 v3, 8, v2
	s_bitcmp0_b32 s9, 0
	v_pk_mov_b32 v[8:9], v[10:11], v[10:11] op_sel:[0,1]
	v_pk_mov_b32 v[12:13], v[10:11], v[10:11] op_sel:[0,1]
	ds_write2st64_b64 v3, v[6:7], v[4:5] offset0:68 offset1:76
	s_cbranch_scc1 .LBB172_3
; %bb.1:
	s_mov_b64 s[2:3], src_shared_base
	s_and_b64 s[24:25], s[0:1], exec
	v_add_u32_e32 v3, 0x9808, v2
	s_cselect_b32 s2, s3, s17
	v_mov_b32_e32 v4, s16
	v_cndmask_b32_e64 v4, v4, v3, s[0:1]
	v_mov_b32_e32 v5, s2
	flat_load_dwordx2 v[8:9], v[4:5]
	s_andn2_b64 vcc, exec, s[4:5]
	v_pk_mov_b32 v[12:13], s[18:19], s[18:19] op_sel:[0,1]
	s_cbranch_vccnz .LBB172_3
; %bb.2:
	v_pk_mov_b32 v[4:5], s[16:17], s[16:17] op_sel:[0,1]
	flat_load_dwordx2 v[12:13], v[4:5] offset:8
.LBB172_3:
	s_load_dwordx2 s[16:17], s[6:7], 0x28
	s_bitcmp1_b32 s9, 8
	s_cselect_b64 s[64:65], -1, 0
	s_bfe_u32 s9, s9, 0x10008
	s_mov_b64 s[2:3], 0
	s_cmp_eq_u32 s9, 0
	v_pk_mov_b32 v[14:15], v[10:11], v[10:11] op_sel:[0,1]
	s_cbranch_scc1 .LBB172_6
; %bb.4:
	s_mov_b64 s[18:19], src_shared_base
	s_and_b64 s[24:25], s[0:1], exec
	v_add_u32_e32 v2, 0x8808, v2
	s_cselect_b32 s9, s19, s21
	v_mov_b32_e32 v3, s20
	v_cndmask_b32_e64 v2, v3, v2, s[0:1]
	v_mov_b32_e32 v3, s9
	flat_load_dwordx2 v[14:15], v[2:3]
	s_andn2_b64 vcc, exec, s[4:5]
	v_pk_mov_b32 v[10:11], s[22:23], s[22:23] op_sel:[0,1]
	s_cbranch_vccnz .LBB172_6
; %bb.5:
	v_pk_mov_b32 v[2:3], s[20:21], s[20:21] op_sel:[0,1]
	flat_load_dwordx2 v[10:11], v[2:3] offset:8
.LBB172_6:
	s_load_dwordx2 s[0:1], s[12:13], 0x0
	s_mov_b32 s9, 0
	v_cndmask_b32_e64 v2, 0, 1, s[10:11]
	s_waitcnt lgkmcnt(0)
	s_lshl_b64 s[0:1], s[0:1], 3
	s_add_u32 s4, s14, s0
	s_addc_u32 s5, s15, s1
	s_lshl_b64 s[0:1], s[8:9], 3
	s_add_u32 s0, s4, s0
	s_addc_u32 s1, s5, s1
	s_load_dwordx2 s[4:5], s[0:1], 0x0
	v_cmp_ne_u32_e64 s[0:1], 1, v2
	s_andn2_b64 vcc, exec, s[10:11]
	s_cbranch_vccz .LBB172_9
; %bb.7:
	s_and_b64 vcc, exec, s[0:1]
	s_mov_b64 s[66:67], 0
	s_cbranch_vccz .LBB172_10
.LBB172_8:
	s_load_dwordx2 s[68:69], s[6:7], 0x0
	s_waitcnt lgkmcnt(0)
	v_cmp_lt_i64_e64 s[0:1], s[68:69], 1
	s_and_b64 vcc, exec, s[0:1]
	s_cbranch_vccz .LBB172_11
	s_branch .LBB172_65
.LBB172_9:
	s_waitcnt lgkmcnt(0)
	s_lshl_b64 s[2:3], s[4:5], 3
	s_add_u32 s2, s16, s2
	s_addc_u32 s3, s17, s3
	s_load_dwordx2 s[2:3], s[2:3], 0x0
	s_waitcnt lgkmcnt(0)
	s_sub_u32 s2, s2, s56
	s_subb_u32 s3, s3, 0
	s_and_b64 vcc, exec, s[0:1]
	s_mov_b64 s[66:67], 0
	s_cbranch_vccnz .LBB172_8
.LBB172_10:
	s_waitcnt lgkmcnt(0)
	s_lshl_b64 s[0:1], s[4:5], 3
	s_add_u32 s0, s16, s0
	s_addc_u32 s1, s17, s1
	s_load_dwordx2 s[0:1], s[0:1], 0x8
	s_waitcnt lgkmcnt(0)
	s_sub_u32 s66, s0, s56
	s_subb_u32 s67, s1, 0
	s_load_dwordx2 s[68:69], s[6:7], 0x0
	s_waitcnt lgkmcnt(0)
	v_cmp_lt_i64_e64 s[0:1], s[68:69], 1
	s_and_b64 vcc, exec, s[0:1]
	s_cbranch_vccnz .LBB172_65
.LBB172_11:
	s_load_dwordx2 s[70:71], s[6:7], 0x98
	s_load_dwordx4 s[60:63], s[6:7], 0x88
	s_load_dwordx8 s[40:47], s[6:7], 0x68
	s_load_dwordx2 s[38:39], s[6:7], 0x50
	s_load_dwordx8 s[48:55], s[6:7], 0x30
	s_lshl_b64 s[4:5], s[4:5], 3
	v_lshrrev_b32_e32 v2, 4, v1
	s_waitcnt lgkmcnt(0)
	s_add_u32 s0, s46, s4
	s_addc_u32 s1, s47, s5
	s_load_dwordx2 s[0:1], s[0:1], 0x0
	v_mov_b32_e32 v3, 0xa808
	v_lshl_add_u32 v17, v0, 4, v3
	v_mov_b32_e32 v3, s3
	v_add_co_u32_e32 v18, vcc, s2, v2
	s_waitcnt lgkmcnt(0)
	s_sub_u32 s72, s0, s58
	s_subb_u32 s73, s1, 0
	v_addc_co_u32_e32 v19, vcc, 0, v3, vcc
	v_cmp_gt_i64_e32 vcc, s[66:67], v[18:19]
	s_add_u32 s4, s40, s4
	s_addc_u32 s5, s41, s5
	s_and_b64 s[46:47], s[10:11], vcc
	s_add_u32 s87, s52, 8
	s_addc_u32 s88, s53, 0
	s_add_u32 s89, s60, -8
	s_addc_u32 s90, s61, -1
	s_add_u32 s91, s62, -16
	s_addc_u32 s92, s63, -1
                                        ; implicit-def: $vgpr59 : SGPR spill to VGPR lane
	s_add_u32 s93, s38, 8
	v_writelane_b32 v59, s4, 0
	s_addc_u32 s94, s39, 0
	v_writelane_b32 v59, s5, 1
	s_add_u32 s38, s44, 8
	v_writelane_b32 v59, s38, 2
	v_writelane_b32 v59, s40, 3
	;; [unrolled: 1-line block ×5, first 2 shown]
	v_mbcnt_lo_u32_b32 v2, -1, 0
	v_writelane_b32 v59, s44, 7
	v_subrev_co_u32_e64 v48, s[4:5], s59, v1
	v_mbcnt_hi_u32_b32 v2, -1, v2
	v_writelane_b32 v59, s45, 8
	v_subb_co_u32_e64 v49, s[4:5], 0, 0, s[4:5]
	v_sub_u32_e32 v2, 63, v2
	v_writelane_b32 v59, s46, 9
	s_mov_b32 s33, 0
	v_and_b32_e32 v16, 15, v1
	v_mov_b32_e32 v0, 0
	v_lshrrev_b64 v[20:21], v2, -1
	v_lshrrev_b32_e32 v2, 3, v1
	s_movk_i32 s4, 0x1ff
	s_movk_i32 s10, 0x60
	s_movk_i32 s12, 0x80
	s_movk_i32 s14, 0xa0
	s_movk_i32 s16, 0xc0
	s_movk_i32 s18, 0xe0
	s_movk_i32 s20, 0x100
	s_movk_i32 s22, 0x120
	s_movk_i32 s24, 0x140
	s_movk_i32 s26, 0x160
	s_movk_i32 s28, 0x180
	s_movk_i32 s30, 0x1a0
	s_movk_i32 s34, 0x1c0
	s_movk_i32 s36, 0x1e0
	v_writelane_b32 v59, s47, 10
	s_addc_u32 s38, s45, 0
	v_add_co_u32_e32 v53, vcc, s58, v1
	v_mov_b32_e32 v24, 0x800
	v_cmp_eq_u32_e64 s[0:1], 0, v1
	s_mov_b32 s84, s33
	v_cmp_eq_u32_e64 s[2:3], 15, v16
	s_mov_b32 s85, s59
	s_mov_b32 s86, s33
	v_and_b32_e32 v50, 60, v2
	v_cmp_eq_u32_e64 s[4:5], s4, v1
	v_cmp_gt_u32_e64 s[6:7], 32, v1
	v_cmp_gt_u32_e64 s[8:9], 64, v1
	;; [unrolled: 1-line block ×15, first 2 shown]
	v_or_b32_e32 v51, 0xfffffe00, v1
	v_lshlrev_b32_e32 v52, 4, v1
	v_writelane_b32 v59, s38, 11
	v_addc_co_u32_e64 v54, s[38:39], 0, 0, vcc
	s_mov_b64 s[44:45], 0
	v_mov_b32_e32 v25, 0
	v_pk_mov_b32 v[22:23], s[72:73], s[72:73] op_sel:[0,1]
	v_mov_b32_e32 v1, v0
	v_mov_b32_e32 v2, v0
	;; [unrolled: 1-line block ×3, first 2 shown]
	s_movk_i32 s95, 0x5ff
	v_mov_b32_e32 v55, 1
	s_branch .LBB172_13
.LBB172_12:                             ;   in Loop: Header=BB172_13 Depth=1
	s_or_b64 exec, exec, s[38:39]
	ds_read_b64 v[4:5], v0 offset:34816
	s_waitcnt lgkmcnt(0)
	s_barrier
	v_add_co_u32_e32 v24, vcc, 0x800, v4
	v_addc_co_u32_e32 v25, vcc, 0, v5, vcc
	v_cmp_le_i64_e32 vcc, s[68:69], v[4:5]
	v_readfirstlane_b32 s44, v4
	v_readfirstlane_b32 s45, v5
	s_cbranch_vccnz .LBB172_65
.LBB172_13:                             ; =>This Loop Header: Depth=1
                                        ;     Child Loop BB172_14 Depth 2
                                        ;     Child Loop BB172_20 Depth 2
                                        ;       Child Loop BB172_28 Depth 3
                                        ;     Child Loop BB172_44 Depth 2
                                        ;     Child Loop BB172_56 Depth 2
	;; [unrolled: 1-line block ×3, first 2 shown]
	s_mov_b64 s[38:39], 0
	v_mov_b32_e32 v4, v52
	v_mov_b32_e32 v5, v51
.LBB172_14:                             ;   Parent Loop BB172_13 Depth=1
                                        ; =>  This Inner Loop Header: Depth=2
	ds_write_b8 v5, v0 offset:33280
	ds_write_b128 v4, v[0:3]
	v_add_u32_e32 v5, 0x200, v5
	v_cmp_lt_u32_e32 vcc, s95, v5
	s_or_b64 s[38:39], vcc, s[38:39]
	v_add_u32_e32 v4, 0x2000, v4
	s_andn2_b64 exec, exec, s[38:39]
	s_cbranch_execnz .LBB172_14
; %bb.15:                               ;   in Loop: Header=BB172_13 Depth=1
	s_or_b64 exec, exec, s[38:39]
	s_and_saveexec_b64 s[38:39], s[0:1]
	s_cbranch_execz .LBB172_17
; %bb.16:                               ;   in Loop: Header=BB172_13 Depth=1
	v_pk_mov_b32 v[4:5], s[68:69], s[68:69] op_sel:[0,1]
	ds_write_b64 v0, v[4:5] offset:34816
.LBB172_17:                             ;   in Loop: Header=BB172_13 Depth=1
	s_or_b64 exec, exec, s[38:39]
	v_pk_mov_b32 v[26:27], s[68:69], s[68:69] op_sel:[0,1]
	s_waitcnt lgkmcnt(0)
	s_barrier
	s_and_saveexec_b64 s[58:59], s[46:47]
	s_cbranch_execz .LBB172_40
; %bb.18:                               ;   in Loop: Header=BB172_13 Depth=1
	s_cmp_lg_u64 s[44:45], 0
	s_mov_b64 s[60:61], 0
	s_cselect_b64 s[62:63], -1, 0
	v_pk_mov_b32 v[26:27], s[68:69], s[68:69] op_sel:[0,1]
	v_pk_mov_b32 v[28:29], v[18:19], v[18:19] op_sel:[0,1]
	s_branch .LBB172_20
.LBB172_19:                             ;   in Loop: Header=BB172_20 Depth=2
	s_or_b64 exec, exec, s[38:39]
	v_add_co_u32_e32 v28, vcc, 32, v28
	v_addc_co_u32_e32 v29, vcc, 0, v29, vcc
	v_cmp_le_i64_e32 vcc, s[66:67], v[28:29]
	s_or_b64 s[60:61], vcc, s[60:61]
	s_andn2_b64 exec, exec, s[60:61]
	s_cbranch_execz .LBB172_39
.LBB172_20:                             ;   Parent Loop BB172_13 Depth=1
                                        ; =>  This Loop Header: Depth=2
                                        ;       Child Loop BB172_28 Depth 3
	v_lshlrev_b64 v[30:31], 3, v[28:29]
	v_mov_b32_e32 v5, s49
	v_add_co_u32_e32 v4, vcc, s48, v30
	v_addc_co_u32_e32 v5, vcc, v5, v31, vcc
	global_load_dwordx2 v[34:35], v[4:5], off
	v_lshlrev_b64 v[4:5], 4, v[28:29]
	v_mov_b32_e32 v6, s51
	v_add_co_u32_e32 v4, vcc, s50, v4
	v_addc_co_u32_e32 v5, vcc, v6, v5, vcc
	global_load_dwordx4 v[4:7], v[4:5], off
	s_and_b64 vcc, exec, s[62:63]
	s_cbranch_vccz .LBB172_22
; %bb.21:                               ;   in Loop: Header=BB172_20 Depth=2
	v_mov_b32_e32 v33, s71
	v_add_co_u32_e32 v32, vcc, s70, v30
	v_addc_co_u32_e32 v33, vcc, v33, v31, vcc
	global_load_dwordx2 v[32:33], v[32:33], off
	s_mov_b64 s[38:39], 0
	s_branch .LBB172_23
.LBB172_22:                             ;   in Loop: Header=BB172_20 Depth=2
	s_mov_b64 s[38:39], -1
                                        ; implicit-def: $vgpr32_vgpr33
.LBB172_23:                             ;   in Loop: Header=BB172_20 Depth=2
	v_mov_b32_e32 v36, s84
	s_waitcnt vmcnt(0)
	v_subrev_co_u32_e32 v34, vcc, s56, v34
	v_subb_co_u32_e32 v35, vcc, v35, v36, vcc
	s_andn2_b64 vcc, exec, s[38:39]
	v_lshlrev_b64 v[34:35], 3, v[34:35]
	s_cbranch_vccnz .LBB172_25
; %bb.24:                               ;   in Loop: Header=BB172_20 Depth=2
	v_mov_b32_e32 v33, s53
	v_add_co_u32_e32 v32, vcc, s52, v34
	v_addc_co_u32_e32 v33, vcc, v33, v35, vcc
	global_load_dwordx2 v[32:33], v[32:33], off
	v_mov_b32_e32 v36, s33
	s_waitcnt vmcnt(0)
	v_subrev_co_u32_e32 v32, vcc, s57, v32
	v_subb_co_u32_e32 v33, vcc, v33, v36, vcc
.LBB172_25:                             ;   in Loop: Header=BB172_20 Depth=2
	v_mov_b32_e32 v36, s88
	v_add_co_u32_e32 v34, vcc, s87, v34
	v_addc_co_u32_e32 v35, vcc, v36, v35, vcc
	global_load_dwordx2 v[34:35], v[34:35], off
	v_mov_b32_e32 v36, s33
	s_waitcnt vmcnt(0)
	v_subrev_co_u32_e32 v34, vcc, s57, v34
	v_subb_co_u32_e32 v35, vcc, v35, v36, vcc
	v_add_co_u32_e32 v32, vcc, v32, v16
	v_addc_co_u32_e32 v33, vcc, 0, v33, vcc
	v_cmp_lt_i64_e32 vcc, v[32:33], v[34:35]
	s_and_saveexec_b64 s[72:73], vcc
	s_cbranch_execz .LBB172_37
; %bb.26:                               ;   in Loop: Header=BB172_20 Depth=2
	v_mul_f64 v[36:37], v[6:7], -v[12:13]
	v_mul_f64 v[6:7], v[8:9], v[6:7]
	v_fmac_f64_e32 v[36:37], v[8:9], v[4:5]
	v_fmac_f64_e32 v[6:7], v[12:13], v[4:5]
	v_lshlrev_b64 v[4:5], 3, v[32:33]
	v_mov_b32_e32 v38, s55
	v_add_co_u32_e32 v4, vcc, s54, v4
	v_addc_co_u32_e32 v5, vcc, v38, v5, vcc
	v_lshlrev_b64 v[38:39], 4, v[32:33]
	v_mov_b32_e32 v40, s94
	v_add_co_u32_e32 v38, vcc, s93, v38
	v_addc_co_u32_e32 v39, vcc, v40, v39, vcc
	s_mov_b64 s[76:77], 0
	v_pk_mov_b32 v[42:43], v[32:33], v[32:33] op_sel:[0,1]
                                        ; implicit-def: $sgpr74_sgpr75
                                        ; implicit-def: $sgpr78_sgpr79
	s_branch .LBB172_28
.LBB172_27:                             ;   in Loop: Header=BB172_28 Depth=3
	s_or_b64 exec, exec, s[80:81]
	s_and_b64 s[38:39], exec, s[82:83]
	s_or_b64 s[76:77], s[38:39], s[76:77]
	s_andn2_b64 s[38:39], s[74:75], exec
	s_and_b64 s[40:41], s[78:79], exec
	s_or_b64 s[74:75], s[38:39], s[40:41]
	v_pk_mov_b32 v[42:43], v[44:45], v[44:45] op_sel:[0,1]
	s_andn2_b64 exec, exec, s[76:77]
	s_cbranch_execz .LBB172_34
.LBB172_28:                             ;   Parent Loop BB172_13 Depth=1
                                        ;     Parent Loop BB172_20 Depth=2
                                        ; =>    This Inner Loop Header: Depth=3
	global_load_dwordx2 v[40:41], v[4:5], off
	v_mov_b32_e32 v44, s33
	s_waitcnt vmcnt(0)
	v_subrev_co_u32_e32 v40, vcc, s57, v40
	v_subb_co_u32_e32 v41, vcc, v41, v44, vcc
	v_cmp_lt_i64_e32 vcc, v[40:41], v[24:25]
	v_cmp_gt_i64_e64 s[38:39], s[44:45], v[40:41]
	s_xor_b64 s[80:81], vcc, -1
	s_or_b64 s[82:83], s[38:39], s[80:81]
	s_mov_b64 s[38:39], 0
                                        ; implicit-def: $sgpr80_sgpr81
	s_and_saveexec_b64 s[42:43], s[82:83]
	s_xor_b64 s[82:83], exec, s[42:43]
; %bb.29:                               ;   in Loop: Header=BB172_28 Depth=3
	s_mov_b64 s[80:81], -1
	s_and_b64 s[38:39], vcc, exec
; %bb.30:                               ;   in Loop: Header=BB172_28 Depth=3
	s_andn2_saveexec_b64 s[82:83], s[82:83]
	s_cbranch_execz .LBB172_32
; %bb.31:                               ;   in Loop: Header=BB172_28 Depth=3
	global_load_dwordx4 v[44:47], v[38:39], off offset:-8
	v_subrev_u32_e32 v56, s44, v40
	ds_write_b8 v56, v55 offset:32768
	v_lshlrev_b32_e32 v58, 4, v56
	s_or_b64 s[38:39], s[38:39], exec
	s_waitcnt vmcnt(0)
	v_mul_f64 v[56:57], v[46:47], -v[6:7]
	v_mul_f64 v[46:47], v[36:37], v[46:47]
	v_fmac_f64_e32 v[56:57], v[36:37], v[44:45]
	v_fmac_f64_e32 v[46:47], v[6:7], v[44:45]
	ds_add_f64 v58, v[56:57]
	ds_add_f64 v58, v[46:47] offset:8
.LBB172_32:                             ;   in Loop: Header=BB172_28 Depth=3
	s_or_b64 exec, exec, s[82:83]
	s_andn2_b64 s[40:41], s[78:79], exec
	s_and_b64 s[42:43], s[80:81], exec
	s_mov_b64 s[82:83], -1
	s_or_b64 s[78:79], s[40:41], s[42:43]
	v_pk_mov_b32 v[46:47], v[42:43], v[42:43] op_sel:[0,1]
                                        ; implicit-def: $vgpr44_vgpr45
	s_and_saveexec_b64 s[80:81], s[38:39]
	s_cbranch_execz .LBB172_27
; %bb.33:                               ;   in Loop: Header=BB172_28 Depth=3
	v_add_co_u32_e32 v44, vcc, 16, v42
	v_addc_co_u32_e32 v45, vcc, 0, v43, vcc
	v_add_co_u32_e32 v4, vcc, 0x80, v4
	v_addc_co_u32_e32 v5, vcc, 0, v5, vcc
	v_add_co_u32_e32 v38, vcc, 0x100, v38
	v_addc_co_u32_e32 v39, vcc, 0, v39, vcc
	v_cmp_ge_i64_e32 vcc, v[44:45], v[34:35]
	s_andn2_b64 s[78:79], s[78:79], exec
	s_orn2_b64 s[82:83], vcc, exec
	v_pk_mov_b32 v[46:47], v[42:43], v[42:43] op_sel:[0,1]
	s_branch .LBB172_27
.LBB172_34:                             ;   in Loop: Header=BB172_20 Depth=2
	s_or_b64 exec, exec, s[76:77]
	s_and_saveexec_b64 s[38:39], s[74:75]
	s_xor_b64 s[38:39], exec, s[38:39]
; %bb.35:                               ;   in Loop: Header=BB172_20 Depth=2
	v_cmp_lt_i64_e32 vcc, v[40:41], v[26:27]
	v_cndmask_b32_e32 v27, v27, v41, vcc
	v_cndmask_b32_e32 v26, v26, v40, vcc
	v_pk_mov_b32 v[32:33], v[46:47], v[46:47] op_sel:[0,1]
; %bb.36:                               ;   in Loop: Header=BB172_20 Depth=2
	s_or_b64 exec, exec, s[38:39]
.LBB172_37:                             ;   in Loop: Header=BB172_20 Depth=2
	s_or_b64 exec, exec, s[72:73]
	v_mov_b32_dpp v4, v32 row_shr:1 row_mask:0xf bank_mask:0xf
	v_mov_b32_dpp v5, v33 row_shr:1 row_mask:0xf bank_mask:0xf
	v_cmp_lt_i64_e32 vcc, v[4:5], v[32:33]
	v_cndmask_b32_e32 v5, v33, v5, vcc
	v_cndmask_b32_e32 v4, v32, v4, vcc
	s_nop 0
	v_mov_b32_dpp v7, v5 row_shr:2 row_mask:0xf bank_mask:0xf
	v_mov_b32_dpp v6, v4 row_shr:2 row_mask:0xf bank_mask:0xf
	v_cmp_lt_i64_e32 vcc, v[6:7], v[4:5]
	v_cndmask_b32_e32 v5, v5, v7, vcc
	v_cndmask_b32_e32 v4, v4, v6, vcc
	s_nop 0
	;; [unrolled: 6-line block ×3, first 2 shown]
	v_mov_b32_dpp v7, v5 row_shr:8 row_mask:0xf bank_mask:0xc
	v_mov_b32_dpp v6, v4 row_shr:8 row_mask:0xf bank_mask:0xc
	s_and_saveexec_b64 s[38:39], s[2:3]
	s_cbranch_execz .LBB172_19
; %bb.38:                               ;   in Loop: Header=BB172_20 Depth=2
	v_cmp_lt_i64_e32 vcc, v[6:7], v[4:5]
	v_cndmask_b32_e32 v5, v5, v7, vcc
	v_cndmask_b32_e32 v4, v4, v6, vcc
	v_mov_b32_e32 v7, s71
	v_add_co_u32_e32 v6, vcc, s70, v30
	v_addc_co_u32_e32 v7, vcc, v7, v31, vcc
	global_store_dwordx2 v[6:7], v[4:5], off
	s_branch .LBB172_19
.LBB172_39:                             ;   in Loop: Header=BB172_13 Depth=1
	s_or_b64 exec, exec, s[60:61]
.LBB172_40:                             ;   in Loop: Header=BB172_13 Depth=1
	s_or_b64 exec, exec, s[58:59]
	s_andn2_b64 vcc, exec, s[64:65]
	s_cbranch_vccnz .LBB172_54
; %bb.41:                               ;   in Loop: Header=BB172_13 Depth=1
	v_readlane_b32 s38, v59, 0
	v_readlane_b32 s39, v59, 1
	s_load_dwordx4 s[72:75], s[38:39], 0x0
	s_waitcnt lgkmcnt(0)
	s_sub_u32 s60, s74, s85
	v_mov_b32_e32 v5, s73
	v_add_co_u32_e32 v4, vcc, s72, v48
	s_subb_u32 s61, s75, 0
	v_addc_co_u32_e32 v5, vcc, v5, v49, vcc
	v_cmp_gt_i64_e32 vcc, s[60:61], v[4:5]
	s_and_saveexec_b64 s[58:59], vcc
	s_cbranch_execz .LBB172_53
; %bb.42:                               ;   in Loop: Header=BB172_13 Depth=1
	v_readlane_b32 s72, v59, 3
	v_readlane_b32 s74, v59, 5
	;; [unrolled: 1-line block ×3, first 2 shown]
	v_lshlrev_b64 v[6:7], 3, v[4:5]
	s_mov_b64 s[38:39], s[74:75]
	v_mov_b32_e32 v28, s39
	v_add_co_u32_e32 v6, vcc, s38, v6
	v_readlane_b32 s38, v59, 11
	v_addc_co_u32_e32 v7, vcc, v28, v7, vcc
	v_lshlrev_b64 v[28:29], 4, v[4:5]
	v_mov_b32_e32 v30, s38
	v_readlane_b32 s38, v59, 2
	v_add_co_u32_e32 v28, vcc, s38, v28
	v_readlane_b32 s73, v59, 4
	v_addc_co_u32_e32 v29, vcc, v30, v29, vcc
	s_mov_b64 s[62:63], 0
	v_readlane_b32 s76, v59, 7
	v_readlane_b32 s77, v59, 8
	;; [unrolled: 1-line block ×4, first 2 shown]
                                        ; implicit-def: $sgpr72_sgpr73
                                        ; implicit-def: $sgpr74_sgpr75
	s_branch .LBB172_44
.LBB172_43:                             ;   in Loop: Header=BB172_44 Depth=2
	s_or_b64 exec, exec, s[76:77]
	s_and_b64 s[38:39], exec, s[78:79]
	s_or_b64 s[62:63], s[38:39], s[62:63]
	s_andn2_b64 s[38:39], s[72:73], exec
	s_and_b64 s[40:41], s[74:75], exec
	s_or_b64 s[72:73], s[38:39], s[40:41]
	s_andn2_b64 exec, exec, s[62:63]
	s_cbranch_execz .LBB172_50
.LBB172_44:                             ;   Parent Loop BB172_13 Depth=1
                                        ; =>  This Inner Loop Header: Depth=2
	global_load_dwordx2 v[30:31], v[6:7], off
	v_mov_b32_e32 v32, s86
                                        ; implicit-def: $sgpr76_sgpr77
	s_waitcnt vmcnt(0)
	v_subrev_co_u32_e32 v30, vcc, s85, v30
	v_subb_co_u32_e32 v31, vcc, v31, v32, vcc
	v_cmp_lt_i64_e32 vcc, v[30:31], v[24:25]
	v_cmp_gt_i64_e64 s[38:39], s[44:45], v[30:31]
	s_xor_b64 s[40:41], vcc, -1
	s_or_b64 s[40:41], s[38:39], s[40:41]
	s_mov_b64 s[38:39], 0
	s_and_saveexec_b64 s[42:43], s[40:41]
	s_xor_b64 s[78:79], exec, s[42:43]
; %bb.45:                               ;   in Loop: Header=BB172_44 Depth=2
	s_mov_b64 s[76:77], -1
	s_and_b64 s[38:39], vcc, exec
; %bb.46:                               ;   in Loop: Header=BB172_44 Depth=2
	s_andn2_saveexec_b64 s[78:79], s[78:79]
	s_cbranch_execz .LBB172_48
; %bb.47:                               ;   in Loop: Header=BB172_44 Depth=2
	global_load_dwordx4 v[32:35], v[28:29], off offset:-8
	v_subrev_u32_e32 v36, s44, v30
	ds_write_b8 v36, v55 offset:32768
	v_lshlrev_b32_e32 v38, 4, v36
	s_or_b64 s[38:39], s[38:39], exec
	s_waitcnt vmcnt(0)
	v_mul_f64 v[36:37], v[34:35], -v[10:11]
	v_mul_f64 v[34:35], v[14:15], v[34:35]
	v_fmac_f64_e32 v[36:37], v[14:15], v[32:33]
	v_fmac_f64_e32 v[34:35], v[10:11], v[32:33]
	ds_add_f64 v38, v[36:37]
	ds_add_f64 v38, v[34:35] offset:8
.LBB172_48:                             ;   in Loop: Header=BB172_44 Depth=2
	s_or_b64 exec, exec, s[78:79]
	s_andn2_b64 s[40:41], s[74:75], exec
	s_and_b64 s[42:43], s[76:77], exec
	s_mov_b64 s[78:79], -1
	s_or_b64 s[74:75], s[40:41], s[42:43]
	s_and_saveexec_b64 s[76:77], s[38:39]
	s_cbranch_execz .LBB172_43
; %bb.49:                               ;   in Loop: Header=BB172_44 Depth=2
	v_add_co_u32_e32 v4, vcc, 0x200, v4
	v_addc_co_u32_e32 v5, vcc, 0, v5, vcc
	v_add_co_u32_e32 v6, vcc, 0x1000, v6
	v_addc_co_u32_e32 v7, vcc, 0, v7, vcc
	;; [unrolled: 2-line block ×3, first 2 shown]
	v_cmp_le_i64_e32 vcc, s[60:61], v[4:5]
	s_andn2_b64 s[74:75], s[74:75], exec
	s_orn2_b64 s[78:79], vcc, exec
	s_branch .LBB172_43
.LBB172_50:                             ;   in Loop: Header=BB172_13 Depth=1
	s_or_b64 exec, exec, s[62:63]
	s_and_saveexec_b64 s[38:39], s[72:73]
	s_xor_b64 s[38:39], exec, s[38:39]
; %bb.51:                               ;   in Loop: Header=BB172_13 Depth=1
	v_cmp_lt_i64_e32 vcc, v[30:31], v[26:27]
	v_cndmask_b32_e32 v27, v27, v31, vcc
	v_cndmask_b32_e32 v26, v26, v30, vcc
; %bb.52:                               ;   in Loop: Header=BB172_13 Depth=1
	s_or_b64 exec, exec, s[38:39]
.LBB172_53:                             ;   in Loop: Header=BB172_13 Depth=1
	s_or_b64 exec, exec, s[58:59]
.LBB172_54:                             ;   in Loop: Header=BB172_13 Depth=1
	v_mov_b32_dpp v4, v26 row_shr:1 row_mask:0xf bank_mask:0xf
	v_mov_b32_dpp v5, v27 row_shr:1 row_mask:0xf bank_mask:0xf
	v_cmp_lt_i64_e32 vcc, v[4:5], v[26:27]
	v_cndmask_b32_e32 v5, v27, v5, vcc
	v_cndmask_b32_e32 v4, v26, v4, vcc
	s_nop 0
	v_mov_b32_dpp v7, v5 row_shr:2 row_mask:0xf bank_mask:0xf
	v_mov_b32_dpp v6, v4 row_shr:2 row_mask:0xf bank_mask:0xf
	v_cmp_lt_i64_e32 vcc, v[6:7], v[4:5]
	v_cndmask_b32_e32 v5, v5, v7, vcc
	v_cndmask_b32_e32 v4, v4, v6, vcc
	s_nop 0
	v_mov_b32_dpp v7, v5 row_shr:4 row_mask:0xf bank_mask:0xe
	v_mov_b32_dpp v6, v4 row_shr:4 row_mask:0xf bank_mask:0xe
	v_cmp_lt_i64_e32 vcc, v[6:7], v[4:5]
	v_cndmask_b32_e32 v5, v5, v7, vcc
	v_cndmask_b32_e32 v4, v4, v6, vcc
	s_nop 0
	v_mov_b32_dpp v7, v5 row_shr:8 row_mask:0xf bank_mask:0xc
	v_mov_b32_dpp v6, v4 row_shr:8 row_mask:0xf bank_mask:0xc
	s_and_saveexec_b64 s[38:39], s[2:3]
	s_cbranch_execz .LBB172_59
; %bb.55:                               ;   in Loop: Header=BB172_13 Depth=1
	v_cmp_lt_i64_e32 vcc, v[6:7], v[4:5]
	s_mov_b64 s[60:61], exec
	v_cndmask_b32_e32 v5, v5, v7, vcc
	v_cndmask_b32_e32 v4, v4, v6, vcc
	s_mov_b64 s[58:59], -1
.LBB172_56:                             ;   Parent Loop BB172_13 Depth=1
                                        ; =>  This Inner Loop Header: Depth=2
	s_ff1_i32_b64 s42, s[60:61]
	v_readlane_b32 s43, v5, s42
	v_readlane_b32 s62, v4, s42
	v_mov_b32_e32 v6, s62
	v_mov_b32_e32 v7, s43
	v_cmp_lt_u64_e32 vcc, s[58:59], v[6:7]
	s_and_b64 s[40:41], vcc, exec
	s_cselect_b32 s59, s59, s43
	s_cselect_b32 s58, s58, s62
	s_lshl_b64 s[40:41], 1, s42
	s_andn2_b64 s[60:61], s[60:61], s[40:41]
	s_cmp_lg_u64 s[60:61], 0
	s_cbranch_scc1 .LBB172_56
; %bb.57:                               ;   in Loop: Header=BB172_13 Depth=1
	v_mbcnt_lo_u32_b32 v4, exec_lo, 0
	v_mbcnt_hi_u32_b32 v4, exec_hi, v4
	v_cmp_eq_u32_e32 vcc, 0, v4
	s_and_saveexec_b64 s[40:41], vcc
	s_xor_b64 s[40:41], exec, s[40:41]
	s_cbranch_execz .LBB172_59
; %bb.58:                               ;   in Loop: Header=BB172_13 Depth=1
	v_pk_mov_b32 v[4:5], s[58:59], s[58:59] op_sel:[0,1]
	ds_min_u64 v0, v[4:5] offset:34816
.LBB172_59:                             ;   in Loop: Header=BB172_13 Depth=1
	s_or_b64 exec, exec, s[38:39]
	v_mov_b32_e32 v5, s45
	v_add_co_u32_e32 v4, vcc, s44, v53
	v_addc_co_u32_e32 v5, vcc, v54, v5, vcc
	s_mov_b64 s[38:39], 0
	v_mov_b32_e32 v6, v52
	v_mov_b32_e32 v7, v51
	s_waitcnt lgkmcnt(0)
	s_barrier
	s_branch .LBB172_61
.LBB172_60:                             ;   in Loop: Header=BB172_61 Depth=2
	s_or_b64 exec, exec, s[44:45]
	s_waitcnt lgkmcnt(0)
	s_barrier
	ds_read_b32 v24, v0 offset:60
	v_add_u32_e32 v7, 0x200, v7
	v_add_u32_e32 v6, 0x2000, v6
	s_waitcnt lgkmcnt(0)
	v_ashrrev_i32_e32 v25, 31, v24
	v_add_co_u32_e32 v22, vcc, v22, v24
	v_addc_co_u32_e32 v23, vcc, v23, v25, vcc
	v_add_co_u32_e32 v4, vcc, 0x200, v4
	v_addc_co_u32_e32 v5, vcc, 0, v5, vcc
	v_cmp_lt_u32_e32 vcc, s95, v7
	s_or_b64 s[38:39], vcc, s[38:39]
	s_andn2_b64 exec, exec, s[38:39]
	s_cbranch_execz .LBB172_12
.LBB172_61:                             ;   Parent Loop BB172_13 Depth=1
                                        ; =>  This Inner Loop Header: Depth=2
	ds_read2_b64 v[24:27], v6 offset1:1
	ds_read_u8 v39, v7 offset:33280
	s_waitcnt lgkmcnt(0)
	ds_write2_b64 v17, v[24:25], v[26:27] offset1:1
	v_cmp_ne_u16_e32 vcc, 0, v39
	s_bcnt1_i32_b64 s40, vcc
	v_and_b32_e32 v24, vcc_lo, v20
	v_bcnt_u32_b32 v29, v24, 0
	v_mov_b32_e32 v24, s40
	s_waitcnt lgkmcnt(0)
	s_barrier
	ds_write_b32 v50, v24
	s_waitcnt lgkmcnt(0)
	s_barrier
	ds_read_b128 v[24:27], v0
	v_and_b32_e32 v28, vcc_hi, v21
	v_bcnt_u32_b32 v40, v28, v29
	ds_read_b128 v[28:31], v0 offset:16
	ds_read_b128 v[32:35], v0 offset:32
	ds_read_b96 v[36:38], v0 offset:48
	s_waitcnt lgkmcnt(0)
	v_cndmask_b32_e64 v24, v24, 0, s[6:7]
	v_add_u32_e32 v24, v24, v40
	v_cndmask_b32_e64 v25, v25, 0, s[8:9]
	v_cndmask_b32_e64 v26, v26, 0, s[10:11]
	v_add3_u32 v24, v24, v25, v26
	v_cndmask_b32_e64 v25, v27, 0, s[12:13]
	v_cndmask_b32_e64 v26, v28, 0, s[14:15]
	v_add3_u32 v24, v24, v25, v26
	;; [unrolled: 3-line block ×7, first 2 shown]
	v_and_b32_e32 v25, 1, v39
	v_cmp_eq_u32_e32 vcc, 1, v25
	s_and_saveexec_b64 s[44:45], vcc
	s_cbranch_execz .LBB172_63
; %bb.62:                               ;   in Loop: Header=BB172_61 Depth=2
	v_ashrrev_i32_e32 v25, 31, v24
	v_add_co_u32_e32 v26, vcc, v22, v24
	v_addc_co_u32_e32 v27, vcc, v23, v25, vcc
	v_lshlrev_b64 v[28:29], 3, v[26:27]
	v_mov_b32_e32 v25, s90
	v_add_co_u32_e32 v28, vcc, s89, v28
	v_addc_co_u32_e32 v29, vcc, v25, v29, vcc
	global_store_dwordx2 v[28:29], v[4:5], off
	v_lshlrev_b64 v[30:31], 4, v[26:27]
	ds_read2_b64 v[26:29], v17 offset1:1
	v_mov_b32_e32 v25, s92
	v_add_co_u32_e32 v30, vcc, s91, v30
	v_addc_co_u32_e32 v31, vcc, v25, v31, vcc
	s_waitcnt lgkmcnt(0)
	global_store_dwordx4 v[30:31], v[26:29], off
.LBB172_63:                             ;   in Loop: Header=BB172_61 Depth=2
	s_or_b64 exec, exec, s[44:45]
	s_and_saveexec_b64 s[44:45], s[4:5]
	s_cbranch_execz .LBB172_60
; %bb.64:                               ;   in Loop: Header=BB172_61 Depth=2
	ds_write_b32 v0, v24 offset:60
	s_branch .LBB172_60
.LBB172_65:
	s_endpgm
	.section	.rodata,"a",@progbits
	.p2align	6, 0x0
	.amdhsa_kernel _ZN9rocsparseL36csrgemm_fill_block_per_row_multipassILj512ELj16ELj2048ELj32Ell21rocsparse_complex_numIdEEEvT4_PKS3_S5_NS_24const_host_device_scalarIT5_EEPKT3_S5_PKS7_SB_S5_SD_S8_SB_S5_SD_SB_PS3_PS7_PS9_21rocsparse_index_base_SH_SH_SH_bbb
		.amdhsa_group_segment_fixed_size 51208
		.amdhsa_private_segment_fixed_size 0
		.amdhsa_kernarg_size 180
		.amdhsa_user_sgpr_count 8
		.amdhsa_user_sgpr_private_segment_buffer 1
		.amdhsa_user_sgpr_dispatch_ptr 1
		.amdhsa_user_sgpr_queue_ptr 0
		.amdhsa_user_sgpr_kernarg_segment_ptr 1
		.amdhsa_user_sgpr_dispatch_id 0
		.amdhsa_user_sgpr_flat_scratch_init 0
		.amdhsa_user_sgpr_kernarg_preload_length 0
		.amdhsa_user_sgpr_kernarg_preload_offset 0
		.amdhsa_user_sgpr_private_segment_size 0
		.amdhsa_uses_dynamic_stack 0
		.amdhsa_system_sgpr_private_segment_wavefront_offset 0
		.amdhsa_system_sgpr_workgroup_id_x 1
		.amdhsa_system_sgpr_workgroup_id_y 0
		.amdhsa_system_sgpr_workgroup_id_z 0
		.amdhsa_system_sgpr_workgroup_info 0
		.amdhsa_system_vgpr_workitem_id 2
		.amdhsa_next_free_vgpr 60
		.amdhsa_next_free_sgpr 96
		.amdhsa_accum_offset 60
		.amdhsa_reserve_vcc 1
		.amdhsa_reserve_flat_scratch 0
		.amdhsa_float_round_mode_32 0
		.amdhsa_float_round_mode_16_64 0
		.amdhsa_float_denorm_mode_32 3
		.amdhsa_float_denorm_mode_16_64 3
		.amdhsa_dx10_clamp 1
		.amdhsa_ieee_mode 1
		.amdhsa_fp16_overflow 0
		.amdhsa_tg_split 0
		.amdhsa_exception_fp_ieee_invalid_op 0
		.amdhsa_exception_fp_denorm_src 0
		.amdhsa_exception_fp_ieee_div_zero 0
		.amdhsa_exception_fp_ieee_overflow 0
		.amdhsa_exception_fp_ieee_underflow 0
		.amdhsa_exception_fp_ieee_inexact 0
		.amdhsa_exception_int_div_zero 0
	.end_amdhsa_kernel
	.section	.text._ZN9rocsparseL36csrgemm_fill_block_per_row_multipassILj512ELj16ELj2048ELj32Ell21rocsparse_complex_numIdEEEvT4_PKS3_S5_NS_24const_host_device_scalarIT5_EEPKT3_S5_PKS7_SB_S5_SD_S8_SB_S5_SD_SB_PS3_PS7_PS9_21rocsparse_index_base_SH_SH_SH_bbb,"axG",@progbits,_ZN9rocsparseL36csrgemm_fill_block_per_row_multipassILj512ELj16ELj2048ELj32Ell21rocsparse_complex_numIdEEEvT4_PKS3_S5_NS_24const_host_device_scalarIT5_EEPKT3_S5_PKS7_SB_S5_SD_S8_SB_S5_SD_SB_PS3_PS7_PS9_21rocsparse_index_base_SH_SH_SH_bbb,comdat
.Lfunc_end172:
	.size	_ZN9rocsparseL36csrgemm_fill_block_per_row_multipassILj512ELj16ELj2048ELj32Ell21rocsparse_complex_numIdEEEvT4_PKS3_S5_NS_24const_host_device_scalarIT5_EEPKT3_S5_PKS7_SB_S5_SD_S8_SB_S5_SD_SB_PS3_PS7_PS9_21rocsparse_index_base_SH_SH_SH_bbb, .Lfunc_end172-_ZN9rocsparseL36csrgemm_fill_block_per_row_multipassILj512ELj16ELj2048ELj32Ell21rocsparse_complex_numIdEEEvT4_PKS3_S5_NS_24const_host_device_scalarIT5_EEPKT3_S5_PKS7_SB_S5_SD_S8_SB_S5_SD_SB_PS3_PS7_PS9_21rocsparse_index_base_SH_SH_SH_bbb
                                        ; -- End function
	.section	.AMDGPU.csdata,"",@progbits
; Kernel info:
; codeLenInByte = 3500
; NumSgprs: 100
; NumVgprs: 60
; NumAgprs: 0
; TotalNumVgprs: 60
; ScratchSize: 0
; MemoryBound: 0
; FloatMode: 240
; IeeeMode: 1
; LDSByteSize: 51208 bytes/workgroup (compile time only)
; SGPRBlocks: 12
; VGPRBlocks: 7
; NumSGPRsForWavesPerEU: 100
; NumVGPRsForWavesPerEU: 60
; AccumOffset: 60
; Occupancy: 2
; WaveLimiterHint : 1
; COMPUTE_PGM_RSRC2:SCRATCH_EN: 0
; COMPUTE_PGM_RSRC2:USER_SGPR: 8
; COMPUTE_PGM_RSRC2:TRAP_HANDLER: 0
; COMPUTE_PGM_RSRC2:TGID_X_EN: 1
; COMPUTE_PGM_RSRC2:TGID_Y_EN: 0
; COMPUTE_PGM_RSRC2:TGID_Z_EN: 0
; COMPUTE_PGM_RSRC2:TIDIG_COMP_CNT: 2
; COMPUTE_PGM_RSRC3_GFX90A:ACCUM_OFFSET: 14
; COMPUTE_PGM_RSRC3_GFX90A:TG_SPLIT: 0
	.section	.text._ZN9rocsparseL36csrgemm_fill_block_per_row_multipassILj512ELj16ELj2048ELj64Ell21rocsparse_complex_numIdEEEvT4_PKS3_S5_NS_24const_host_device_scalarIT5_EEPKT3_S5_PKS7_SB_S5_SD_S8_SB_S5_SD_SB_PS3_PS7_PS9_21rocsparse_index_base_SH_SH_SH_bbb,"axG",@progbits,_ZN9rocsparseL36csrgemm_fill_block_per_row_multipassILj512ELj16ELj2048ELj64Ell21rocsparse_complex_numIdEEEvT4_PKS3_S5_NS_24const_host_device_scalarIT5_EEPKT3_S5_PKS7_SB_S5_SD_S8_SB_S5_SD_SB_PS3_PS7_PS9_21rocsparse_index_base_SH_SH_SH_bbb,comdat
	.globl	_ZN9rocsparseL36csrgemm_fill_block_per_row_multipassILj512ELj16ELj2048ELj64Ell21rocsparse_complex_numIdEEEvT4_PKS3_S5_NS_24const_host_device_scalarIT5_EEPKT3_S5_PKS7_SB_S5_SD_S8_SB_S5_SD_SB_PS3_PS7_PS9_21rocsparse_index_base_SH_SH_SH_bbb ; -- Begin function _ZN9rocsparseL36csrgemm_fill_block_per_row_multipassILj512ELj16ELj2048ELj64Ell21rocsparse_complex_numIdEEEvT4_PKS3_S5_NS_24const_host_device_scalarIT5_EEPKT3_S5_PKS7_SB_S5_SD_S8_SB_S5_SD_SB_PS3_PS7_PS9_21rocsparse_index_base_SH_SH_SH_bbb
	.p2align	8
	.type	_ZN9rocsparseL36csrgemm_fill_block_per_row_multipassILj512ELj16ELj2048ELj64Ell21rocsparse_complex_numIdEEEvT4_PKS3_S5_NS_24const_host_device_scalarIT5_EEPKT3_S5_PKS7_SB_S5_SD_S8_SB_S5_SD_SB_PS3_PS7_PS9_21rocsparse_index_base_SH_SH_SH_bbb,@function
_ZN9rocsparseL36csrgemm_fill_block_per_row_multipassILj512ELj16ELj2048ELj64Ell21rocsparse_complex_numIdEEEvT4_PKS3_S5_NS_24const_host_device_scalarIT5_EEPKT3_S5_PKS7_SB_S5_SD_S8_SB_S5_SD_SB_PS3_PS7_PS9_21rocsparse_index_base_SH_SH_SH_bbb: ; @_ZN9rocsparseL36csrgemm_fill_block_per_row_multipassILj512ELj16ELj2048ELj64Ell21rocsparse_complex_numIdEEEvT4_PKS3_S5_NS_24const_host_device_scalarIT5_EEPKT3_S5_PKS7_SB_S5_SD_S8_SB_S5_SD_SB_PS3_PS7_PS9_21rocsparse_index_base_SH_SH_SH_bbb
; %bb.0:
	s_load_dword s9, s[6:7], 0xb0
	s_load_dwordx8 s[12:19], s[6:7], 0x8
	s_load_dwordx2 s[2:3], s[4:5], 0x4
	s_load_dwordx4 s[28:31], s[6:7], 0xa0
	s_load_dwordx4 s[20:23], s[6:7], 0x58
	v_and_b32_e32 v1, 0x3ff, v0
	s_waitcnt lgkmcnt(0)
	s_bitcmp1_b32 s9, 0
	s_cselect_b64 s[10:11], -1, 0
	s_bitcmp1_b32 s9, 16
	s_cselect_b64 s[0:1], -1, 0
	s_lshr_b32 s2, s2, 16
	s_mul_i32 s2, s2, s3
	v_bfe_u32 v3, v0, 10, 10
	v_mul_lo_u32 v2, s2, v1
	v_mul_u32_u24_e32 v3, s3, v3
	v_bfe_u32 v0, v0, 20, 10
	v_add3_u32 v0, v2, v3, v0
	s_xor_b64 s[4:5], s[0:1], -1
	v_lshlrev_b32_e32 v2, 3, v0
	v_pk_mov_b32 v[10:11], 0, 0
	v_pk_mov_b32 v[4:5], s[16:17], s[16:17] op_sel:[0,1]
	v_pk_mov_b32 v[6:7], s[20:21], s[20:21] op_sel:[0,1]
	v_add_u32_e32 v3, 8, v2
	s_bitcmp0_b32 s9, 0
	v_pk_mov_b32 v[8:9], v[10:11], v[10:11] op_sel:[0,1]
	v_pk_mov_b32 v[12:13], v[10:11], v[10:11] op_sel:[0,1]
	ds_write2st64_b64 v3, v[6:7], v[4:5] offset0:68 offset1:76
	s_cbranch_scc1 .LBB173_3
; %bb.1:
	s_mov_b64 s[2:3], src_shared_base
	s_and_b64 s[24:25], s[0:1], exec
	v_add_u32_e32 v3, 0x9808, v2
	s_cselect_b32 s2, s3, s17
	v_mov_b32_e32 v4, s16
	v_cndmask_b32_e64 v4, v4, v3, s[0:1]
	v_mov_b32_e32 v5, s2
	flat_load_dwordx2 v[8:9], v[4:5]
	s_andn2_b64 vcc, exec, s[4:5]
	v_pk_mov_b32 v[12:13], s[18:19], s[18:19] op_sel:[0,1]
	s_cbranch_vccnz .LBB173_3
; %bb.2:
	v_pk_mov_b32 v[4:5], s[16:17], s[16:17] op_sel:[0,1]
	flat_load_dwordx2 v[12:13], v[4:5] offset:8
.LBB173_3:
	s_load_dwordx2 s[16:17], s[6:7], 0x28
	s_bitcmp1_b32 s9, 8
	s_cselect_b64 s[34:35], -1, 0
	s_bfe_u32 s9, s9, 0x10008
	s_mov_b64 s[2:3], 0
	s_cmp_eq_u32 s9, 0
	v_pk_mov_b32 v[14:15], v[10:11], v[10:11] op_sel:[0,1]
	s_cbranch_scc1 .LBB173_6
; %bb.4:
	s_mov_b64 s[18:19], src_shared_base
	s_and_b64 s[24:25], s[0:1], exec
	v_add_u32_e32 v2, 0x8808, v2
	s_cselect_b32 s9, s19, s21
	v_mov_b32_e32 v3, s20
	v_cndmask_b32_e64 v2, v3, v2, s[0:1]
	v_mov_b32_e32 v3, s9
	flat_load_dwordx2 v[14:15], v[2:3]
	s_andn2_b64 vcc, exec, s[4:5]
	v_pk_mov_b32 v[10:11], s[22:23], s[22:23] op_sel:[0,1]
	s_cbranch_vccnz .LBB173_6
; %bb.5:
	v_pk_mov_b32 v[2:3], s[20:21], s[20:21] op_sel:[0,1]
	flat_load_dwordx2 v[10:11], v[2:3] offset:8
.LBB173_6:
	s_load_dwordx2 s[0:1], s[12:13], 0x0
	s_mov_b32 s9, 0
	v_cndmask_b32_e64 v2, 0, 1, s[10:11]
	s_waitcnt lgkmcnt(0)
	s_lshl_b64 s[0:1], s[0:1], 3
	s_add_u32 s4, s14, s0
	s_addc_u32 s5, s15, s1
	s_lshl_b64 s[0:1], s[8:9], 3
	s_add_u32 s0, s4, s0
	s_addc_u32 s1, s5, s1
	s_load_dwordx2 s[4:5], s[0:1], 0x0
	v_cmp_ne_u32_e64 s[0:1], 1, v2
	s_andn2_b64 vcc, exec, s[10:11]
	s_cbranch_vccz .LBB173_9
; %bb.7:
	s_and_b64 vcc, exec, s[0:1]
	s_mov_b64 s[48:49], 0
	s_cbranch_vccz .LBB173_10
.LBB173_8:
	s_load_dwordx2 s[50:51], s[6:7], 0x0
	s_waitcnt lgkmcnt(0)
	v_cmp_lt_i64_e64 s[0:1], s[50:51], 1
	s_and_b64 vcc, exec, s[0:1]
	s_cbranch_vccz .LBB173_11
	s_branch .LBB173_65
.LBB173_9:
	s_waitcnt lgkmcnt(0)
	s_lshl_b64 s[2:3], s[4:5], 3
	s_add_u32 s2, s16, s2
	s_addc_u32 s3, s17, s3
	s_load_dwordx2 s[2:3], s[2:3], 0x0
	s_waitcnt lgkmcnt(0)
	s_sub_u32 s2, s2, s28
	s_subb_u32 s3, s3, 0
	s_and_b64 vcc, exec, s[0:1]
	s_mov_b64 s[48:49], 0
	s_cbranch_vccnz .LBB173_8
.LBB173_10:
	s_waitcnt lgkmcnt(0)
	s_lshl_b64 s[0:1], s[4:5], 3
	s_add_u32 s0, s16, s0
	s_addc_u32 s1, s17, s1
	s_load_dwordx2 s[0:1], s[0:1], 0x8
	s_waitcnt lgkmcnt(0)
	s_sub_u32 s48, s0, s28
	s_subb_u32 s49, s1, 0
	s_load_dwordx2 s[50:51], s[6:7], 0x0
	s_waitcnt lgkmcnt(0)
	v_cmp_lt_i64_e64 s[0:1], s[50:51], 1
	s_and_b64 vcc, exec, s[0:1]
	s_cbranch_vccnz .LBB173_65
.LBB173_11:
	s_load_dwordx2 s[52:53], s[6:7], 0x98
	s_load_dwordx4 s[44:47], s[6:7], 0x88
	s_load_dwordx8 s[20:27], s[6:7], 0x68
	s_load_dwordx2 s[56:57], s[6:7], 0x50
	s_load_dwordx8 s[36:43], s[6:7], 0x30
	s_lshl_b64 s[4:5], s[4:5], 3
	v_lshrrev_b32_e32 v2, 4, v1
	s_waitcnt lgkmcnt(0)
	s_add_u32 s0, s26, s4
	s_addc_u32 s1, s27, s5
	s_load_dwordx2 s[0:1], s[0:1], 0x0
	v_mov_b32_e32 v3, 0xa808
	v_lshl_add_u32 v17, v0, 4, v3
	v_mov_b32_e32 v3, s3
	v_add_co_u32_e32 v18, vcc, s2, v2
	s_waitcnt lgkmcnt(0)
	s_sub_u32 s58, s0, s30
	s_subb_u32 s59, s1, 0
	v_addc_co_u32_e32 v19, vcc, 0, v3, vcc
	v_cmp_gt_i64_e32 vcc, s[48:49], v[18:19]
	s_add_u32 s26, s20, s4
	s_addc_u32 s27, s21, s5
	s_and_b64 s[54:55], s[10:11], vcc
	s_add_u32 s71, s40, 8
	s_addc_u32 s72, s41, 0
	s_add_u32 s73, s44, -8
	s_addc_u32 s74, s45, -1
	s_add_u32 s75, s46, -16
	s_addc_u32 s76, s47, -1
	v_subrev_co_u32_e64 v48, s[4:5], s31, v1
	v_mbcnt_lo_u32_b32 v3, -1, 0
	s_add_u32 s77, s56, 8
	v_subb_co_u32_e64 v49, s[4:5], 0, 0, s[4:5]
	v_mbcnt_hi_u32_b32 v3, -1, v3
	s_addc_u32 s78, s57, 0
	s_mov_b32 s33, 0
	v_and_b32_e32 v16, 15, v1
	v_mov_b32_e32 v0, 0
	v_sub_u32_e32 v3, 63, v3
	s_movk_i32 s4, 0x1ff
	s_movk_i32 s8, 0x80
	;; [unrolled: 1-line block ×7, first 2 shown]
	s_add_u32 s79, s24, 8
	v_add_co_u32_e32 v53, vcc, s30, v1
	v_mov_b32_e32 v24, 0x800
	v_cmp_eq_u32_e64 s[0:1], 0, v1
	s_mov_b32 s68, s33
	v_cmp_eq_u32_e64 s[2:3], 15, v16
	s_mov_b32 s69, s31
	s_mov_b32 s70, s33
	v_lshrrev_b64 v[20:21], v3, -1
	v_and_b32_e32 v50, 28, v2
	v_cmp_eq_u32_e64 s[4:5], s4, v1
	v_cmp_gt_u32_e64 s[6:7], 64, v1
	v_cmp_gt_u32_e64 s[8:9], s8, v1
	;; [unrolled: 1-line block ×7, first 2 shown]
	v_or_b32_e32 v51, 0xfffffe00, v1
	v_lshlrev_b32_e32 v52, 4, v1
	s_addc_u32 s80, s25, 0
	v_addc_co_u32_e64 v54, s[20:21], 0, 0, vcc
	s_mov_b64 s[24:25], 0
	v_mov_b32_e32 v25, 0
	v_pk_mov_b32 v[22:23], s[58:59], s[58:59] op_sel:[0,1]
	v_mov_b32_e32 v1, v0
	v_mov_b32_e32 v2, v0
	v_mov_b32_e32 v3, v0
	s_movk_i32 s81, 0x5ff
	v_mov_b32_e32 v55, 1
	s_branch .LBB173_13
.LBB173_12:                             ;   in Loop: Header=BB173_13 Depth=1
	s_or_b64 exec, exec, s[20:21]
	ds_read_b64 v[4:5], v0 offset:34816
	s_waitcnt lgkmcnt(0)
	s_barrier
	v_add_co_u32_e32 v24, vcc, 0x800, v4
	v_addc_co_u32_e32 v25, vcc, 0, v5, vcc
	v_cmp_le_i64_e32 vcc, s[50:51], v[4:5]
	v_readfirstlane_b32 s24, v4
	v_readfirstlane_b32 s25, v5
	s_cbranch_vccnz .LBB173_65
.LBB173_13:                             ; =>This Loop Header: Depth=1
                                        ;     Child Loop BB173_14 Depth 2
                                        ;     Child Loop BB173_20 Depth 2
                                        ;       Child Loop BB173_28 Depth 3
                                        ;     Child Loop BB173_44 Depth 2
                                        ;     Child Loop BB173_56 Depth 2
	;; [unrolled: 1-line block ×3, first 2 shown]
	s_mov_b64 s[20:21], 0
	v_mov_b32_e32 v4, v52
	v_mov_b32_e32 v5, v51
.LBB173_14:                             ;   Parent Loop BB173_13 Depth=1
                                        ; =>  This Inner Loop Header: Depth=2
	ds_write_b8 v5, v0 offset:33280
	ds_write_b128 v4, v[0:3]
	v_add_u32_e32 v5, 0x200, v5
	v_cmp_lt_u32_e32 vcc, s81, v5
	s_or_b64 s[20:21], vcc, s[20:21]
	v_add_u32_e32 v4, 0x2000, v4
	s_andn2_b64 exec, exec, s[20:21]
	s_cbranch_execnz .LBB173_14
; %bb.15:                               ;   in Loop: Header=BB173_13 Depth=1
	s_or_b64 exec, exec, s[20:21]
	s_and_saveexec_b64 s[20:21], s[0:1]
	s_cbranch_execz .LBB173_17
; %bb.16:                               ;   in Loop: Header=BB173_13 Depth=1
	v_pk_mov_b32 v[4:5], s[50:51], s[50:51] op_sel:[0,1]
	ds_write_b64 v0, v[4:5] offset:34816
.LBB173_17:                             ;   in Loop: Header=BB173_13 Depth=1
	s_or_b64 exec, exec, s[20:21]
	v_pk_mov_b32 v[26:27], s[50:51], s[50:51] op_sel:[0,1]
	s_waitcnt lgkmcnt(0)
	s_barrier
	s_and_saveexec_b64 s[30:31], s[54:55]
	s_cbranch_execz .LBB173_40
; %bb.18:                               ;   in Loop: Header=BB173_13 Depth=1
	s_cmp_lg_u64 s[24:25], 0
	s_mov_b64 s[44:45], 0
	s_cselect_b64 s[46:47], -1, 0
	v_pk_mov_b32 v[26:27], s[50:51], s[50:51] op_sel:[0,1]
	v_pk_mov_b32 v[28:29], v[18:19], v[18:19] op_sel:[0,1]
	s_branch .LBB173_20
.LBB173_19:                             ;   in Loop: Header=BB173_20 Depth=2
	s_or_b64 exec, exec, s[20:21]
	v_add_co_u32_e32 v28, vcc, 32, v28
	v_addc_co_u32_e32 v29, vcc, 0, v29, vcc
	v_cmp_le_i64_e32 vcc, s[48:49], v[28:29]
	s_or_b64 s[44:45], vcc, s[44:45]
	s_andn2_b64 exec, exec, s[44:45]
	s_cbranch_execz .LBB173_39
.LBB173_20:                             ;   Parent Loop BB173_13 Depth=1
                                        ; =>  This Loop Header: Depth=2
                                        ;       Child Loop BB173_28 Depth 3
	v_lshlrev_b64 v[30:31], 3, v[28:29]
	v_mov_b32_e32 v5, s37
	v_add_co_u32_e32 v4, vcc, s36, v30
	v_addc_co_u32_e32 v5, vcc, v5, v31, vcc
	global_load_dwordx2 v[34:35], v[4:5], off
	v_lshlrev_b64 v[4:5], 4, v[28:29]
	v_mov_b32_e32 v6, s39
	v_add_co_u32_e32 v4, vcc, s38, v4
	v_addc_co_u32_e32 v5, vcc, v6, v5, vcc
	global_load_dwordx4 v[4:7], v[4:5], off
	s_and_b64 vcc, exec, s[46:47]
	s_cbranch_vccz .LBB173_22
; %bb.21:                               ;   in Loop: Header=BB173_20 Depth=2
	v_mov_b32_e32 v33, s53
	v_add_co_u32_e32 v32, vcc, s52, v30
	v_addc_co_u32_e32 v33, vcc, v33, v31, vcc
	global_load_dwordx2 v[32:33], v[32:33], off
	s_mov_b64 s[20:21], 0
	s_branch .LBB173_23
.LBB173_22:                             ;   in Loop: Header=BB173_20 Depth=2
	s_mov_b64 s[20:21], -1
                                        ; implicit-def: $vgpr32_vgpr33
.LBB173_23:                             ;   in Loop: Header=BB173_20 Depth=2
	v_mov_b32_e32 v36, s68
	s_waitcnt vmcnt(0)
	v_subrev_co_u32_e32 v34, vcc, s28, v34
	v_subb_co_u32_e32 v35, vcc, v35, v36, vcc
	s_andn2_b64 vcc, exec, s[20:21]
	v_lshlrev_b64 v[34:35], 3, v[34:35]
	s_cbranch_vccnz .LBB173_25
; %bb.24:                               ;   in Loop: Header=BB173_20 Depth=2
	v_mov_b32_e32 v33, s41
	v_add_co_u32_e32 v32, vcc, s40, v34
	v_addc_co_u32_e32 v33, vcc, v33, v35, vcc
	global_load_dwordx2 v[32:33], v[32:33], off
	v_mov_b32_e32 v36, s33
	s_waitcnt vmcnt(0)
	v_subrev_co_u32_e32 v32, vcc, s29, v32
	v_subb_co_u32_e32 v33, vcc, v33, v36, vcc
.LBB173_25:                             ;   in Loop: Header=BB173_20 Depth=2
	v_mov_b32_e32 v36, s72
	v_add_co_u32_e32 v34, vcc, s71, v34
	v_addc_co_u32_e32 v35, vcc, v36, v35, vcc
	global_load_dwordx2 v[34:35], v[34:35], off
	v_mov_b32_e32 v36, s33
	s_waitcnt vmcnt(0)
	v_subrev_co_u32_e32 v34, vcc, s29, v34
	v_subb_co_u32_e32 v35, vcc, v35, v36, vcc
	v_add_co_u32_e32 v32, vcc, v32, v16
	v_addc_co_u32_e32 v33, vcc, 0, v33, vcc
	v_cmp_lt_i64_e32 vcc, v[32:33], v[34:35]
	s_and_saveexec_b64 s[56:57], vcc
	s_cbranch_execz .LBB173_37
; %bb.26:                               ;   in Loop: Header=BB173_20 Depth=2
	v_mul_f64 v[36:37], v[6:7], -v[12:13]
	v_mul_f64 v[6:7], v[8:9], v[6:7]
	v_fmac_f64_e32 v[36:37], v[8:9], v[4:5]
	v_fmac_f64_e32 v[6:7], v[12:13], v[4:5]
	v_lshlrev_b64 v[4:5], 3, v[32:33]
	v_mov_b32_e32 v38, s43
	v_add_co_u32_e32 v4, vcc, s42, v4
	v_addc_co_u32_e32 v5, vcc, v38, v5, vcc
	v_lshlrev_b64 v[38:39], 4, v[32:33]
	v_mov_b32_e32 v40, s78
	v_add_co_u32_e32 v38, vcc, s77, v38
	v_addc_co_u32_e32 v39, vcc, v40, v39, vcc
	s_mov_b64 s[60:61], 0
	v_pk_mov_b32 v[42:43], v[32:33], v[32:33] op_sel:[0,1]
                                        ; implicit-def: $sgpr58_sgpr59
                                        ; implicit-def: $sgpr62_sgpr63
	s_branch .LBB173_28
.LBB173_27:                             ;   in Loop: Header=BB173_28 Depth=3
	s_or_b64 exec, exec, s[64:65]
	s_and_b64 s[20:21], exec, s[66:67]
	s_or_b64 s[60:61], s[20:21], s[60:61]
	s_andn2_b64 s[20:21], s[58:59], exec
	s_and_b64 s[58:59], s[62:63], exec
	s_or_b64 s[58:59], s[20:21], s[58:59]
	v_pk_mov_b32 v[42:43], v[44:45], v[44:45] op_sel:[0,1]
	s_andn2_b64 exec, exec, s[60:61]
	s_cbranch_execz .LBB173_34
.LBB173_28:                             ;   Parent Loop BB173_13 Depth=1
                                        ;     Parent Loop BB173_20 Depth=2
                                        ; =>    This Inner Loop Header: Depth=3
	global_load_dwordx2 v[40:41], v[4:5], off
	v_mov_b32_e32 v44, s33
	s_waitcnt vmcnt(0)
	v_subrev_co_u32_e32 v40, vcc, s29, v40
	v_subb_co_u32_e32 v41, vcc, v41, v44, vcc
	v_cmp_lt_i64_e32 vcc, v[40:41], v[24:25]
	v_cmp_gt_i64_e64 s[20:21], s[24:25], v[40:41]
	s_xor_b64 s[64:65], vcc, -1
	s_or_b64 s[66:67], s[20:21], s[64:65]
	s_mov_b64 s[20:21], 0
                                        ; implicit-def: $sgpr64_sgpr65
	s_and_saveexec_b64 s[82:83], s[66:67]
	s_xor_b64 s[66:67], exec, s[82:83]
; %bb.29:                               ;   in Loop: Header=BB173_28 Depth=3
	s_mov_b64 s[64:65], -1
	s_and_b64 s[20:21], vcc, exec
; %bb.30:                               ;   in Loop: Header=BB173_28 Depth=3
	s_andn2_saveexec_b64 s[66:67], s[66:67]
	s_cbranch_execz .LBB173_32
; %bb.31:                               ;   in Loop: Header=BB173_28 Depth=3
	global_load_dwordx4 v[44:47], v[38:39], off offset:-8
	v_subrev_u32_e32 v56, s24, v40
	ds_write_b8 v56, v55 offset:32768
	v_lshlrev_b32_e32 v58, 4, v56
	s_or_b64 s[20:21], s[20:21], exec
	s_waitcnt vmcnt(0)
	v_mul_f64 v[56:57], v[46:47], -v[6:7]
	v_mul_f64 v[46:47], v[36:37], v[46:47]
	v_fmac_f64_e32 v[56:57], v[36:37], v[44:45]
	v_fmac_f64_e32 v[46:47], v[6:7], v[44:45]
	ds_add_f64 v58, v[56:57]
	ds_add_f64 v58, v[46:47] offset:8
.LBB173_32:                             ;   in Loop: Header=BB173_28 Depth=3
	s_or_b64 exec, exec, s[66:67]
	s_andn2_b64 s[62:63], s[62:63], exec
	s_and_b64 s[64:65], s[64:65], exec
	s_mov_b64 s[66:67], -1
	s_or_b64 s[62:63], s[62:63], s[64:65]
	v_pk_mov_b32 v[46:47], v[42:43], v[42:43] op_sel:[0,1]
                                        ; implicit-def: $vgpr44_vgpr45
	s_and_saveexec_b64 s[64:65], s[20:21]
	s_cbranch_execz .LBB173_27
; %bb.33:                               ;   in Loop: Header=BB173_28 Depth=3
	v_add_co_u32_e32 v44, vcc, 16, v42
	v_addc_co_u32_e32 v45, vcc, 0, v43, vcc
	v_add_co_u32_e32 v4, vcc, 0x80, v4
	v_addc_co_u32_e32 v5, vcc, 0, v5, vcc
	;; [unrolled: 2-line block ×3, first 2 shown]
	v_cmp_ge_i64_e32 vcc, v[44:45], v[34:35]
	s_andn2_b64 s[62:63], s[62:63], exec
	s_orn2_b64 s[66:67], vcc, exec
	v_pk_mov_b32 v[46:47], v[42:43], v[42:43] op_sel:[0,1]
	s_branch .LBB173_27
.LBB173_34:                             ;   in Loop: Header=BB173_20 Depth=2
	s_or_b64 exec, exec, s[60:61]
	s_and_saveexec_b64 s[20:21], s[58:59]
	s_xor_b64 s[20:21], exec, s[20:21]
; %bb.35:                               ;   in Loop: Header=BB173_20 Depth=2
	v_cmp_lt_i64_e32 vcc, v[40:41], v[26:27]
	v_cndmask_b32_e32 v27, v27, v41, vcc
	v_cndmask_b32_e32 v26, v26, v40, vcc
	v_pk_mov_b32 v[32:33], v[46:47], v[46:47] op_sel:[0,1]
; %bb.36:                               ;   in Loop: Header=BB173_20 Depth=2
	s_or_b64 exec, exec, s[20:21]
.LBB173_37:                             ;   in Loop: Header=BB173_20 Depth=2
	s_or_b64 exec, exec, s[56:57]
	v_mov_b32_dpp v4, v32 row_shr:1 row_mask:0xf bank_mask:0xf
	v_mov_b32_dpp v5, v33 row_shr:1 row_mask:0xf bank_mask:0xf
	v_cmp_lt_i64_e32 vcc, v[4:5], v[32:33]
	v_cndmask_b32_e32 v5, v33, v5, vcc
	v_cndmask_b32_e32 v4, v32, v4, vcc
	s_nop 0
	v_mov_b32_dpp v7, v5 row_shr:2 row_mask:0xf bank_mask:0xf
	v_mov_b32_dpp v6, v4 row_shr:2 row_mask:0xf bank_mask:0xf
	v_cmp_lt_i64_e32 vcc, v[6:7], v[4:5]
	v_cndmask_b32_e32 v5, v5, v7, vcc
	v_cndmask_b32_e32 v4, v4, v6, vcc
	s_nop 0
	;; [unrolled: 6-line block ×3, first 2 shown]
	v_mov_b32_dpp v7, v5 row_shr:8 row_mask:0xf bank_mask:0xc
	v_mov_b32_dpp v6, v4 row_shr:8 row_mask:0xf bank_mask:0xc
	s_and_saveexec_b64 s[20:21], s[2:3]
	s_cbranch_execz .LBB173_19
; %bb.38:                               ;   in Loop: Header=BB173_20 Depth=2
	v_cmp_lt_i64_e32 vcc, v[6:7], v[4:5]
	v_cndmask_b32_e32 v5, v5, v7, vcc
	v_cndmask_b32_e32 v4, v4, v6, vcc
	v_mov_b32_e32 v7, s53
	v_add_co_u32_e32 v6, vcc, s52, v30
	v_addc_co_u32_e32 v7, vcc, v7, v31, vcc
	global_store_dwordx2 v[6:7], v[4:5], off
	s_branch .LBB173_19
.LBB173_39:                             ;   in Loop: Header=BB173_13 Depth=1
	s_or_b64 exec, exec, s[44:45]
.LBB173_40:                             ;   in Loop: Header=BB173_13 Depth=1
	s_or_b64 exec, exec, s[30:31]
	s_andn2_b64 vcc, exec, s[34:35]
	s_cbranch_vccnz .LBB173_54
; %bb.41:                               ;   in Loop: Header=BB173_13 Depth=1
	s_load_dwordx4 s[56:59], s[26:27], 0x0
	s_waitcnt lgkmcnt(0)
	s_sub_u32 s44, s58, s69
	v_mov_b32_e32 v5, s57
	v_add_co_u32_e32 v4, vcc, s56, v48
	s_subb_u32 s45, s59, 0
	v_addc_co_u32_e32 v5, vcc, v5, v49, vcc
	v_cmp_gt_i64_e32 vcc, s[44:45], v[4:5]
	s_and_saveexec_b64 s[30:31], vcc
	s_cbranch_execz .LBB173_53
; %bb.42:                               ;   in Loop: Header=BB173_13 Depth=1
	v_lshlrev_b64 v[6:7], 3, v[4:5]
	v_mov_b32_e32 v28, s23
	v_add_co_u32_e32 v6, vcc, s22, v6
	v_addc_co_u32_e32 v7, vcc, v28, v7, vcc
	v_lshlrev_b64 v[28:29], 4, v[4:5]
	v_mov_b32_e32 v30, s80
	v_add_co_u32_e32 v28, vcc, s79, v28
	v_addc_co_u32_e32 v29, vcc, v30, v29, vcc
	s_mov_b64 s[46:47], 0
                                        ; implicit-def: $sgpr56_sgpr57
                                        ; implicit-def: $sgpr58_sgpr59
	s_branch .LBB173_44
.LBB173_43:                             ;   in Loop: Header=BB173_44 Depth=2
	s_or_b64 exec, exec, s[60:61]
	s_and_b64 s[20:21], exec, s[62:63]
	s_or_b64 s[46:47], s[20:21], s[46:47]
	s_andn2_b64 s[20:21], s[56:57], exec
	s_and_b64 s[56:57], s[58:59], exec
	s_or_b64 s[56:57], s[20:21], s[56:57]
	s_andn2_b64 exec, exec, s[46:47]
	s_cbranch_execz .LBB173_50
.LBB173_44:                             ;   Parent Loop BB173_13 Depth=1
                                        ; =>  This Inner Loop Header: Depth=2
	global_load_dwordx2 v[30:31], v[6:7], off
	v_mov_b32_e32 v32, s70
	s_waitcnt vmcnt(0)
	v_subrev_co_u32_e32 v30, vcc, s69, v30
	v_subb_co_u32_e32 v31, vcc, v31, v32, vcc
	v_cmp_lt_i64_e32 vcc, v[30:31], v[24:25]
	v_cmp_gt_i64_e64 s[20:21], s[24:25], v[30:31]
	s_xor_b64 s[60:61], vcc, -1
	s_or_b64 s[62:63], s[20:21], s[60:61]
	s_mov_b64 s[20:21], 0
                                        ; implicit-def: $sgpr60_sgpr61
	s_and_saveexec_b64 s[64:65], s[62:63]
	s_xor_b64 s[62:63], exec, s[64:65]
; %bb.45:                               ;   in Loop: Header=BB173_44 Depth=2
	s_mov_b64 s[60:61], -1
	s_and_b64 s[20:21], vcc, exec
; %bb.46:                               ;   in Loop: Header=BB173_44 Depth=2
	s_andn2_saveexec_b64 s[62:63], s[62:63]
	s_cbranch_execz .LBB173_48
; %bb.47:                               ;   in Loop: Header=BB173_44 Depth=2
	global_load_dwordx4 v[32:35], v[28:29], off offset:-8
	v_subrev_u32_e32 v36, s24, v30
	ds_write_b8 v36, v55 offset:32768
	v_lshlrev_b32_e32 v38, 4, v36
	s_or_b64 s[20:21], s[20:21], exec
	s_waitcnt vmcnt(0)
	v_mul_f64 v[36:37], v[34:35], -v[10:11]
	v_mul_f64 v[34:35], v[14:15], v[34:35]
	v_fmac_f64_e32 v[36:37], v[14:15], v[32:33]
	v_fmac_f64_e32 v[34:35], v[10:11], v[32:33]
	ds_add_f64 v38, v[36:37]
	ds_add_f64 v38, v[34:35] offset:8
.LBB173_48:                             ;   in Loop: Header=BB173_44 Depth=2
	s_or_b64 exec, exec, s[62:63]
	s_andn2_b64 s[58:59], s[58:59], exec
	s_and_b64 s[60:61], s[60:61], exec
	s_mov_b64 s[62:63], -1
	s_or_b64 s[58:59], s[58:59], s[60:61]
	s_and_saveexec_b64 s[60:61], s[20:21]
	s_cbranch_execz .LBB173_43
; %bb.49:                               ;   in Loop: Header=BB173_44 Depth=2
	v_add_co_u32_e32 v4, vcc, 0x200, v4
	v_addc_co_u32_e32 v5, vcc, 0, v5, vcc
	v_add_co_u32_e32 v6, vcc, 0x1000, v6
	v_addc_co_u32_e32 v7, vcc, 0, v7, vcc
	;; [unrolled: 2-line block ×3, first 2 shown]
	v_cmp_le_i64_e32 vcc, s[44:45], v[4:5]
	s_andn2_b64 s[58:59], s[58:59], exec
	s_orn2_b64 s[62:63], vcc, exec
	s_branch .LBB173_43
.LBB173_50:                             ;   in Loop: Header=BB173_13 Depth=1
	s_or_b64 exec, exec, s[46:47]
	s_and_saveexec_b64 s[20:21], s[56:57]
	s_xor_b64 s[20:21], exec, s[20:21]
; %bb.51:                               ;   in Loop: Header=BB173_13 Depth=1
	v_cmp_lt_i64_e32 vcc, v[30:31], v[26:27]
	v_cndmask_b32_e32 v27, v27, v31, vcc
	v_cndmask_b32_e32 v26, v26, v30, vcc
; %bb.52:                               ;   in Loop: Header=BB173_13 Depth=1
	s_or_b64 exec, exec, s[20:21]
.LBB173_53:                             ;   in Loop: Header=BB173_13 Depth=1
	s_or_b64 exec, exec, s[30:31]
.LBB173_54:                             ;   in Loop: Header=BB173_13 Depth=1
	v_mov_b32_dpp v4, v26 row_shr:1 row_mask:0xf bank_mask:0xf
	v_mov_b32_dpp v5, v27 row_shr:1 row_mask:0xf bank_mask:0xf
	v_cmp_lt_i64_e32 vcc, v[4:5], v[26:27]
	v_cndmask_b32_e32 v5, v27, v5, vcc
	v_cndmask_b32_e32 v4, v26, v4, vcc
	s_nop 0
	v_mov_b32_dpp v7, v5 row_shr:2 row_mask:0xf bank_mask:0xf
	v_mov_b32_dpp v6, v4 row_shr:2 row_mask:0xf bank_mask:0xf
	v_cmp_lt_i64_e32 vcc, v[6:7], v[4:5]
	v_cndmask_b32_e32 v5, v5, v7, vcc
	v_cndmask_b32_e32 v4, v4, v6, vcc
	s_nop 0
	;; [unrolled: 6-line block ×3, first 2 shown]
	v_mov_b32_dpp v7, v5 row_shr:8 row_mask:0xf bank_mask:0xc
	v_mov_b32_dpp v6, v4 row_shr:8 row_mask:0xf bank_mask:0xc
	s_and_saveexec_b64 s[20:21], s[2:3]
	s_cbranch_execz .LBB173_59
; %bb.55:                               ;   in Loop: Header=BB173_13 Depth=1
	v_cmp_lt_i64_e32 vcc, v[6:7], v[4:5]
	s_mov_b64 s[44:45], exec
	v_cndmask_b32_e32 v5, v5, v7, vcc
	v_cndmask_b32_e32 v4, v4, v6, vcc
	s_mov_b64 s[30:31], -1
.LBB173_56:                             ;   Parent Loop BB173_13 Depth=1
                                        ; =>  This Inner Loop Header: Depth=2
	s_ff1_i32_b64 s56, s[44:45]
	v_readlane_b32 s57, v5, s56
	v_readlane_b32 s58, v4, s56
	v_mov_b32_e32 v6, s58
	v_mov_b32_e32 v7, s57
	v_cmp_lt_u64_e32 vcc, s[30:31], v[6:7]
	s_and_b64 s[46:47], vcc, exec
	s_cselect_b32 s31, s31, s57
	s_cselect_b32 s30, s30, s58
	s_lshl_b64 s[46:47], 1, s56
	s_andn2_b64 s[44:45], s[44:45], s[46:47]
	s_cmp_lg_u64 s[44:45], 0
	s_cbranch_scc1 .LBB173_56
; %bb.57:                               ;   in Loop: Header=BB173_13 Depth=1
	v_mbcnt_lo_u32_b32 v4, exec_lo, 0
	v_mbcnt_hi_u32_b32 v4, exec_hi, v4
	v_cmp_eq_u32_e32 vcc, 0, v4
	s_and_saveexec_b64 s[44:45], vcc
	s_xor_b64 s[44:45], exec, s[44:45]
	s_cbranch_execz .LBB173_59
; %bb.58:                               ;   in Loop: Header=BB173_13 Depth=1
	v_pk_mov_b32 v[4:5], s[30:31], s[30:31] op_sel:[0,1]
	ds_min_u64 v0, v[4:5] offset:34816
.LBB173_59:                             ;   in Loop: Header=BB173_13 Depth=1
	s_or_b64 exec, exec, s[20:21]
	v_mov_b32_e32 v5, s25
	v_add_co_u32_e32 v4, vcc, s24, v53
	v_addc_co_u32_e32 v5, vcc, v54, v5, vcc
	s_mov_b64 s[20:21], 0
	v_mov_b32_e32 v6, v52
	v_mov_b32_e32 v7, v51
	s_waitcnt lgkmcnt(0)
	s_barrier
	s_branch .LBB173_61
.LBB173_60:                             ;   in Loop: Header=BB173_61 Depth=2
	s_or_b64 exec, exec, s[24:25]
	s_waitcnt lgkmcnt(0)
	s_barrier
	ds_read_b32 v24, v0 offset:28
	v_add_u32_e32 v7, 0x200, v7
	v_add_u32_e32 v6, 0x2000, v6
	s_waitcnt lgkmcnt(0)
	v_ashrrev_i32_e32 v25, 31, v24
	v_add_co_u32_e32 v22, vcc, v22, v24
	v_addc_co_u32_e32 v23, vcc, v23, v25, vcc
	v_add_co_u32_e32 v4, vcc, 0x200, v4
	v_addc_co_u32_e32 v5, vcc, 0, v5, vcc
	v_cmp_lt_u32_e32 vcc, s81, v7
	s_or_b64 s[20:21], vcc, s[20:21]
	s_andn2_b64 exec, exec, s[20:21]
	s_cbranch_execz .LBB173_12
.LBB173_61:                             ;   Parent Loop BB173_13 Depth=1
                                        ; =>  This Inner Loop Header: Depth=2
	ds_read2_b64 v[24:27], v6 offset1:1
	ds_read_u8 v31, v7 offset:33280
	s_waitcnt lgkmcnt(0)
	ds_write2_b64 v17, v[24:25], v[26:27] offset1:1
	v_cmp_ne_u16_e32 vcc, 0, v31
	s_bcnt1_i32_b64 s24, vcc
	v_mov_b32_e32 v24, s24
	s_waitcnt lgkmcnt(0)
	s_barrier
	ds_write_b32 v50, v24
	s_waitcnt lgkmcnt(0)
	s_barrier
	ds_read_b128 v[24:27], v0
	v_and_b32_e32 v29, vcc_lo, v20
	v_and_b32_e32 v28, vcc_hi, v21
	v_bcnt_u32_b32 v29, v29, 0
	v_bcnt_u32_b32 v32, v28, v29
	ds_read_b96 v[28:30], v0 offset:16
	s_waitcnt lgkmcnt(0)
	v_cndmask_b32_e64 v24, v24, 0, s[6:7]
	v_add_u32_e32 v24, v24, v32
	v_cndmask_b32_e64 v25, v25, 0, s[8:9]
	v_cndmask_b32_e64 v26, v26, 0, s[10:11]
	v_add3_u32 v24, v24, v25, v26
	v_cndmask_b32_e64 v25, v27, 0, s[12:13]
	v_cndmask_b32_e64 v26, v28, 0, s[14:15]
	v_add3_u32 v24, v24, v25, v26
	;; [unrolled: 3-line block ×3, first 2 shown]
	v_and_b32_e32 v25, 1, v31
	v_cmp_eq_u32_e32 vcc, 1, v25
	s_and_saveexec_b64 s[24:25], vcc
	s_cbranch_execz .LBB173_63
; %bb.62:                               ;   in Loop: Header=BB173_61 Depth=2
	v_ashrrev_i32_e32 v25, 31, v24
	v_add_co_u32_e32 v26, vcc, v22, v24
	v_addc_co_u32_e32 v27, vcc, v23, v25, vcc
	v_lshlrev_b64 v[28:29], 3, v[26:27]
	v_mov_b32_e32 v25, s74
	v_add_co_u32_e32 v28, vcc, s73, v28
	v_addc_co_u32_e32 v29, vcc, v25, v29, vcc
	global_store_dwordx2 v[28:29], v[4:5], off
	v_lshlrev_b64 v[30:31], 4, v[26:27]
	ds_read2_b64 v[26:29], v17 offset1:1
	v_mov_b32_e32 v25, s76
	v_add_co_u32_e32 v30, vcc, s75, v30
	v_addc_co_u32_e32 v31, vcc, v25, v31, vcc
	s_waitcnt lgkmcnt(0)
	global_store_dwordx4 v[30:31], v[26:29], off
.LBB173_63:                             ;   in Loop: Header=BB173_61 Depth=2
	s_or_b64 exec, exec, s[24:25]
	s_and_saveexec_b64 s[24:25], s[4:5]
	s_cbranch_execz .LBB173_60
; %bb.64:                               ;   in Loop: Header=BB173_61 Depth=2
	ds_write_b32 v0, v24 offset:28
	s_branch .LBB173_60
.LBB173_65:
	s_endpgm
	.section	.rodata,"a",@progbits
	.p2align	6, 0x0
	.amdhsa_kernel _ZN9rocsparseL36csrgemm_fill_block_per_row_multipassILj512ELj16ELj2048ELj64Ell21rocsparse_complex_numIdEEEvT4_PKS3_S5_NS_24const_host_device_scalarIT5_EEPKT3_S5_PKS7_SB_S5_SD_S8_SB_S5_SD_SB_PS3_PS7_PS9_21rocsparse_index_base_SH_SH_SH_bbb
		.amdhsa_group_segment_fixed_size 51208
		.amdhsa_private_segment_fixed_size 0
		.amdhsa_kernarg_size 180
		.amdhsa_user_sgpr_count 8
		.amdhsa_user_sgpr_private_segment_buffer 1
		.amdhsa_user_sgpr_dispatch_ptr 1
		.amdhsa_user_sgpr_queue_ptr 0
		.amdhsa_user_sgpr_kernarg_segment_ptr 1
		.amdhsa_user_sgpr_dispatch_id 0
		.amdhsa_user_sgpr_flat_scratch_init 0
		.amdhsa_user_sgpr_kernarg_preload_length 0
		.amdhsa_user_sgpr_kernarg_preload_offset 0
		.amdhsa_user_sgpr_private_segment_size 0
		.amdhsa_uses_dynamic_stack 0
		.amdhsa_system_sgpr_private_segment_wavefront_offset 0
		.amdhsa_system_sgpr_workgroup_id_x 1
		.amdhsa_system_sgpr_workgroup_id_y 0
		.amdhsa_system_sgpr_workgroup_id_z 0
		.amdhsa_system_sgpr_workgroup_info 0
		.amdhsa_system_vgpr_workitem_id 2
		.amdhsa_next_free_vgpr 59
		.amdhsa_next_free_sgpr 84
		.amdhsa_accum_offset 60
		.amdhsa_reserve_vcc 1
		.amdhsa_reserve_flat_scratch 0
		.amdhsa_float_round_mode_32 0
		.amdhsa_float_round_mode_16_64 0
		.amdhsa_float_denorm_mode_32 3
		.amdhsa_float_denorm_mode_16_64 3
		.amdhsa_dx10_clamp 1
		.amdhsa_ieee_mode 1
		.amdhsa_fp16_overflow 0
		.amdhsa_tg_split 0
		.amdhsa_exception_fp_ieee_invalid_op 0
		.amdhsa_exception_fp_denorm_src 0
		.amdhsa_exception_fp_ieee_div_zero 0
		.amdhsa_exception_fp_ieee_overflow 0
		.amdhsa_exception_fp_ieee_underflow 0
		.amdhsa_exception_fp_ieee_inexact 0
		.amdhsa_exception_int_div_zero 0
	.end_amdhsa_kernel
	.section	.text._ZN9rocsparseL36csrgemm_fill_block_per_row_multipassILj512ELj16ELj2048ELj64Ell21rocsparse_complex_numIdEEEvT4_PKS3_S5_NS_24const_host_device_scalarIT5_EEPKT3_S5_PKS7_SB_S5_SD_S8_SB_S5_SD_SB_PS3_PS7_PS9_21rocsparse_index_base_SH_SH_SH_bbb,"axG",@progbits,_ZN9rocsparseL36csrgemm_fill_block_per_row_multipassILj512ELj16ELj2048ELj64Ell21rocsparse_complex_numIdEEEvT4_PKS3_S5_NS_24const_host_device_scalarIT5_EEPKT3_S5_PKS7_SB_S5_SD_S8_SB_S5_SD_SB_PS3_PS7_PS9_21rocsparse_index_base_SH_SH_SH_bbb,comdat
.Lfunc_end173:
	.size	_ZN9rocsparseL36csrgemm_fill_block_per_row_multipassILj512ELj16ELj2048ELj64Ell21rocsparse_complex_numIdEEEvT4_PKS3_S5_NS_24const_host_device_scalarIT5_EEPKT3_S5_PKS7_SB_S5_SD_S8_SB_S5_SD_SB_PS3_PS7_PS9_21rocsparse_index_base_SH_SH_SH_bbb, .Lfunc_end173-_ZN9rocsparseL36csrgemm_fill_block_per_row_multipassILj512ELj16ELj2048ELj64Ell21rocsparse_complex_numIdEEEvT4_PKS3_S5_NS_24const_host_device_scalarIT5_EEPKT3_S5_PKS7_SB_S5_SD_S8_SB_S5_SD_SB_PS3_PS7_PS9_21rocsparse_index_base_SH_SH_SH_bbb
                                        ; -- End function
	.section	.AMDGPU.csdata,"",@progbits
; Kernel info:
; codeLenInByte = 3096
; NumSgprs: 88
; NumVgprs: 59
; NumAgprs: 0
; TotalNumVgprs: 59
; ScratchSize: 0
; MemoryBound: 0
; FloatMode: 240
; IeeeMode: 1
; LDSByteSize: 51208 bytes/workgroup (compile time only)
; SGPRBlocks: 10
; VGPRBlocks: 7
; NumSGPRsForWavesPerEU: 88
; NumVGPRsForWavesPerEU: 59
; AccumOffset: 60
; Occupancy: 2
; WaveLimiterHint : 1
; COMPUTE_PGM_RSRC2:SCRATCH_EN: 0
; COMPUTE_PGM_RSRC2:USER_SGPR: 8
; COMPUTE_PGM_RSRC2:TRAP_HANDLER: 0
; COMPUTE_PGM_RSRC2:TGID_X_EN: 1
; COMPUTE_PGM_RSRC2:TGID_Y_EN: 0
; COMPUTE_PGM_RSRC2:TGID_Z_EN: 0
; COMPUTE_PGM_RSRC2:TIDIG_COMP_CNT: 2
; COMPUTE_PGM_RSRC3_GFX90A:ACCUM_OFFSET: 14
; COMPUTE_PGM_RSRC3_GFX90A:TG_SPLIT: 0
	.section	.text._ZN9rocsparseL25csrgemm_max_row_nnz_part1ILj256EliEEvT1_PKT0_PS1_,"axG",@progbits,_ZN9rocsparseL25csrgemm_max_row_nnz_part1ILj256EliEEvT1_PKT0_PS1_,comdat
	.globl	_ZN9rocsparseL25csrgemm_max_row_nnz_part1ILj256EliEEvT1_PKT0_PS1_ ; -- Begin function _ZN9rocsparseL25csrgemm_max_row_nnz_part1ILj256EliEEvT1_PKT0_PS1_
	.p2align	8
	.type	_ZN9rocsparseL25csrgemm_max_row_nnz_part1ILj256EliEEvT1_PKT0_PS1_,@function
_ZN9rocsparseL25csrgemm_max_row_nnz_part1ILj256EliEEvT1_PKT0_PS1_: ; @_ZN9rocsparseL25csrgemm_max_row_nnz_part1ILj256EliEEvT1_PKT0_PS1_
; %bb.0:
	s_load_dword s7, s[4:5], 0x0
	s_load_dwordx2 s[0:1], s[4:5], 0x10
	v_lshl_or_b32 v2, s6, 8, v0
	v_mov_b32_e32 v4, 0
	s_waitcnt lgkmcnt(0)
	v_cmp_gt_i32_e32 vcc, s7, v2
	s_and_saveexec_b64 s[2:3], vcc
	s_cbranch_execz .LBB174_4
; %bb.1:
	s_load_dword s10, s[4:5], 0x18
	s_load_dwordx2 s[8:9], s[4:5], 0x8
	s_mov_b64 s[4:5], 0
	v_mov_b32_e32 v4, 0
	s_waitcnt lgkmcnt(0)
	s_lshl_b32 s10, s10, 8
	v_mov_b32_e32 v1, s9
.LBB174_2:                              ; =>This Inner Loop Header: Depth=1
	v_ashrrev_i32_e32 v3, 31, v2
	v_lshlrev_b64 v[6:7], 3, v[2:3]
	v_add_co_u32_e32 v6, vcc, s8, v6
	v_addc_co_u32_e32 v7, vcc, v1, v7, vcc
	global_load_dwordx4 v[6:9], v[6:7], off
	v_add_u32_e32 v2, s10, v2
	v_cmp_le_i32_e32 vcc, s7, v2
	s_or_b64 s[4:5], vcc, s[4:5]
	s_waitcnt vmcnt(0)
	v_sub_u32_e32 v3, v8, v6
	v_max_i32_e32 v4, v4, v3
	s_andn2_b64 exec, exec, s[4:5]
	s_cbranch_execnz .LBB174_2
; %bb.3:
	s_or_b64 exec, exec, s[4:5]
.LBB174_4:
	s_or_b64 exec, exec, s[2:3]
	s_movk_i32 s2, 0x80
	v_lshlrev_b32_e32 v1, 2, v0
	v_cmp_gt_u32_e32 vcc, s2, v0
	ds_write_b32 v1, v4
	s_waitcnt lgkmcnt(0)
	s_barrier
	s_and_saveexec_b64 s[2:3], vcc
	s_cbranch_execz .LBB174_6
; %bb.5:
	ds_read2st64_b32 v[2:3], v1 offset1:2
	s_waitcnt lgkmcnt(0)
	v_max_i32_e32 v2, v2, v3
	ds_write_b32 v1, v2
.LBB174_6:
	s_or_b64 exec, exec, s[2:3]
	v_cmp_gt_u32_e32 vcc, 64, v0
	s_waitcnt lgkmcnt(0)
	s_barrier
	s_and_saveexec_b64 s[2:3], vcc
	s_cbranch_execz .LBB174_8
; %bb.7:
	ds_read2st64_b32 v[2:3], v1 offset1:1
	s_waitcnt lgkmcnt(0)
	v_max_i32_e32 v2, v2, v3
	ds_write_b32 v1, v2
.LBB174_8:
	s_or_b64 exec, exec, s[2:3]
	v_cmp_gt_u32_e32 vcc, 32, v0
	s_waitcnt lgkmcnt(0)
	s_barrier
	s_and_saveexec_b64 s[2:3], vcc
	s_cbranch_execz .LBB174_10
; %bb.9:
	ds_read2_b32 v[2:3], v1 offset1:32
	s_waitcnt lgkmcnt(0)
	v_max_i32_e32 v2, v2, v3
	ds_write_b32 v1, v2
.LBB174_10:
	s_or_b64 exec, exec, s[2:3]
	v_cmp_gt_u32_e32 vcc, 16, v0
	s_waitcnt lgkmcnt(0)
	s_barrier
	s_and_saveexec_b64 s[2:3], vcc
	s_cbranch_execz .LBB174_12
; %bb.11:
	ds_read2_b32 v[2:3], v1 offset1:16
	s_waitcnt lgkmcnt(0)
	v_max_i32_e32 v2, v2, v3
	ds_write_b32 v1, v2
.LBB174_12:
	;; [unrolled: 12-line block ×5, first 2 shown]
	s_or_b64 exec, exec, s[2:3]
	v_cmp_eq_u32_e32 vcc, 0, v0
	s_waitcnt lgkmcnt(0)
	s_barrier
	s_and_saveexec_b64 s[2:3], vcc
	s_cbranch_execz .LBB174_20
; %bb.19:
	v_mov_b32_e32 v2, 0
	ds_read_b64 v[0:1], v2
	s_waitcnt lgkmcnt(0)
	v_max_i32_e32 v0, v0, v1
	ds_write_b32 v2, v0
.LBB174_20:
	s_or_b64 exec, exec, s[2:3]
	s_waitcnt lgkmcnt(0)
	s_barrier
	s_and_saveexec_b64 s[2:3], vcc
	s_cbranch_execz .LBB174_22
; %bb.21:
	v_mov_b32_e32 v0, 0
	ds_read_b32 v1, v0
	s_mov_b32 s7, 0
	s_lshl_b64 s[2:3], s[6:7], 2
	s_add_u32 s0, s0, s2
	s_addc_u32 s1, s1, s3
	s_waitcnt lgkmcnt(0)
	global_store_dword v0, v1, s[0:1]
.LBB174_22:
	s_endpgm
	.section	.rodata,"a",@progbits
	.p2align	6, 0x0
	.amdhsa_kernel _ZN9rocsparseL25csrgemm_max_row_nnz_part1ILj256EliEEvT1_PKT0_PS1_
		.amdhsa_group_segment_fixed_size 1024
		.amdhsa_private_segment_fixed_size 0
		.amdhsa_kernarg_size 280
		.amdhsa_user_sgpr_count 6
		.amdhsa_user_sgpr_private_segment_buffer 1
		.amdhsa_user_sgpr_dispatch_ptr 0
		.amdhsa_user_sgpr_queue_ptr 0
		.amdhsa_user_sgpr_kernarg_segment_ptr 1
		.amdhsa_user_sgpr_dispatch_id 0
		.amdhsa_user_sgpr_flat_scratch_init 0
		.amdhsa_user_sgpr_kernarg_preload_length 0
		.amdhsa_user_sgpr_kernarg_preload_offset 0
		.amdhsa_user_sgpr_private_segment_size 0
		.amdhsa_uses_dynamic_stack 0
		.amdhsa_system_sgpr_private_segment_wavefront_offset 0
		.amdhsa_system_sgpr_workgroup_id_x 1
		.amdhsa_system_sgpr_workgroup_id_y 0
		.amdhsa_system_sgpr_workgroup_id_z 0
		.amdhsa_system_sgpr_workgroup_info 0
		.amdhsa_system_vgpr_workitem_id 0
		.amdhsa_next_free_vgpr 10
		.amdhsa_next_free_sgpr 11
		.amdhsa_accum_offset 12
		.amdhsa_reserve_vcc 1
		.amdhsa_reserve_flat_scratch 0
		.amdhsa_float_round_mode_32 0
		.amdhsa_float_round_mode_16_64 0
		.amdhsa_float_denorm_mode_32 3
		.amdhsa_float_denorm_mode_16_64 3
		.amdhsa_dx10_clamp 1
		.amdhsa_ieee_mode 1
		.amdhsa_fp16_overflow 0
		.amdhsa_tg_split 0
		.amdhsa_exception_fp_ieee_invalid_op 0
		.amdhsa_exception_fp_denorm_src 0
		.amdhsa_exception_fp_ieee_div_zero 0
		.amdhsa_exception_fp_ieee_overflow 0
		.amdhsa_exception_fp_ieee_underflow 0
		.amdhsa_exception_fp_ieee_inexact 0
		.amdhsa_exception_int_div_zero 0
	.end_amdhsa_kernel
	.section	.text._ZN9rocsparseL25csrgemm_max_row_nnz_part1ILj256EliEEvT1_PKT0_PS1_,"axG",@progbits,_ZN9rocsparseL25csrgemm_max_row_nnz_part1ILj256EliEEvT1_PKT0_PS1_,comdat
.Lfunc_end174:
	.size	_ZN9rocsparseL25csrgemm_max_row_nnz_part1ILj256EliEEvT1_PKT0_PS1_, .Lfunc_end174-_ZN9rocsparseL25csrgemm_max_row_nnz_part1ILj256EliEEvT1_PKT0_PS1_
                                        ; -- End function
	.section	.AMDGPU.csdata,"",@progbits
; Kernel info:
; codeLenInByte = 612
; NumSgprs: 15
; NumVgprs: 10
; NumAgprs: 0
; TotalNumVgprs: 10
; ScratchSize: 0
; MemoryBound: 0
; FloatMode: 240
; IeeeMode: 1
; LDSByteSize: 1024 bytes/workgroup (compile time only)
; SGPRBlocks: 1
; VGPRBlocks: 1
; NumSGPRsForWavesPerEU: 15
; NumVGPRsForWavesPerEU: 10
; AccumOffset: 12
; Occupancy: 8
; WaveLimiterHint : 0
; COMPUTE_PGM_RSRC2:SCRATCH_EN: 0
; COMPUTE_PGM_RSRC2:USER_SGPR: 6
; COMPUTE_PGM_RSRC2:TRAP_HANDLER: 0
; COMPUTE_PGM_RSRC2:TGID_X_EN: 1
; COMPUTE_PGM_RSRC2:TGID_Y_EN: 0
; COMPUTE_PGM_RSRC2:TGID_Z_EN: 0
; COMPUTE_PGM_RSRC2:TIDIG_COMP_CNT: 0
; COMPUTE_PGM_RSRC3_GFX90A:ACCUM_OFFSET: 2
; COMPUTE_PGM_RSRC3_GFX90A:TG_SPLIT: 0
	.section	.text._ZN9rocsparseL26csrgemm_group_reduce_part2ILj256ELj11EfliEEvT3_PKT2_PS1_Pij,"axG",@progbits,_ZN9rocsparseL26csrgemm_group_reduce_part2ILj256ELj11EfliEEvT3_PKT2_PS1_Pij,comdat
	.globl	_ZN9rocsparseL26csrgemm_group_reduce_part2ILj256ELj11EfliEEvT3_PKT2_PS1_Pij ; -- Begin function _ZN9rocsparseL26csrgemm_group_reduce_part2ILj256ELj11EfliEEvT3_PKT2_PS1_Pij
	.p2align	8
	.type	_ZN9rocsparseL26csrgemm_group_reduce_part2ILj256ELj11EfliEEvT3_PKT2_PS1_Pij,@function
_ZN9rocsparseL26csrgemm_group_reduce_part2ILj256ELj11EfliEEvT3_PKT2_PS1_Pij: ; @_ZN9rocsparseL26csrgemm_group_reduce_part2ILj256ELj11EfliEEvT3_PKT2_PS1_Pij
; %bb.0:
	s_load_dword s7, s[4:5], 0x0
	s_load_dwordx2 s[0:1], s[4:5], 0x10
	v_mul_u32_u24_e32 v1, 11, v0
	v_lshl_or_b32 v2, s6, 8, v0
	v_lshlrev_b32_e32 v1, 2, v1
	v_mov_b32_e32 v6, 0
	s_waitcnt lgkmcnt(0)
	v_cmp_gt_i32_e32 vcc, s7, v2
	ds_write2_b32 v1, v6, v6 offset1:1
	ds_write2_b32 v1, v6, v6 offset0:2 offset1:3
	ds_write2_b32 v1, v6, v6 offset0:4 offset1:5
	;; [unrolled: 1-line block ×4, first 2 shown]
	ds_write_b32 v1, v6 offset:40
	s_waitcnt lgkmcnt(0)
	s_and_saveexec_b64 s[2:3], vcc
	s_cbranch_execz .LBB175_43
; %bb.1:
	s_load_dword s12, s[4:5], 0x20
	s_load_dwordx2 s[8:9], s[4:5], 0x8
	s_load_dwordx2 s[10:11], s[4:5], 0x18
	s_load_dword s13, s[4:5], 0x28
	s_mov_b64 s[4:5], 0
	s_waitcnt lgkmcnt(0)
	s_cmpk_lt_u32 s12, 0x8084
	s_cselect_b64 s[22:23], -1, 0
	s_cmp_lt_u32 s12, 0x10084
	s_cselect_b64 s[26:27], -1, 0
	s_cmp_lt_u32 s12, 0x20084
	;; [unrolled: 2-line block ×3, first 2 shown]
	s_cselect_b64 s[36:37], -1, 0
	s_lshl_b32 s33, s13, 8
	v_mov_b32_e32 v7, s9
	s_mov_b64 s[12:13], 0x100
	s_mov_b64 s[14:15], 0x200
	;; [unrolled: 1-line block ×5, first 2 shown]
	s_xor_b64 s[22:23], s[22:23], -1
	v_mov_b32_e32 v8, 6
	s_mov_b64 s[24:25], 0x2001
	s_xor_b64 s[26:27], s[26:27], -1
	v_mov_b32_e32 v9, 7
	s_mov_b64 s[28:29], 0x4001
	;; [unrolled: 3-line block ×3, first 2 shown]
	s_xor_b64 s[36:37], s[36:37], -1
	v_mov_b32_e32 v11, 9
	v_mov_b32_e32 v12, 10
	;; [unrolled: 1-line block ×7, first 2 shown]
	s_branch .LBB175_3
.LBB175_2:                              ;   in Loop: Header=BB175_3 Depth=1
	s_or_b64 exec, exec, s[38:39]
	v_add_u32_e32 v2, s33, v2
	v_cmp_le_i32_e32 vcc, s7, v2
	s_or_b64 s[4:5], vcc, s[4:5]
	s_andn2_b64 exec, exec, s[4:5]
	s_cbranch_execz .LBB175_43
.LBB175_3:                              ; =>This Inner Loop Header: Depth=1
	v_ashrrev_i32_e32 v3, 31, v2
	v_lshlrev_b64 v[4:5], 3, v[2:3]
	v_add_co_u32_e32 v4, vcc, s8, v4
	v_addc_co_u32_e32 v5, vcc, v7, v5, vcc
	global_load_dwordx4 v[18:21], v[4:5], off
	s_waitcnt vmcnt(0)
	v_sub_co_u32_e32 v4, vcc, v20, v18
	v_subb_co_u32_e32 v5, vcc, v21, v19, vcc
	v_cmp_lt_i64_e32 vcc, 16, v[4:5]
	s_and_saveexec_b64 s[38:39], vcc
	s_xor_b64 s[38:39], exec, s[38:39]
	s_cbranch_execz .LBB175_41
; %bb.4:                                ;   in Loop: Header=BB175_3 Depth=1
	v_cmp_lt_u64_e32 vcc, 32, v[4:5]
	s_and_saveexec_b64 s[40:41], vcc
	s_xor_b64 s[40:41], exec, s[40:41]
	s_cbranch_execz .LBB175_38
; %bb.5:                                ;   in Loop: Header=BB175_3 Depth=1
	v_cmp_lt_u64_e32 vcc, s[12:13], v[4:5]
	;; [unrolled: 5-line block ×5, first 2 shown]
	s_and_saveexec_b64 s[48:49], vcc
	s_xor_b64 s[48:49], exec, s[48:49]
	s_cbranch_execz .LBB175_26
; %bb.9:                                ;   in Loop: Header=BB175_3 Depth=1
	v_cmp_gt_u64_e32 vcc, s[20:21], v[4:5]
	s_and_b64 s[50:51], s[22:23], vcc
	s_and_saveexec_b64 s[52:53], s[50:51]
	s_xor_b64 s[50:51], exec, s[52:53]
	s_cbranch_execz .LBB175_11
; %bb.10:                               ;   in Loop: Header=BB175_3 Depth=1
	ds_read_b32 v18, v1 offset:24
	v_lshlrev_b64 v[4:5], 2, v[2:3]
	v_mov_b32_e32 v19, s11
	v_add_co_u32_e32 v4, vcc, s10, v4
	s_waitcnt lgkmcnt(0)
	v_add_u32_e32 v18, 1, v18
	v_addc_co_u32_e32 v5, vcc, v19, v5, vcc
	ds_write_b32 v1, v18 offset:24
	global_store_dword v[4:5], v8, off
                                        ; implicit-def: $vgpr4_vgpr5
.LBB175_11:                             ;   in Loop: Header=BB175_3 Depth=1
	s_andn2_saveexec_b64 s[50:51], s[50:51]
	s_cbranch_execz .LBB175_25
; %bb.12:                               ;   in Loop: Header=BB175_3 Depth=1
	v_cmp_gt_u64_e32 vcc, s[24:25], v[4:5]
	s_and_b64 s[52:53], s[26:27], vcc
	s_and_saveexec_b64 s[54:55], s[52:53]
	s_xor_b64 s[52:53], exec, s[54:55]
	s_cbranch_execz .LBB175_14
; %bb.13:                               ;   in Loop: Header=BB175_3 Depth=1
	ds_read_b32 v18, v1 offset:28
	v_lshlrev_b64 v[4:5], 2, v[2:3]
	v_mov_b32_e32 v19, s11
	v_add_co_u32_e32 v4, vcc, s10, v4
	s_waitcnt lgkmcnt(0)
	v_add_u32_e32 v18, 1, v18
	v_addc_co_u32_e32 v5, vcc, v19, v5, vcc
	ds_write_b32 v1, v18 offset:28
	global_store_dword v[4:5], v9, off
                                        ; implicit-def: $vgpr4_vgpr5
.LBB175_14:                             ;   in Loop: Header=BB175_3 Depth=1
	s_andn2_saveexec_b64 s[52:53], s[52:53]
	s_cbranch_execz .LBB175_24
; %bb.15:                               ;   in Loop: Header=BB175_3 Depth=1
	;; [unrolled: 20-line block ×3, first 2 shown]
	v_cmp_gt_u64_e32 vcc, s[34:35], v[4:5]
	v_lshlrev_b64 v[4:5], 2, v[2:3]
	s_and_b64 s[56:57], s[36:37], vcc
	v_mov_b32_e32 v18, s11
	v_add_co_u32_e32 v4, vcc, s10, v4
	v_addc_co_u32_e32 v5, vcc, v18, v5, vcc
	s_and_saveexec_b64 s[58:59], s[56:57]
	s_xor_b64 s[56:57], exec, s[58:59]
	s_cbranch_execz .LBB175_20
; %bb.19:                               ;   in Loop: Header=BB175_3 Depth=1
	ds_read_b32 v18, v1 offset:36
	global_store_dword v[4:5], v11, off
                                        ; implicit-def: $vgpr4_vgpr5
	s_waitcnt lgkmcnt(0)
	v_add_u32_e32 v18, 1, v18
	ds_write_b32 v1, v18 offset:36
.LBB175_20:                             ;   in Loop: Header=BB175_3 Depth=1
	s_andn2_saveexec_b64 s[56:57], s[56:57]
	s_cbranch_execz .LBB175_22
; %bb.21:                               ;   in Loop: Header=BB175_3 Depth=1
	ds_read_b32 v18, v1 offset:40
	global_store_dword v[4:5], v12, off
	s_waitcnt lgkmcnt(0)
	v_add_u32_e32 v18, 1, v18
	ds_write_b32 v1, v18 offset:40
.LBB175_22:                             ;   in Loop: Header=BB175_3 Depth=1
	s_or_b64 exec, exec, s[56:57]
.LBB175_23:                             ;   in Loop: Header=BB175_3 Depth=1
	s_or_b64 exec, exec, s[54:55]
.LBB175_24:                             ;   in Loop: Header=BB175_3 Depth=1
	s_or_b64 exec, exec, s[52:53]
.LBB175_25:                             ;   in Loop: Header=BB175_3 Depth=1
	s_or_b64 exec, exec, s[50:51]
.LBB175_26:                             ;   in Loop: Header=BB175_3 Depth=1
	s_andn2_saveexec_b64 s[48:49], s[48:49]
	s_cbranch_execz .LBB175_28
; %bb.27:                               ;   in Loop: Header=BB175_3 Depth=1
	ds_read_b32 v18, v1 offset:20
	v_lshlrev_b64 v[4:5], 2, v[2:3]
	v_mov_b32_e32 v19, s11
	v_add_co_u32_e32 v4, vcc, s10, v4
	s_waitcnt lgkmcnt(0)
	v_add_u32_e32 v18, 1, v18
	v_addc_co_u32_e32 v5, vcc, v19, v5, vcc
	ds_write_b32 v1, v18 offset:20
	global_store_dword v[4:5], v13, off
.LBB175_28:                             ;   in Loop: Header=BB175_3 Depth=1
	s_or_b64 exec, exec, s[48:49]
.LBB175_29:                             ;   in Loop: Header=BB175_3 Depth=1
	s_andn2_saveexec_b64 s[46:47], s[46:47]
	s_cbranch_execz .LBB175_31
; %bb.30:                               ;   in Loop: Header=BB175_3 Depth=1
	ds_read_b32 v18, v1 offset:16
	v_lshlrev_b64 v[4:5], 2, v[2:3]
	v_mov_b32_e32 v19, s11
	v_add_co_u32_e32 v4, vcc, s10, v4
	s_waitcnt lgkmcnt(0)
	v_add_u32_e32 v18, 1, v18
	v_addc_co_u32_e32 v5, vcc, v19, v5, vcc
	ds_write_b32 v1, v18 offset:16
	global_store_dword v[4:5], v14, off
.LBB175_31:                             ;   in Loop: Header=BB175_3 Depth=1
	s_or_b64 exec, exec, s[46:47]
.LBB175_32:                             ;   in Loop: Header=BB175_3 Depth=1
	s_andn2_saveexec_b64 s[44:45], s[44:45]
	s_cbranch_execz .LBB175_34
; %bb.33:                               ;   in Loop: Header=BB175_3 Depth=1
	ds_read_b32 v18, v1 offset:12
	v_lshlrev_b64 v[4:5], 2, v[2:3]
	v_mov_b32_e32 v19, s11
	v_add_co_u32_e32 v4, vcc, s10, v4
	s_waitcnt lgkmcnt(0)
	v_add_u32_e32 v18, 1, v18
	v_addc_co_u32_e32 v5, vcc, v19, v5, vcc
	ds_write_b32 v1, v18 offset:12
	global_store_dword v[4:5], v15, off
.LBB175_34:                             ;   in Loop: Header=BB175_3 Depth=1
	s_or_b64 exec, exec, s[44:45]
.LBB175_35:                             ;   in Loop: Header=BB175_3 Depth=1
	s_andn2_saveexec_b64 s[42:43], s[42:43]
	s_cbranch_execz .LBB175_37
; %bb.36:                               ;   in Loop: Header=BB175_3 Depth=1
	ds_read_b32 v18, v1 offset:8
	v_lshlrev_b64 v[4:5], 2, v[2:3]
	v_mov_b32_e32 v19, s11
	v_add_co_u32_e32 v4, vcc, s10, v4
	s_waitcnt lgkmcnt(0)
	v_add_u32_e32 v18, 1, v18
	v_addc_co_u32_e32 v5, vcc, v19, v5, vcc
	ds_write_b32 v1, v18 offset:8
	global_store_dword v[4:5], v16, off
.LBB175_37:                             ;   in Loop: Header=BB175_3 Depth=1
	s_or_b64 exec, exec, s[42:43]
.LBB175_38:                             ;   in Loop: Header=BB175_3 Depth=1
	s_andn2_saveexec_b64 s[40:41], s[40:41]
	s_cbranch_execz .LBB175_40
; %bb.39:                               ;   in Loop: Header=BB175_3 Depth=1
	ds_read_b32 v18, v1 offset:4
	v_lshlrev_b64 v[4:5], 2, v[2:3]
	v_mov_b32_e32 v19, s11
	v_add_co_u32_e32 v4, vcc, s10, v4
	s_waitcnt lgkmcnt(0)
	v_add_u32_e32 v18, 1, v18
	v_addc_co_u32_e32 v5, vcc, v19, v5, vcc
	ds_write_b32 v1, v18 offset:4
	global_store_dword v[4:5], v17, off
.LBB175_40:                             ;   in Loop: Header=BB175_3 Depth=1
	s_or_b64 exec, exec, s[40:41]
.LBB175_41:                             ;   in Loop: Header=BB175_3 Depth=1
	s_andn2_saveexec_b64 s[38:39], s[38:39]
	s_cbranch_execz .LBB175_2
; %bb.42:                               ;   in Loop: Header=BB175_3 Depth=1
	ds_read_b32 v18, v1
	v_lshlrev_b64 v[4:5], 2, v[2:3]
	v_mov_b32_e32 v3, s11
	v_add_co_u32_e32 v4, vcc, s10, v4
	s_waitcnt lgkmcnt(0)
	v_add_u32_e32 v18, 1, v18
	v_addc_co_u32_e32 v5, vcc, v3, v5, vcc
	ds_write_b32 v1, v18
	global_store_dword v[4:5], v6, off
	s_branch .LBB175_2
.LBB175_43:
	s_or_b64 exec, exec, s[2:3]
	s_movk_i32 s2, 0x80
	v_cmp_gt_u32_e32 vcc, s2, v0
	s_waitcnt lgkmcnt(0)
	s_barrier
	s_barrier
	;; [unrolled: 1-line block ×3, first 2 shown]
	s_and_saveexec_b64 s[2:3], vcc
	s_cbranch_execz .LBB175_45
; %bb.44:
	v_add_u32_e32 v2, 0x1600, v1
	v_add_u32_e32 v4, 0x1608, v1
	;; [unrolled: 1-line block ×3, first 2 shown]
	ds_read2_b32 v[2:3], v2 offset1:1
	ds_read2_b32 v[4:5], v4 offset1:1
	;; [unrolled: 1-line block ×4, first 2 shown]
	ds_read2_b32 v[10:11], v1 offset0:2 offset1:3
	ds_read2_b32 v[12:13], v1 offset0:4 offset1:5
	;; [unrolled: 1-line block ×4, first 2 shown]
	s_waitcnt lgkmcnt(4)
	v_add_u32_e32 v3, v9, v3
	v_add_u32_e32 v2, v8, v2
	ds_write2_b32 v1, v2, v3 offset1:1
	s_waitcnt lgkmcnt(4)
	v_add_u32_e32 v2, v11, v5
	v_add_u32_e32 v3, v10, v4
	ds_write2_b32 v1, v3, v2 offset0:2 offset1:3
	v_add_u32_e32 v2, 0x1618, v1
	ds_read2_b32 v[2:3], v2 offset1:1
	s_waitcnt lgkmcnt(5)
	v_add_u32_e32 v4, v13, v7
	v_add_u32_e32 v5, v12, v6
	ds_write2_b32 v1, v5, v4 offset0:4 offset1:5
	v_add_u32_e32 v4, 0x1620, v1
	ds_read2_b32 v[4:5], v4 offset1:1
	s_waitcnt lgkmcnt(2)
	v_add_u32_e32 v7, v14, v2
	v_add_u32_e32 v2, 40, v1
	;; [unrolled: 1-line block ×3, first 2 shown]
	ds_read2st64_b32 v[2:3], v2 offset1:22
	s_waitcnt lgkmcnt(1)
	v_add_u32_e32 v5, v17, v5
	v_add_u32_e32 v4, v16, v4
	ds_write2_b32 v1, v7, v6 offset0:6 offset1:7
	ds_write2_b32 v1, v4, v5 offset0:8 offset1:9
	s_waitcnt lgkmcnt(2)
	v_add_u32_e32 v2, v2, v3
	ds_write_b32 v1, v2 offset:40
.LBB175_45:
	s_or_b64 exec, exec, s[2:3]
	v_cmp_gt_u32_e32 vcc, 64, v0
	s_waitcnt lgkmcnt(0)
	s_barrier
	s_and_saveexec_b64 s[2:3], vcc
	s_cbranch_execz .LBB175_47
; %bb.46:
	v_add_u32_e32 v2, 0xb00, v1
	v_add_u32_e32 v4, 0xb08, v1
	;; [unrolled: 1-line block ×3, first 2 shown]
	ds_read2_b32 v[2:3], v2 offset1:1
	ds_read2_b32 v[4:5], v4 offset1:1
	;; [unrolled: 1-line block ×4, first 2 shown]
	ds_read2_b32 v[10:11], v1 offset0:2 offset1:3
	ds_read2_b32 v[12:13], v1 offset0:4 offset1:5
	;; [unrolled: 1-line block ×4, first 2 shown]
	s_waitcnt lgkmcnt(4)
	v_add_u32_e32 v3, v9, v3
	v_add_u32_e32 v2, v8, v2
	ds_write2_b32 v1, v2, v3 offset1:1
	s_waitcnt lgkmcnt(4)
	v_add_u32_e32 v2, v11, v5
	v_add_u32_e32 v3, v10, v4
	ds_write2_b32 v1, v3, v2 offset0:2 offset1:3
	v_add_u32_e32 v2, 0xb18, v1
	ds_read2_b32 v[2:3], v2 offset1:1
	s_waitcnt lgkmcnt(5)
	v_add_u32_e32 v4, v13, v7
	v_add_u32_e32 v5, v12, v6
	ds_write2_b32 v1, v5, v4 offset0:4 offset1:5
	v_add_u32_e32 v4, 0xb20, v1
	ds_read2_b32 v[4:5], v4 offset1:1
	s_waitcnt lgkmcnt(2)
	v_add_u32_e32 v7, v14, v2
	v_add_u32_e32 v2, 40, v1
	;; [unrolled: 1-line block ×3, first 2 shown]
	ds_read2st64_b32 v[2:3], v2 offset1:11
	s_waitcnt lgkmcnt(1)
	v_add_u32_e32 v5, v17, v5
	v_add_u32_e32 v4, v16, v4
	ds_write2_b32 v1, v7, v6 offset0:6 offset1:7
	ds_write2_b32 v1, v4, v5 offset0:8 offset1:9
	s_waitcnt lgkmcnt(2)
	v_add_u32_e32 v2, v2, v3
	ds_write_b32 v1, v2 offset:40
.LBB175_47:
	s_or_b64 exec, exec, s[2:3]
	v_cmp_gt_u32_e32 vcc, 32, v0
	s_waitcnt lgkmcnt(0)
	s_barrier
	s_and_saveexec_b64 s[2:3], vcc
	s_cbranch_execz .LBB175_49
; %bb.48:
	v_add_u32_e32 v2, 0x580, v1
	ds_read2_b32 v[2:3], v2 offset1:1
	ds_read2_b32 v[4:5], v1 offset1:1
	ds_read2_b32 v[6:7], v1 offset0:2 offset1:3
	ds_read2_b32 v[8:9], v1 offset0:4 offset1:5
	ds_read2_b32 v[10:11], v1 offset0:6 offset1:7
	ds_read_b32 v16, v1 offset:1448
	s_waitcnt lgkmcnt(4)
	v_add_u32_e32 v3, v5, v3
	v_add_u32_e32 v2, v4, v2
	ds_write2_b32 v1, v2, v3 offset1:1
	v_add_u32_e32 v2, 0x588, v1
	ds_read2_b32 v[2:3], v2 offset1:1
	v_add_u32_e32 v4, 0x590, v1
	v_add_u32_e32 v12, 0x598, v1
	;; [unrolled: 1-line block ×3, first 2 shown]
	ds_read2_b32 v[4:5], v4 offset1:1
	ds_read2_b32 v[12:13], v12 offset1:1
	ds_read2_b32 v[14:15], v14 offset1:1
	s_waitcnt lgkmcnt(3)
	v_add_u32_e32 v3, v7, v3
	v_add_u32_e32 v2, v6, v2
	ds_write2_b32 v1, v2, v3 offset0:2 offset1:3
	s_waitcnt lgkmcnt(3)
	v_add_u32_e32 v2, v9, v5
	v_add_u32_e32 v3, v8, v4
	ds_write2_b32 v1, v3, v2 offset0:4 offset1:5
	ds_read2_b32 v[2:3], v1 offset0:8 offset1:9
	ds_read_b32 v6, v1 offset:40
	s_waitcnt lgkmcnt(5)
	v_add_u32_e32 v4, v11, v13
	v_add_u32_e32 v5, v10, v12
	ds_write2_b32 v1, v5, v4 offset0:6 offset1:7
	s_waitcnt lgkmcnt(2)
	v_add_u32_e32 v3, v3, v15
	v_add_u32_e32 v2, v2, v14
	ds_write2_b32 v1, v2, v3 offset0:8 offset1:9
	s_waitcnt lgkmcnt(2)
	v_add_u32_e32 v2, v6, v16
	ds_write_b32 v1, v2 offset:40
.LBB175_49:
	s_or_b64 exec, exec, s[2:3]
	v_cmp_gt_u32_e32 vcc, 16, v0
	s_waitcnt lgkmcnt(0)
	s_barrier
	s_and_saveexec_b64 s[2:3], vcc
	s_cbranch_execz .LBB175_51
; %bb.50:
	ds_read2_b32 v[2:3], v1 offset0:176 offset1:177
	ds_read2_b32 v[4:5], v1 offset0:178 offset1:179
	ds_read2_b32 v[6:7], v1 offset0:180 offset1:181
	ds_read2_b32 v[8:9], v1 offset1:1
	ds_read2_b32 v[10:11], v1 offset0:2 offset1:3
	ds_read2_b32 v[12:13], v1 offset0:4 offset1:5
	ds_read2_b32 v[14:15], v1 offset0:6 offset1:7
	ds_read2_b32 v[16:17], v1 offset0:8 offset1:9
	s_waitcnt lgkmcnt(4)
	v_add_u32_e32 v3, v9, v3
	v_add_u32_e32 v2, v8, v2
	ds_write2_b32 v1, v2, v3 offset1:1
	s_waitcnt lgkmcnt(4)
	v_add_u32_e32 v2, v11, v5
	v_add_u32_e32 v3, v10, v4
	ds_write2_b32 v1, v3, v2 offset0:2 offset1:3
	ds_read2_b32 v[2:3], v1 offset0:182 offset1:183
	s_waitcnt lgkmcnt(5)
	v_add_u32_e32 v4, v13, v7
	v_add_u32_e32 v5, v12, v6
	ds_write2_b32 v1, v5, v4 offset0:4 offset1:5
	ds_read2_b32 v[4:5], v1 offset0:184 offset1:185
	s_waitcnt lgkmcnt(2)
	v_add_u32_e32 v6, v15, v3
	v_add_u32_e32 v7, v14, v2
	ds_read2_b32 v[2:3], v1 offset0:10 offset1:186
	ds_write2_b32 v1, v7, v6 offset0:6 offset1:7
	s_waitcnt lgkmcnt(2)
	v_add_u32_e32 v5, v17, v5
	v_add_u32_e32 v4, v16, v4
	ds_write2_b32 v1, v4, v5 offset0:8 offset1:9
	s_waitcnt lgkmcnt(2)
	v_add_u32_e32 v2, v2, v3
	ds_write_b32 v1, v2 offset:40
.LBB175_51:
	s_or_b64 exec, exec, s[2:3]
	v_cmp_gt_u32_e32 vcc, 8, v0
	s_waitcnt lgkmcnt(0)
	s_barrier
	s_and_saveexec_b64 s[2:3], vcc
	s_cbranch_execz .LBB175_53
; %bb.52:
	ds_read2_b32 v[2:3], v1 offset0:88 offset1:89
	ds_read2_b32 v[4:5], v1 offset0:90 offset1:91
	ds_read2_b32 v[6:7], v1 offset0:92 offset1:93
	ds_read2_b32 v[8:9], v1 offset1:1
	ds_read2_b32 v[10:11], v1 offset0:2 offset1:3
	ds_read2_b32 v[12:13], v1 offset0:4 offset1:5
	ds_read2_b32 v[14:15], v1 offset0:6 offset1:7
	ds_read2_b32 v[16:17], v1 offset0:8 offset1:9
	s_waitcnt lgkmcnt(4)
	v_add_u32_e32 v3, v9, v3
	v_add_u32_e32 v2, v8, v2
	ds_write2_b32 v1, v2, v3 offset1:1
	s_waitcnt lgkmcnt(4)
	v_add_u32_e32 v2, v11, v5
	v_add_u32_e32 v3, v10, v4
	ds_write2_b32 v1, v3, v2 offset0:2 offset1:3
	ds_read2_b32 v[2:3], v1 offset0:94 offset1:95
	s_waitcnt lgkmcnt(5)
	v_add_u32_e32 v4, v13, v7
	v_add_u32_e32 v5, v12, v6
	ds_write2_b32 v1, v5, v4 offset0:4 offset1:5
	ds_read2_b32 v[4:5], v1 offset0:96 offset1:97
	s_waitcnt lgkmcnt(2)
	v_add_u32_e32 v6, v15, v3
	v_add_u32_e32 v7, v14, v2
	ds_read2_b32 v[2:3], v1 offset0:10 offset1:98
	ds_write2_b32 v1, v7, v6 offset0:6 offset1:7
	s_waitcnt lgkmcnt(2)
	v_add_u32_e32 v5, v17, v5
	v_add_u32_e32 v4, v16, v4
	ds_write2_b32 v1, v4, v5 offset0:8 offset1:9
	s_waitcnt lgkmcnt(2)
	v_add_u32_e32 v2, v2, v3
	ds_write_b32 v1, v2 offset:40
.LBB175_53:
	;; [unrolled: 42-line block ×4, first 2 shown]
	s_or_b64 exec, exec, s[2:3]
	v_cmp_eq_u32_e32 vcc, 0, v0
	s_waitcnt lgkmcnt(0)
	s_barrier
	s_and_saveexec_b64 s[2:3], vcc
	s_cbranch_execz .LBB175_59
; %bb.58:
	v_mov_b32_e32 v1, 0
	ds_read2_b32 v[14:15], v1 offset0:11 offset1:12
	ds_read_b128 v[2:5], v1
	ds_read_b128 v[6:9], v1 offset:16
	ds_read_b96 v[10:12], v1 offset:32
	ds_read2_b32 v[16:17], v1 offset0:13 offset1:14
	s_waitcnt lgkmcnt(3)
	v_add_u32_e32 v3, v3, v15
	v_add_u32_e32 v2, v2, v14
	ds_read2_b32 v[14:15], v1 offset0:15 offset1:16
	ds_read2_b32 v[18:19], v1 offset0:17 offset1:18
	ds_read2_b32 v[20:21], v1 offset0:19 offset1:20
	s_waitcnt lgkmcnt(3)
	v_add_u32_e32 v5, v5, v17
	v_add_u32_e32 v4, v4, v16
	ds_write_b128 v1, v[2:5]
	s_waitcnt lgkmcnt(3)
	v_add_u32_e32 v2, v6, v14
	ds_read_b32 v6, v1 offset:84
	v_add_u32_e32 v3, v7, v15
	s_waitcnt lgkmcnt(3)
	v_add_u32_e32 v5, v9, v19
	v_add_u32_e32 v4, v8, v18
	ds_write_b128 v1, v[2:5] offset:16
	s_waitcnt lgkmcnt(3)
	v_add_u32_e32 v3, v11, v21
	v_add_u32_e32 v2, v10, v20
	s_waitcnt lgkmcnt(1)
	v_add_u32_e32 v4, v12, v6
	ds_write_b96 v1, v[2:4] offset:32
.LBB175_59:
	s_or_b64 exec, exec, s[2:3]
	v_cmp_gt_u32_e32 vcc, 11, v0
	s_waitcnt lgkmcnt(0)
	s_barrier
	s_and_saveexec_b64 s[2:3], vcc
	s_cbranch_execz .LBB175_61
; %bb.60:
	v_mad_u64_u32 v[2:3], s[2:3], s6, 11, v[0:1]
	v_lshlrev_b32_e32 v0, 2, v0
	ds_read_b32 v4, v0
	v_mov_b32_e32 v3, 0
	v_lshlrev_b64 v[2:3], 2, v[2:3]
	v_mov_b32_e32 v1, s1
	v_add_co_u32_e32 v0, vcc, s0, v2
	v_addc_co_u32_e32 v1, vcc, v1, v3, vcc
	s_waitcnt lgkmcnt(0)
	global_store_dword v[0:1], v4, off
.LBB175_61:
	s_endpgm
	.section	.rodata,"a",@progbits
	.p2align	6, 0x0
	.amdhsa_kernel _ZN9rocsparseL26csrgemm_group_reduce_part2ILj256ELj11EfliEEvT3_PKT2_PS1_Pij
		.amdhsa_group_segment_fixed_size 11264
		.amdhsa_private_segment_fixed_size 0
		.amdhsa_kernarg_size 296
		.amdhsa_user_sgpr_count 6
		.amdhsa_user_sgpr_private_segment_buffer 1
		.amdhsa_user_sgpr_dispatch_ptr 0
		.amdhsa_user_sgpr_queue_ptr 0
		.amdhsa_user_sgpr_kernarg_segment_ptr 1
		.amdhsa_user_sgpr_dispatch_id 0
		.amdhsa_user_sgpr_flat_scratch_init 0
		.amdhsa_user_sgpr_kernarg_preload_length 0
		.amdhsa_user_sgpr_kernarg_preload_offset 0
		.amdhsa_user_sgpr_private_segment_size 0
		.amdhsa_uses_dynamic_stack 0
		.amdhsa_system_sgpr_private_segment_wavefront_offset 0
		.amdhsa_system_sgpr_workgroup_id_x 1
		.amdhsa_system_sgpr_workgroup_id_y 0
		.amdhsa_system_sgpr_workgroup_id_z 0
		.amdhsa_system_sgpr_workgroup_info 0
		.amdhsa_system_vgpr_workitem_id 0
		.amdhsa_next_free_vgpr 22
		.amdhsa_next_free_sgpr 60
		.amdhsa_accum_offset 24
		.amdhsa_reserve_vcc 1
		.amdhsa_reserve_flat_scratch 0
		.amdhsa_float_round_mode_32 0
		.amdhsa_float_round_mode_16_64 0
		.amdhsa_float_denorm_mode_32 3
		.amdhsa_float_denorm_mode_16_64 3
		.amdhsa_dx10_clamp 1
		.amdhsa_ieee_mode 1
		.amdhsa_fp16_overflow 0
		.amdhsa_tg_split 0
		.amdhsa_exception_fp_ieee_invalid_op 0
		.amdhsa_exception_fp_denorm_src 0
		.amdhsa_exception_fp_ieee_div_zero 0
		.amdhsa_exception_fp_ieee_overflow 0
		.amdhsa_exception_fp_ieee_underflow 0
		.amdhsa_exception_fp_ieee_inexact 0
		.amdhsa_exception_int_div_zero 0
	.end_amdhsa_kernel
	.section	.text._ZN9rocsparseL26csrgemm_group_reduce_part2ILj256ELj11EfliEEvT3_PKT2_PS1_Pij,"axG",@progbits,_ZN9rocsparseL26csrgemm_group_reduce_part2ILj256ELj11EfliEEvT3_PKT2_PS1_Pij,comdat
.Lfunc_end175:
	.size	_ZN9rocsparseL26csrgemm_group_reduce_part2ILj256ELj11EfliEEvT3_PKT2_PS1_Pij, .Lfunc_end175-_ZN9rocsparseL26csrgemm_group_reduce_part2ILj256ELj11EfliEEvT3_PKT2_PS1_Pij
                                        ; -- End function
	.section	.AMDGPU.csdata,"",@progbits
; Kernel info:
; codeLenInByte = 3252
; NumSgprs: 64
; NumVgprs: 22
; NumAgprs: 0
; TotalNumVgprs: 22
; ScratchSize: 0
; MemoryBound: 0
; FloatMode: 240
; IeeeMode: 1
; LDSByteSize: 11264 bytes/workgroup (compile time only)
; SGPRBlocks: 7
; VGPRBlocks: 2
; NumSGPRsForWavesPerEU: 64
; NumVGPRsForWavesPerEU: 22
; AccumOffset: 24
; Occupancy: 5
; WaveLimiterHint : 0
; COMPUTE_PGM_RSRC2:SCRATCH_EN: 0
; COMPUTE_PGM_RSRC2:USER_SGPR: 6
; COMPUTE_PGM_RSRC2:TRAP_HANDLER: 0
; COMPUTE_PGM_RSRC2:TGID_X_EN: 1
; COMPUTE_PGM_RSRC2:TGID_Y_EN: 0
; COMPUTE_PGM_RSRC2:TGID_Z_EN: 0
; COMPUTE_PGM_RSRC2:TIDIG_COMP_CNT: 0
; COMPUTE_PGM_RSRC3_GFX90A:ACCUM_OFFSET: 5
; COMPUTE_PGM_RSRC3_GFX90A:TG_SPLIT: 0
	.section	.text._ZN9rocsparseL23csrgemm_fill_wf_per_rowILj256ELj8ELj16ELj137ElifEEvT4_S1_PKS1_S3_NS_24const_host_device_scalarIT5_EEPKT3_S3_PKS5_S9_S3_SB_S6_S9_S3_SB_S9_PS1_PS5_21rocsparse_index_base_SE_SE_SE_bbb,"axG",@progbits,_ZN9rocsparseL23csrgemm_fill_wf_per_rowILj256ELj8ELj16ELj137ElifEEvT4_S1_PKS1_S3_NS_24const_host_device_scalarIT5_EEPKT3_S3_PKS5_S9_S3_SB_S6_S9_S3_SB_S9_PS1_PS5_21rocsparse_index_base_SE_SE_SE_bbb,comdat
	.globl	_ZN9rocsparseL23csrgemm_fill_wf_per_rowILj256ELj8ELj16ELj137ElifEEvT4_S1_PKS1_S3_NS_24const_host_device_scalarIT5_EEPKT3_S3_PKS5_S9_S3_SB_S6_S9_S3_SB_S9_PS1_PS5_21rocsparse_index_base_SE_SE_SE_bbb ; -- Begin function _ZN9rocsparseL23csrgemm_fill_wf_per_rowILj256ELj8ELj16ELj137ElifEEvT4_S1_PKS1_S3_NS_24const_host_device_scalarIT5_EEPKT3_S3_PKS5_S9_S3_SB_S6_S9_S3_SB_S9_PS1_PS5_21rocsparse_index_base_SE_SE_SE_bbb
	.p2align	8
	.type	_ZN9rocsparseL23csrgemm_fill_wf_per_rowILj256ELj8ELj16ELj137ElifEEvT4_S1_PKS1_S3_NS_24const_host_device_scalarIT5_EEPKT3_S3_PKS5_S9_S3_SB_S6_S9_S3_SB_S9_PS1_PS5_21rocsparse_index_base_SE_SE_SE_bbb,@function
_ZN9rocsparseL23csrgemm_fill_wf_per_rowILj256ELj8ELj16ELj137ElifEEvT4_S1_PKS1_S3_NS_24const_host_device_scalarIT5_EEPKT3_S3_PKS5_S9_S3_SB_S6_S9_S3_SB_S9_PS1_PS5_21rocsparse_index_base_SE_SE_SE_bbb: ; @_ZN9rocsparseL23csrgemm_fill_wf_per_rowILj256ELj8ELj16ELj137ElifEEvT4_S1_PKS1_S3_NS_24const_host_device_scalarIT5_EEPKT3_S3_PKS5_S9_S3_SB_S6_S9_S3_SB_S9_PS1_PS5_21rocsparse_index_base_SE_SE_SE_bbb
; %bb.0:
	s_load_dword s7, s[4:5], 0x98
	s_load_dwordx4 s[24:27], s[4:5], 0x88
	s_load_dwordx2 s[0:1], s[4:5], 0x18
	s_load_dwordx2 s[34:35], s[4:5], 0x50
	s_waitcnt lgkmcnt(0)
	s_bitcmp1_b32 s7, 0
	s_cselect_b64 s[2:3], -1, 0
	s_bitcmp1_b32 s7, 16
	s_cselect_b64 s[44:45], -1, 0
	s_xor_b64 s[8:9], s[2:3], -1
	s_or_b64 s[8:9], s[8:9], s[44:45]
	s_and_b64 vcc, exec, s[8:9]
	s_cbranch_vccnz .LBB176_2
; %bb.1:
	s_load_dword s0, s[0:1], 0x0
	s_waitcnt lgkmcnt(0)
	v_mov_b32_e32 v17, s0
	s_branch .LBB176_3
.LBB176_2:
	v_mov_b32_e32 v1, s0
	v_cndmask_b32_e64 v17, 0, v1, s[2:3]
.LBB176_3:
	s_load_dwordx4 s[28:31], s[4:5], 0x78
	s_load_dwordx8 s[8:15], s[4:5], 0x58
	s_load_dwordx4 s[36:39], s[4:5], 0x40
	s_load_dwordx4 s[40:43], s[4:5], 0x8
	s_load_dwordx8 s[16:23], s[4:5], 0x20
	s_bitcmp1_b32 s7, 8
	s_cselect_b64 s[0:1], -1, 0
	s_xor_b64 s[46:47], s[0:1], -1
	s_or_b64 s[44:45], s[46:47], s[44:45]
	s_and_b64 vcc, exec, s[44:45]
	s_cbranch_vccnz .LBB176_5
; %bb.4:
	s_load_dword s7, s[34:35], 0x0
	s_waitcnt lgkmcnt(0)
	v_mov_b32_e32 v15, s7
	s_branch .LBB176_6
.LBB176_5:
	v_mov_b32_e32 v1, s34
	v_cndmask_b32_e64 v15, 0, v1, s[0:1]
.LBB176_6:
	s_load_dwordx2 s[4:5], s[4:5], 0x0
	v_and_b32_e32 v18, 7, v0
	v_lshrrev_b32_e32 v1, 3, v0
	v_lshlrev_b32_e32 v0, 2, v18
	v_or_b32_e32 v12, -8, v18
	v_lshl_or_b32 v13, v1, 6, v0
	s_mov_b64 s[34:35], 0
	s_waitcnt lgkmcnt(0)
	v_mov_b32_e32 v0, s5
	v_mov_b32_e32 v2, 0
	;; [unrolled: 1-line block ×4, first 2 shown]
.LBB176_7:                              ; =>This Inner Loop Header: Depth=1
	v_add_co_u32_e32 v4, vcc, 8, v4
	s_xor_b64 s[44:45], vcc, -1
	s_and_b64 s[44:45], exec, s[44:45]
	ds_write2st64_b32 v3, v2, v0 offset1:8
	s_or_b64 s[34:35], s[44:45], s[34:35]
	v_add_u32_e32 v3, 32, v3
	s_andn2_b64 exec, exec, s[34:35]
	s_cbranch_execnz .LBB176_7
; %bb.8:
	s_or_b64 exec, exec, s[34:35]
	s_lshl_b32 s6, s6, 5
	s_and_b32 s6, s6, 0x1fffffe0
	v_or_b32_e32 v0, s6, v1
	v_cmp_gt_i32_e32 vcc, s4, v0
	s_waitcnt lgkmcnt(0)
	s_and_saveexec_b64 s[6:7], vcc
	s_cbranch_execz .LBB176_52
; %bb.9:
	s_cmp_eq_u64 s[42:43], 0
	s_cbranch_scc1 .LBB176_11
; %bb.10:
	s_load_dword s4, s[40:41], 0x0
	v_mov_b32_e32 v4, s43
	s_waitcnt lgkmcnt(0)
	v_add_u32_e32 v2, s4, v0
	v_ashrrev_i32_e32 v3, 31, v2
	v_lshlrev_b64 v[2:3], 2, v[2:3]
	v_add_co_u32_e32 v2, vcc, s42, v2
	v_addc_co_u32_e32 v3, vcc, v4, v3, vcc
	global_load_dword v0, v[2:3], off
.LBB176_11:
	v_lshlrev_b32_e32 v16, 6, v1
	s_waitcnt vmcnt(0)
	v_ashrrev_i32_e32 v1, 31, v0
	v_or_b32_e32 v14, 0x800, v16
	s_andn2_b64 vcc, exec, s[2:3]
	v_lshlrev_b64 v[4:5], 3, v[0:1]
	s_cbranch_vccnz .LBB176_31
; %bb.12:
	v_mov_b32_e32 v1, s17
	v_add_co_u32_e32 v0, vcc, s16, v4
	v_addc_co_u32_e32 v1, vcc, v1, v5, vcc
	global_load_dwordx4 v[0:3], v[0:1], off
	v_subrev_co_u32_e32 v8, vcc, s24, v18
	v_subb_co_u32_e64 v9, s[2:3], 0, 0, vcc
	s_mov_b32 s4, 0
	s_waitcnt vmcnt(0)
	v_subrev_co_u32_e32 v6, vcc, s24, v2
	v_subbrev_co_u32_e32 v7, vcc, 0, v3, vcc
	v_add_co_u32_e32 v8, vcc, v0, v8
	v_addc_co_u32_e32 v9, vcc, v1, v9, vcc
	v_cmp_lt_i64_e32 vcc, v[8:9], v[6:7]
	s_and_saveexec_b64 s[2:3], vcc
	s_cbranch_execz .LBB176_30
; %bb.13:
	s_mov_b32 s33, s25
	s_mov_b64 s[6:7], 0
	v_mov_b32_e32 v19, s19
	v_mov_b32_e32 v20, s23
	s_branch .LBB176_15
.LBB176_14:                             ;   in Loop: Header=BB176_15 Depth=1
	s_or_b64 exec, exec, s[16:17]
	v_add_co_u32_e32 v8, vcc, 8, v8
	v_addc_co_u32_e32 v9, vcc, 0, v9, vcc
	v_cmp_ge_i64_e32 vcc, v[8:9], v[6:7]
	s_or_b64 s[6:7], vcc, s[6:7]
	s_andn2_b64 exec, exec, s[6:7]
	s_cbranch_execz .LBB176_30
.LBB176_15:                             ; =>This Loop Header: Depth=1
                                        ;     Child Loop BB176_18 Depth 2
                                        ;       Child Loop BB176_20 Depth 3
	v_lshlrev_b64 v[10:11], 2, v[8:9]
	v_add_co_u32_e32 v0, vcc, s18, v10
	v_addc_co_u32_e32 v1, vcc, v19, v11, vcc
	global_load_dword v0, v[0:1], off
	s_waitcnt vmcnt(0)
	v_subrev_u32_e32 v0, s24, v0
	v_ashrrev_i32_e32 v1, 31, v0
	v_lshlrev_b64 v[0:1], 3, v[0:1]
	v_add_co_u32_e32 v0, vcc, s22, v0
	v_addc_co_u32_e32 v1, vcc, v20, v1, vcc
	global_load_dwordx4 v[0:3], v[0:1], off
	s_waitcnt vmcnt(0)
	v_cmp_lt_i64_e32 vcc, v[0:1], v[2:3]
	s_and_saveexec_b64 s[16:17], vcc
	s_cbranch_execz .LBB176_14
; %bb.16:                               ;   in Loop: Header=BB176_15 Depth=1
	v_mov_b32_e32 v21, s21
	v_add_co_u32_e32 v10, vcc, s20, v10
	v_addc_co_u32_e32 v11, vcc, v21, v11, vcc
	global_load_dword v10, v[10:11], off
	v_mov_b32_e32 v11, s4
	v_subrev_co_u32_e32 v2, vcc, s33, v2
	v_subb_co_u32_e32 v3, vcc, v3, v11, vcc
	v_subrev_co_u32_e32 v0, vcc, s33, v0
	v_subb_co_u32_e32 v1, vcc, v1, v11, vcc
	s_mov_b64 s[34:35], 0
	s_waitcnt vmcnt(0)
	v_mul_f32_e32 v10, v17, v10
	s_branch .LBB176_18
.LBB176_17:                             ;   in Loop: Header=BB176_18 Depth=2
	s_or_b64 exec, exec, s[40:41]
	v_add_co_u32_e32 v0, vcc, 1, v0
	v_addc_co_u32_e32 v1, vcc, 0, v1, vcc
	v_cmp_ge_i64_e32 vcc, v[0:1], v[2:3]
	s_or_b64 s[34:35], vcc, s[34:35]
	s_andn2_b64 exec, exec, s[34:35]
	s_cbranch_execz .LBB176_14
.LBB176_18:                             ;   Parent Loop BB176_15 Depth=1
                                        ; =>  This Loop Header: Depth=2
                                        ;       Child Loop BB176_20 Depth 3
	v_lshlrev_b64 v[22:23], 2, v[0:1]
	v_mov_b32_e32 v11, s37
	v_add_co_u32_e32 v24, vcc, s36, v22
	v_addc_co_u32_e32 v25, vcc, v11, v23, vcc
	global_load_dword v11, v[24:25], off
	v_mov_b32_e32 v21, s39
	v_add_co_u32_e32 v22, vcc, s38, v22
	v_addc_co_u32_e32 v23, vcc, v21, v23, vcc
	global_load_dword v21, v[22:23], off
	s_mov_b64 s[40:41], 0
	s_waitcnt vmcnt(1)
	v_subrev_u32_e32 v11, s25, v11
	v_lshl_add_u32 v22, v11, 3, v11
	v_and_b32_e32 v22, 15, v22
	s_waitcnt vmcnt(0)
	v_mul_f32_e32 v21, v10, v21
	s_branch .LBB176_20
.LBB176_19:                             ;   in Loop: Header=BB176_20 Depth=3
	s_or_b64 exec, exec, s[42:43]
	s_xor_b64 s[42:43], s[44:45], -1
	s_and_b64 s[42:43], exec, s[42:43]
	s_or_b64 s[40:41], s[42:43], s[40:41]
	s_andn2_b64 exec, exec, s[40:41]
	s_cbranch_execz .LBB176_17
.LBB176_20:                             ;   Parent Loop BB176_15 Depth=1
                                        ;     Parent Loop BB176_18 Depth=2
                                        ; =>    This Inner Loop Header: Depth=3
	v_lshl_add_u32 v23, v22, 2, v14
	ds_read_b32 v24, v23
                                        ; implicit-def: $sgpr44_sgpr45
	s_waitcnt lgkmcnt(0)
	v_cmp_ne_u32_e32 vcc, v24, v11
	s_and_saveexec_b64 s[42:43], vcc
	s_xor_b64 s[42:43], exec, s[42:43]
	s_cbranch_execz .LBB176_28
; %bb.21:                               ;   in Loop: Header=BB176_20 Depth=3
	v_cmp_ne_u32_e32 vcc, s5, v24
                                        ; implicit-def: $sgpr44_sgpr45
	s_and_saveexec_b64 s[46:47], vcc
	s_xor_b64 s[46:47], exec, s[46:47]
; %bb.22:                               ;   in Loop: Header=BB176_20 Depth=3
	v_add_u32_e32 v22, 1, v22
	v_and_b32_e32 v22, 15, v22
	s_mov_b64 s[44:45], -1
                                        ; implicit-def: $vgpr23
; %bb.23:                               ;   in Loop: Header=BB176_20 Depth=3
	s_andn2_saveexec_b64 s[46:47], s[46:47]
	s_cbranch_execz .LBB176_27
; %bb.24:                               ;   in Loop: Header=BB176_20 Depth=3
	v_mov_b32_e32 v24, s5
	ds_cmpst_rtn_b32 v23, v23, v24, v11
	s_mov_b64 s[48:49], -1
	s_waitcnt lgkmcnt(0)
	v_cmp_eq_u32_e32 vcc, s5, v23
	s_and_saveexec_b64 s[50:51], vcc
	s_cbranch_execz .LBB176_26
; %bb.25:                               ;   in Loop: Header=BB176_20 Depth=3
	v_lshl_add_u32 v23, v22, 2, v16
	ds_add_f32 v23, v21
	s_xor_b64 s[48:49], exec, -1
.LBB176_26:                             ;   in Loop: Header=BB176_20 Depth=3
	s_or_b64 exec, exec, s[50:51]
	s_andn2_b64 s[44:45], s[44:45], exec
	s_and_b64 s[48:49], s[48:49], exec
	s_or_b64 s[44:45], s[44:45], s[48:49]
.LBB176_27:                             ;   in Loop: Header=BB176_20 Depth=3
	s_or_b64 exec, exec, s[46:47]
	s_and_b64 s[44:45], s[44:45], exec
.LBB176_28:                             ;   in Loop: Header=BB176_20 Depth=3
	s_andn2_saveexec_b64 s[42:43], s[42:43]
	s_cbranch_execz .LBB176_19
; %bb.29:                               ;   in Loop: Header=BB176_20 Depth=3
	v_lshl_add_u32 v23, v22, 2, v16
	ds_add_f32 v23, v21
	s_andn2_b64 s[44:45], s[44:45], exec
	s_branch .LBB176_19
.LBB176_30:
	s_or_b64 exec, exec, s[2:3]
.LBB176_31:
	s_andn2_b64 vcc, exec, s[0:1]
	s_cbranch_vccnz .LBB176_48
; %bb.32:
	v_mov_b32_e32 v1, s9
	v_add_co_u32_e32 v0, vcc, s8, v4
	v_addc_co_u32_e32 v1, vcc, v1, v5, vcc
	global_load_dwordx4 v[6:9], v[0:1], off
	v_subrev_co_u32_e32 v2, vcc, s27, v18
	v_subb_co_u32_e64 v3, s[0:1], 0, 0, vcc
	s_waitcnt vmcnt(0)
	v_subrev_co_u32_e32 v0, vcc, s27, v8
	v_subbrev_co_u32_e32 v1, vcc, 0, v9, vcc
	v_add_co_u32_e32 v2, vcc, v6, v2
	v_addc_co_u32_e32 v3, vcc, v7, v3, vcc
	v_cmp_lt_i64_e32 vcc, v[2:3], v[0:1]
	s_and_saveexec_b64 s[0:1], vcc
	s_cbranch_execz .LBB176_47
; %bb.33:
	s_mov_b64 s[2:3], 0
	v_mov_b32_e32 v6, s11
	v_mov_b32_e32 v7, s13
	s_branch .LBB176_35
.LBB176_34:                             ;   in Loop: Header=BB176_35 Depth=1
	s_or_b64 exec, exec, s[6:7]
	v_add_co_u32_e32 v2, vcc, 8, v2
	v_addc_co_u32_e32 v3, vcc, 0, v3, vcc
	v_cmp_ge_i64_e32 vcc, v[2:3], v[0:1]
	s_or_b64 s[2:3], vcc, s[2:3]
	s_andn2_b64 exec, exec, s[2:3]
	s_cbranch_execz .LBB176_47
.LBB176_35:                             ; =>This Loop Header: Depth=1
                                        ;     Child Loop BB176_37 Depth 2
	v_lshlrev_b64 v[8:9], 2, v[2:3]
	v_add_co_u32_e32 v10, vcc, s10, v8
	v_addc_co_u32_e32 v11, vcc, v6, v9, vcc
	global_load_dword v10, v[10:11], off
	v_add_co_u32_e32 v8, vcc, s12, v8
	v_addc_co_u32_e32 v9, vcc, v7, v9, vcc
	global_load_dword v9, v[8:9], off
	s_mov_b64 s[6:7], 0
	s_waitcnt vmcnt(1)
	v_subrev_u32_e32 v8, s27, v10
	v_lshl_add_u32 v10, v8, 3, v8
	v_and_b32_e32 v10, 15, v10
	s_waitcnt vmcnt(0)
	v_mul_f32_e32 v9, v15, v9
	s_branch .LBB176_37
.LBB176_36:                             ;   in Loop: Header=BB176_37 Depth=2
	s_or_b64 exec, exec, s[8:9]
	s_xor_b64 s[8:9], s[16:17], -1
	s_and_b64 s[8:9], exec, s[8:9]
	s_or_b64 s[6:7], s[8:9], s[6:7]
	s_andn2_b64 exec, exec, s[6:7]
	s_cbranch_execz .LBB176_34
.LBB176_37:                             ;   Parent Loop BB176_35 Depth=1
                                        ; =>  This Inner Loop Header: Depth=2
	v_lshl_add_u32 v11, v10, 2, v14
	ds_read_b32 v17, v11
                                        ; implicit-def: $sgpr16_sgpr17
	s_waitcnt lgkmcnt(0)
	v_cmp_ne_u32_e32 vcc, v17, v8
	s_and_saveexec_b64 s[8:9], vcc
	s_xor_b64 s[8:9], exec, s[8:9]
	s_cbranch_execz .LBB176_45
; %bb.38:                               ;   in Loop: Header=BB176_37 Depth=2
	v_cmp_ne_u32_e32 vcc, s5, v17
                                        ; implicit-def: $sgpr16_sgpr17
	s_and_saveexec_b64 s[18:19], vcc
	s_xor_b64 s[18:19], exec, s[18:19]
; %bb.39:                               ;   in Loop: Header=BB176_37 Depth=2
	v_add_u32_e32 v10, 1, v10
	v_and_b32_e32 v10, 15, v10
	s_mov_b64 s[16:17], -1
                                        ; implicit-def: $vgpr11
; %bb.40:                               ;   in Loop: Header=BB176_37 Depth=2
	s_andn2_saveexec_b64 s[18:19], s[18:19]
	s_cbranch_execz .LBB176_44
; %bb.41:                               ;   in Loop: Header=BB176_37 Depth=2
	v_mov_b32_e32 v17, s5
	ds_cmpst_rtn_b32 v11, v11, v17, v8
	s_mov_b64 s[20:21], -1
	s_waitcnt lgkmcnt(0)
	v_cmp_eq_u32_e32 vcc, s5, v11
	s_and_saveexec_b64 s[22:23], vcc
	s_cbranch_execz .LBB176_43
; %bb.42:                               ;   in Loop: Header=BB176_37 Depth=2
	v_lshl_add_u32 v11, v10, 2, v16
	ds_add_f32 v11, v9
	s_xor_b64 s[20:21], exec, -1
.LBB176_43:                             ;   in Loop: Header=BB176_37 Depth=2
	s_or_b64 exec, exec, s[22:23]
	s_andn2_b64 s[16:17], s[16:17], exec
	s_and_b64 s[20:21], s[20:21], exec
	s_or_b64 s[16:17], s[16:17], s[20:21]
.LBB176_44:                             ;   in Loop: Header=BB176_37 Depth=2
	s_or_b64 exec, exec, s[18:19]
	s_and_b64 s[16:17], s[16:17], exec
.LBB176_45:                             ;   in Loop: Header=BB176_37 Depth=2
	s_andn2_saveexec_b64 s[8:9], s[8:9]
	s_cbranch_execz .LBB176_36
; %bb.46:                               ;   in Loop: Header=BB176_37 Depth=2
	v_lshl_add_u32 v11, v10, 2, v16
	ds_add_f32 v11, v9
	s_andn2_b64 s[16:17], s[16:17], exec
	s_branch .LBB176_36
.LBB176_47:
	s_or_b64 exec, exec, s[0:1]
.LBB176_48:
	v_mov_b32_e32 v1, s15
	v_add_co_u32_e32 v0, vcc, s14, v4
	v_addc_co_u32_e32 v1, vcc, v1, v5, vcc
	s_waitcnt lgkmcnt(0)
	global_load_dwordx2 v[0:1], v[0:1], off
	s_mov_b64 s[0:1], 0
	s_waitcnt vmcnt(0)
	v_subrev_co_u32_e32 v0, vcc, s26, v0
	v_subbrev_co_u32_e32 v1, vcc, 0, v1, vcc
	s_branch .LBB176_50
.LBB176_49:                             ;   in Loop: Header=BB176_50 Depth=1
	s_or_b64 exec, exec, s[2:3]
	v_add_co_u32_e32 v12, vcc, 8, v12
	s_xor_b64 s[2:3], vcc, -1
	s_and_b64 s[2:3], exec, s[2:3]
	s_or_b64 s[0:1], s[2:3], s[0:1]
	v_add_u32_e32 v13, 32, v13
	s_andn2_b64 exec, exec, s[0:1]
	s_cbranch_execz .LBB176_52
.LBB176_50:                             ; =>This Inner Loop Header: Depth=1
	ds_read_b32 v2, v13 offset:2048
	s_waitcnt lgkmcnt(0)
	v_cmp_gt_i32_e32 vcc, s5, v2
	s_and_saveexec_b64 s[2:3], vcc
	s_cbranch_execz .LBB176_49
; %bb.51:                               ;   in Loop: Header=BB176_50 Depth=1
	ds_read_b128 v[4:7], v14
	ds_read_b128 v[8:11], v14 offset:16
	ds_read_b128 v[16:19], v14 offset:32
	;; [unrolled: 1-line block ×3, first 2 shown]
	s_waitcnt lgkmcnt(3)
	v_cmp_gt_i32_e32 vcc, v2, v4
	v_cndmask_b32_e64 v3, 0, 1, vcc
	v_add_co_u32_e32 v3, vcc, v0, v3
	v_addc_co_u32_e32 v4, vcc, 0, v1, vcc
	v_cmp_gt_i32_e32 vcc, v2, v5
	v_cndmask_b32_e64 v5, 0, 1, vcc
	v_add_co_u32_e32 v3, vcc, v3, v5
	v_addc_co_u32_e32 v4, vcc, 0, v4, vcc
	v_cmp_gt_i32_e32 vcc, v2, v6
	v_cndmask_b32_e64 v5, 0, 1, vcc
	v_add_co_u32_e32 v3, vcc, v3, v5
	v_addc_co_u32_e32 v4, vcc, 0, v4, vcc
	v_cmp_gt_i32_e32 vcc, v2, v7
	v_cndmask_b32_e64 v5, 0, 1, vcc
	v_add_co_u32_e32 v3, vcc, v3, v5
	v_addc_co_u32_e32 v4, vcc, 0, v4, vcc
	s_waitcnt lgkmcnt(2)
	v_cmp_gt_i32_e32 vcc, v2, v8
	v_cndmask_b32_e64 v5, 0, 1, vcc
	v_add_co_u32_e32 v3, vcc, v3, v5
	v_addc_co_u32_e32 v4, vcc, 0, v4, vcc
	v_cmp_gt_i32_e32 vcc, v2, v9
	v_cndmask_b32_e64 v5, 0, 1, vcc
	v_add_co_u32_e32 v3, vcc, v3, v5
	v_addc_co_u32_e32 v4, vcc, 0, v4, vcc
	v_cmp_gt_i32_e32 vcc, v2, v10
	v_cndmask_b32_e64 v5, 0, 1, vcc
	v_add_co_u32_e32 v3, vcc, v3, v5
	v_addc_co_u32_e32 v4, vcc, 0, v4, vcc
	v_cmp_gt_i32_e32 vcc, v2, v11
	v_cndmask_b32_e64 v5, 0, 1, vcc
	v_add_co_u32_e32 v3, vcc, v3, v5
	v_addc_co_u32_e32 v4, vcc, 0, v4, vcc
	;; [unrolled: 17-line block ×4, first 2 shown]
	v_add_u32_e32 v6, s26, v2
	v_lshlrev_b64 v[2:3], 2, v[4:5]
	v_mov_b32_e32 v5, s29
	v_add_co_u32_e32 v4, vcc, s28, v2
	v_addc_co_u32_e32 v5, vcc, v5, v3, vcc
	global_store_dword v[4:5], v6, off
	ds_read_b32 v4, v13
	v_mov_b32_e32 v5, s31
	v_add_co_u32_e32 v2, vcc, s30, v2
	v_addc_co_u32_e32 v3, vcc, v5, v3, vcc
	s_waitcnt lgkmcnt(0)
	global_store_dword v[2:3], v4, off
	s_branch .LBB176_49
.LBB176_52:
	s_endpgm
	.section	.rodata,"a",@progbits
	.p2align	6, 0x0
	.amdhsa_kernel _ZN9rocsparseL23csrgemm_fill_wf_per_rowILj256ELj8ELj16ELj137ElifEEvT4_S1_PKS1_S3_NS_24const_host_device_scalarIT5_EEPKT3_S3_PKS5_S9_S3_SB_S6_S9_S3_SB_S9_PS1_PS5_21rocsparse_index_base_SE_SE_SE_bbb
		.amdhsa_group_segment_fixed_size 4096
		.amdhsa_private_segment_fixed_size 0
		.amdhsa_kernarg_size 156
		.amdhsa_user_sgpr_count 6
		.amdhsa_user_sgpr_private_segment_buffer 1
		.amdhsa_user_sgpr_dispatch_ptr 0
		.amdhsa_user_sgpr_queue_ptr 0
		.amdhsa_user_sgpr_kernarg_segment_ptr 1
		.amdhsa_user_sgpr_dispatch_id 0
		.amdhsa_user_sgpr_flat_scratch_init 0
		.amdhsa_user_sgpr_kernarg_preload_length 0
		.amdhsa_user_sgpr_kernarg_preload_offset 0
		.amdhsa_user_sgpr_private_segment_size 0
		.amdhsa_uses_dynamic_stack 0
		.amdhsa_system_sgpr_private_segment_wavefront_offset 0
		.amdhsa_system_sgpr_workgroup_id_x 1
		.amdhsa_system_sgpr_workgroup_id_y 0
		.amdhsa_system_sgpr_workgroup_id_z 0
		.amdhsa_system_sgpr_workgroup_info 0
		.amdhsa_system_vgpr_workitem_id 0
		.amdhsa_next_free_vgpr 26
		.amdhsa_next_free_sgpr 52
		.amdhsa_accum_offset 28
		.amdhsa_reserve_vcc 1
		.amdhsa_reserve_flat_scratch 0
		.amdhsa_float_round_mode_32 0
		.amdhsa_float_round_mode_16_64 0
		.amdhsa_float_denorm_mode_32 3
		.amdhsa_float_denorm_mode_16_64 3
		.amdhsa_dx10_clamp 1
		.amdhsa_ieee_mode 1
		.amdhsa_fp16_overflow 0
		.amdhsa_tg_split 0
		.amdhsa_exception_fp_ieee_invalid_op 0
		.amdhsa_exception_fp_denorm_src 0
		.amdhsa_exception_fp_ieee_div_zero 0
		.amdhsa_exception_fp_ieee_overflow 0
		.amdhsa_exception_fp_ieee_underflow 0
		.amdhsa_exception_fp_ieee_inexact 0
		.amdhsa_exception_int_div_zero 0
	.end_amdhsa_kernel
	.section	.text._ZN9rocsparseL23csrgemm_fill_wf_per_rowILj256ELj8ELj16ELj137ElifEEvT4_S1_PKS1_S3_NS_24const_host_device_scalarIT5_EEPKT3_S3_PKS5_S9_S3_SB_S6_S9_S3_SB_S9_PS1_PS5_21rocsparse_index_base_SE_SE_SE_bbb,"axG",@progbits,_ZN9rocsparseL23csrgemm_fill_wf_per_rowILj256ELj8ELj16ELj137ElifEEvT4_S1_PKS1_S3_NS_24const_host_device_scalarIT5_EEPKT3_S3_PKS5_S9_S3_SB_S6_S9_S3_SB_S9_PS1_PS5_21rocsparse_index_base_SE_SE_SE_bbb,comdat
.Lfunc_end176:
	.size	_ZN9rocsparseL23csrgemm_fill_wf_per_rowILj256ELj8ELj16ELj137ElifEEvT4_S1_PKS1_S3_NS_24const_host_device_scalarIT5_EEPKT3_S3_PKS5_S9_S3_SB_S6_S9_S3_SB_S9_PS1_PS5_21rocsparse_index_base_SE_SE_SE_bbb, .Lfunc_end176-_ZN9rocsparseL23csrgemm_fill_wf_per_rowILj256ELj8ELj16ELj137ElifEEvT4_S1_PKS1_S3_NS_24const_host_device_scalarIT5_EEPKT3_S3_PKS5_S9_S3_SB_S6_S9_S3_SB_S9_PS1_PS5_21rocsparse_index_base_SE_SE_SE_bbb
                                        ; -- End function
	.section	.AMDGPU.csdata,"",@progbits
; Kernel info:
; codeLenInByte = 1916
; NumSgprs: 56
; NumVgprs: 26
; NumAgprs: 0
; TotalNumVgprs: 26
; ScratchSize: 0
; MemoryBound: 0
; FloatMode: 240
; IeeeMode: 1
; LDSByteSize: 4096 bytes/workgroup (compile time only)
; SGPRBlocks: 6
; VGPRBlocks: 3
; NumSGPRsForWavesPerEU: 56
; NumVGPRsForWavesPerEU: 26
; AccumOffset: 28
; Occupancy: 8
; WaveLimiterHint : 1
; COMPUTE_PGM_RSRC2:SCRATCH_EN: 0
; COMPUTE_PGM_RSRC2:USER_SGPR: 6
; COMPUTE_PGM_RSRC2:TRAP_HANDLER: 0
; COMPUTE_PGM_RSRC2:TGID_X_EN: 1
; COMPUTE_PGM_RSRC2:TGID_Y_EN: 0
; COMPUTE_PGM_RSRC2:TGID_Z_EN: 0
; COMPUTE_PGM_RSRC2:TIDIG_COMP_CNT: 0
; COMPUTE_PGM_RSRC3_GFX90A:ACCUM_OFFSET: 6
; COMPUTE_PGM_RSRC3_GFX90A:TG_SPLIT: 0
	.section	.text._ZN9rocsparseL23csrgemm_fill_wf_per_rowILj256ELj16ELj32ELj137ElifEEvT4_S1_PKS1_S3_NS_24const_host_device_scalarIT5_EEPKT3_S3_PKS5_S9_S3_SB_S6_S9_S3_SB_S9_PS1_PS5_21rocsparse_index_base_SE_SE_SE_bbb,"axG",@progbits,_ZN9rocsparseL23csrgemm_fill_wf_per_rowILj256ELj16ELj32ELj137ElifEEvT4_S1_PKS1_S3_NS_24const_host_device_scalarIT5_EEPKT3_S3_PKS5_S9_S3_SB_S6_S9_S3_SB_S9_PS1_PS5_21rocsparse_index_base_SE_SE_SE_bbb,comdat
	.globl	_ZN9rocsparseL23csrgemm_fill_wf_per_rowILj256ELj16ELj32ELj137ElifEEvT4_S1_PKS1_S3_NS_24const_host_device_scalarIT5_EEPKT3_S3_PKS5_S9_S3_SB_S6_S9_S3_SB_S9_PS1_PS5_21rocsparse_index_base_SE_SE_SE_bbb ; -- Begin function _ZN9rocsparseL23csrgemm_fill_wf_per_rowILj256ELj16ELj32ELj137ElifEEvT4_S1_PKS1_S3_NS_24const_host_device_scalarIT5_EEPKT3_S3_PKS5_S9_S3_SB_S6_S9_S3_SB_S9_PS1_PS5_21rocsparse_index_base_SE_SE_SE_bbb
	.p2align	8
	.type	_ZN9rocsparseL23csrgemm_fill_wf_per_rowILj256ELj16ELj32ELj137ElifEEvT4_S1_PKS1_S3_NS_24const_host_device_scalarIT5_EEPKT3_S3_PKS5_S9_S3_SB_S6_S9_S3_SB_S9_PS1_PS5_21rocsparse_index_base_SE_SE_SE_bbb,@function
_ZN9rocsparseL23csrgemm_fill_wf_per_rowILj256ELj16ELj32ELj137ElifEEvT4_S1_PKS1_S3_NS_24const_host_device_scalarIT5_EEPKT3_S3_PKS5_S9_S3_SB_S6_S9_S3_SB_S9_PS1_PS5_21rocsparse_index_base_SE_SE_SE_bbb: ; @_ZN9rocsparseL23csrgemm_fill_wf_per_rowILj256ELj16ELj32ELj137ElifEEvT4_S1_PKS1_S3_NS_24const_host_device_scalarIT5_EEPKT3_S3_PKS5_S9_S3_SB_S6_S9_S3_SB_S9_PS1_PS5_21rocsparse_index_base_SE_SE_SE_bbb
; %bb.0:
	s_load_dword s7, s[4:5], 0x98
	s_load_dwordx4 s[24:27], s[4:5], 0x88
	s_load_dwordx2 s[0:1], s[4:5], 0x18
	s_load_dwordx2 s[34:35], s[4:5], 0x50
	s_waitcnt lgkmcnt(0)
	s_bitcmp1_b32 s7, 0
	s_cselect_b64 s[2:3], -1, 0
	s_bitcmp1_b32 s7, 16
	s_cselect_b64 s[44:45], -1, 0
	s_xor_b64 s[8:9], s[2:3], -1
	s_or_b64 s[8:9], s[8:9], s[44:45]
	s_and_b64 vcc, exec, s[8:9]
	s_cbranch_vccnz .LBB177_2
; %bb.1:
	s_load_dword s0, s[0:1], 0x0
	s_waitcnt lgkmcnt(0)
	v_mov_b32_e32 v17, s0
	s_branch .LBB177_3
.LBB177_2:
	v_mov_b32_e32 v1, s0
	v_cndmask_b32_e64 v17, 0, v1, s[2:3]
.LBB177_3:
	s_load_dwordx4 s[28:31], s[4:5], 0x78
	s_load_dwordx8 s[8:15], s[4:5], 0x58
	s_load_dwordx4 s[36:39], s[4:5], 0x40
	s_load_dwordx4 s[40:43], s[4:5], 0x8
	s_load_dwordx8 s[16:23], s[4:5], 0x20
	s_bitcmp1_b32 s7, 8
	s_cselect_b64 s[0:1], -1, 0
	s_xor_b64 s[46:47], s[0:1], -1
	s_or_b64 s[44:45], s[46:47], s[44:45]
	s_and_b64 vcc, exec, s[44:45]
	s_cbranch_vccnz .LBB177_5
; %bb.4:
	s_load_dword s7, s[34:35], 0x0
	s_waitcnt lgkmcnt(0)
	v_mov_b32_e32 v15, s7
	s_branch .LBB177_6
.LBB177_5:
	v_mov_b32_e32 v1, s34
	v_cndmask_b32_e64 v15, 0, v1, s[0:1]
.LBB177_6:
	s_load_dwordx2 s[4:5], s[4:5], 0x0
	v_and_b32_e32 v18, 15, v0
	v_lshrrev_b32_e32 v1, 4, v0
	v_lshlrev_b32_e32 v0, 2, v18
	v_or_b32_e32 v12, -16, v18
	v_lshl_or_b32 v13, v1, 7, v0
	s_mov_b64 s[34:35], 0
	s_waitcnt lgkmcnt(0)
	v_mov_b32_e32 v0, s5
	v_mov_b32_e32 v2, 0
	;; [unrolled: 1-line block ×4, first 2 shown]
.LBB177_7:                              ; =>This Inner Loop Header: Depth=1
	v_add_co_u32_e32 v4, vcc, 16, v4
	s_xor_b64 s[44:45], vcc, -1
	s_and_b64 s[44:45], exec, s[44:45]
	ds_write2st64_b32 v3, v2, v0 offset1:8
	s_or_b64 s[34:35], s[44:45], s[34:35]
	v_add_u32_e32 v3, 64, v3
	s_andn2_b64 exec, exec, s[34:35]
	s_cbranch_execnz .LBB177_7
; %bb.8:
	s_or_b64 exec, exec, s[34:35]
	s_lshl_b32 s6, s6, 4
	s_and_b32 s6, s6, 0xffffff0
	v_or_b32_e32 v0, s6, v1
	v_cmp_gt_i32_e32 vcc, s4, v0
	s_waitcnt lgkmcnt(0)
	s_and_saveexec_b64 s[6:7], vcc
	s_cbranch_execz .LBB177_52
; %bb.9:
	s_cmp_eq_u64 s[42:43], 0
	s_cbranch_scc1 .LBB177_11
; %bb.10:
	s_load_dword s4, s[40:41], 0x0
	v_mov_b32_e32 v4, s43
	s_waitcnt lgkmcnt(0)
	v_add_u32_e32 v2, s4, v0
	v_ashrrev_i32_e32 v3, 31, v2
	v_lshlrev_b64 v[2:3], 2, v[2:3]
	v_add_co_u32_e32 v2, vcc, s42, v2
	v_addc_co_u32_e32 v3, vcc, v4, v3, vcc
	global_load_dword v0, v[2:3], off
.LBB177_11:
	v_lshlrev_b32_e32 v16, 7, v1
	s_waitcnt vmcnt(0)
	v_ashrrev_i32_e32 v1, 31, v0
	v_or_b32_e32 v14, 0x800, v16
	s_andn2_b64 vcc, exec, s[2:3]
	v_lshlrev_b64 v[4:5], 3, v[0:1]
	s_cbranch_vccnz .LBB177_31
; %bb.12:
	v_mov_b32_e32 v1, s17
	v_add_co_u32_e32 v0, vcc, s16, v4
	v_addc_co_u32_e32 v1, vcc, v1, v5, vcc
	global_load_dwordx4 v[0:3], v[0:1], off
	v_subrev_co_u32_e32 v8, vcc, s24, v18
	v_subb_co_u32_e64 v9, s[2:3], 0, 0, vcc
	s_mov_b32 s4, 0
	s_waitcnt vmcnt(0)
	v_subrev_co_u32_e32 v6, vcc, s24, v2
	v_subbrev_co_u32_e32 v7, vcc, 0, v3, vcc
	v_add_co_u32_e32 v8, vcc, v0, v8
	v_addc_co_u32_e32 v9, vcc, v1, v9, vcc
	v_cmp_lt_i64_e32 vcc, v[8:9], v[6:7]
	s_and_saveexec_b64 s[2:3], vcc
	s_cbranch_execz .LBB177_30
; %bb.13:
	s_mov_b32 s33, s25
	s_mov_b64 s[6:7], 0
	v_mov_b32_e32 v19, s19
	v_mov_b32_e32 v20, s23
	s_branch .LBB177_15
.LBB177_14:                             ;   in Loop: Header=BB177_15 Depth=1
	s_or_b64 exec, exec, s[16:17]
	v_add_co_u32_e32 v8, vcc, 16, v8
	v_addc_co_u32_e32 v9, vcc, 0, v9, vcc
	v_cmp_ge_i64_e32 vcc, v[8:9], v[6:7]
	s_or_b64 s[6:7], vcc, s[6:7]
	s_andn2_b64 exec, exec, s[6:7]
	s_cbranch_execz .LBB177_30
.LBB177_15:                             ; =>This Loop Header: Depth=1
                                        ;     Child Loop BB177_18 Depth 2
                                        ;       Child Loop BB177_20 Depth 3
	v_lshlrev_b64 v[10:11], 2, v[8:9]
	v_add_co_u32_e32 v0, vcc, s18, v10
	v_addc_co_u32_e32 v1, vcc, v19, v11, vcc
	global_load_dword v0, v[0:1], off
	s_waitcnt vmcnt(0)
	v_subrev_u32_e32 v0, s24, v0
	v_ashrrev_i32_e32 v1, 31, v0
	v_lshlrev_b64 v[0:1], 3, v[0:1]
	v_add_co_u32_e32 v0, vcc, s22, v0
	v_addc_co_u32_e32 v1, vcc, v20, v1, vcc
	global_load_dwordx4 v[0:3], v[0:1], off
	s_waitcnt vmcnt(0)
	v_cmp_lt_i64_e32 vcc, v[0:1], v[2:3]
	s_and_saveexec_b64 s[16:17], vcc
	s_cbranch_execz .LBB177_14
; %bb.16:                               ;   in Loop: Header=BB177_15 Depth=1
	v_mov_b32_e32 v21, s21
	v_add_co_u32_e32 v10, vcc, s20, v10
	v_addc_co_u32_e32 v11, vcc, v21, v11, vcc
	global_load_dword v10, v[10:11], off
	v_mov_b32_e32 v11, s4
	v_subrev_co_u32_e32 v2, vcc, s33, v2
	v_subb_co_u32_e32 v3, vcc, v3, v11, vcc
	v_subrev_co_u32_e32 v0, vcc, s33, v0
	v_subb_co_u32_e32 v1, vcc, v1, v11, vcc
	s_mov_b64 s[34:35], 0
	s_waitcnt vmcnt(0)
	v_mul_f32_e32 v10, v17, v10
	s_branch .LBB177_18
.LBB177_17:                             ;   in Loop: Header=BB177_18 Depth=2
	s_or_b64 exec, exec, s[40:41]
	v_add_co_u32_e32 v0, vcc, 1, v0
	v_addc_co_u32_e32 v1, vcc, 0, v1, vcc
	v_cmp_ge_i64_e32 vcc, v[0:1], v[2:3]
	s_or_b64 s[34:35], vcc, s[34:35]
	s_andn2_b64 exec, exec, s[34:35]
	s_cbranch_execz .LBB177_14
.LBB177_18:                             ;   Parent Loop BB177_15 Depth=1
                                        ; =>  This Loop Header: Depth=2
                                        ;       Child Loop BB177_20 Depth 3
	v_lshlrev_b64 v[22:23], 2, v[0:1]
	v_mov_b32_e32 v11, s37
	v_add_co_u32_e32 v24, vcc, s36, v22
	v_addc_co_u32_e32 v25, vcc, v11, v23, vcc
	global_load_dword v11, v[24:25], off
	v_mov_b32_e32 v21, s39
	v_add_co_u32_e32 v22, vcc, s38, v22
	v_addc_co_u32_e32 v23, vcc, v21, v23, vcc
	global_load_dword v21, v[22:23], off
	s_mov_b64 s[40:41], 0
	s_waitcnt vmcnt(1)
	v_subrev_u32_e32 v11, s25, v11
	v_lshl_add_u32 v22, v11, 3, v11
	v_and_b32_e32 v22, 31, v22
	s_waitcnt vmcnt(0)
	v_mul_f32_e32 v21, v10, v21
	s_branch .LBB177_20
.LBB177_19:                             ;   in Loop: Header=BB177_20 Depth=3
	s_or_b64 exec, exec, s[42:43]
	s_xor_b64 s[42:43], s[44:45], -1
	s_and_b64 s[42:43], exec, s[42:43]
	s_or_b64 s[40:41], s[42:43], s[40:41]
	s_andn2_b64 exec, exec, s[40:41]
	s_cbranch_execz .LBB177_17
.LBB177_20:                             ;   Parent Loop BB177_15 Depth=1
                                        ;     Parent Loop BB177_18 Depth=2
                                        ; =>    This Inner Loop Header: Depth=3
	v_lshl_add_u32 v23, v22, 2, v14
	ds_read_b32 v24, v23
                                        ; implicit-def: $sgpr44_sgpr45
	s_waitcnt lgkmcnt(0)
	v_cmp_ne_u32_e32 vcc, v24, v11
	s_and_saveexec_b64 s[42:43], vcc
	s_xor_b64 s[42:43], exec, s[42:43]
	s_cbranch_execz .LBB177_28
; %bb.21:                               ;   in Loop: Header=BB177_20 Depth=3
	v_cmp_ne_u32_e32 vcc, s5, v24
                                        ; implicit-def: $sgpr44_sgpr45
	s_and_saveexec_b64 s[46:47], vcc
	s_xor_b64 s[46:47], exec, s[46:47]
; %bb.22:                               ;   in Loop: Header=BB177_20 Depth=3
	v_add_u32_e32 v22, 1, v22
	v_and_b32_e32 v22, 31, v22
	s_mov_b64 s[44:45], -1
                                        ; implicit-def: $vgpr23
; %bb.23:                               ;   in Loop: Header=BB177_20 Depth=3
	s_andn2_saveexec_b64 s[46:47], s[46:47]
	s_cbranch_execz .LBB177_27
; %bb.24:                               ;   in Loop: Header=BB177_20 Depth=3
	v_mov_b32_e32 v24, s5
	ds_cmpst_rtn_b32 v23, v23, v24, v11
	s_mov_b64 s[48:49], -1
	s_waitcnt lgkmcnt(0)
	v_cmp_eq_u32_e32 vcc, s5, v23
	s_and_saveexec_b64 s[50:51], vcc
	s_cbranch_execz .LBB177_26
; %bb.25:                               ;   in Loop: Header=BB177_20 Depth=3
	v_lshl_add_u32 v23, v22, 2, v16
	ds_add_f32 v23, v21
	s_xor_b64 s[48:49], exec, -1
.LBB177_26:                             ;   in Loop: Header=BB177_20 Depth=3
	s_or_b64 exec, exec, s[50:51]
	s_andn2_b64 s[44:45], s[44:45], exec
	s_and_b64 s[48:49], s[48:49], exec
	s_or_b64 s[44:45], s[44:45], s[48:49]
.LBB177_27:                             ;   in Loop: Header=BB177_20 Depth=3
	s_or_b64 exec, exec, s[46:47]
	s_and_b64 s[44:45], s[44:45], exec
.LBB177_28:                             ;   in Loop: Header=BB177_20 Depth=3
	s_andn2_saveexec_b64 s[42:43], s[42:43]
	s_cbranch_execz .LBB177_19
; %bb.29:                               ;   in Loop: Header=BB177_20 Depth=3
	v_lshl_add_u32 v23, v22, 2, v16
	ds_add_f32 v23, v21
	s_andn2_b64 s[44:45], s[44:45], exec
	s_branch .LBB177_19
.LBB177_30:
	s_or_b64 exec, exec, s[2:3]
.LBB177_31:
	s_andn2_b64 vcc, exec, s[0:1]
	s_cbranch_vccnz .LBB177_48
; %bb.32:
	v_mov_b32_e32 v1, s9
	v_add_co_u32_e32 v0, vcc, s8, v4
	v_addc_co_u32_e32 v1, vcc, v1, v5, vcc
	global_load_dwordx4 v[6:9], v[0:1], off
	v_subrev_co_u32_e32 v2, vcc, s27, v18
	v_subb_co_u32_e64 v3, s[0:1], 0, 0, vcc
	s_waitcnt vmcnt(0)
	v_subrev_co_u32_e32 v0, vcc, s27, v8
	v_subbrev_co_u32_e32 v1, vcc, 0, v9, vcc
	v_add_co_u32_e32 v2, vcc, v6, v2
	v_addc_co_u32_e32 v3, vcc, v7, v3, vcc
	v_cmp_lt_i64_e32 vcc, v[2:3], v[0:1]
	s_and_saveexec_b64 s[0:1], vcc
	s_cbranch_execz .LBB177_47
; %bb.33:
	s_mov_b64 s[2:3], 0
	v_mov_b32_e32 v6, s11
	v_mov_b32_e32 v7, s13
	s_branch .LBB177_35
.LBB177_34:                             ;   in Loop: Header=BB177_35 Depth=1
	s_or_b64 exec, exec, s[6:7]
	v_add_co_u32_e32 v2, vcc, 16, v2
	v_addc_co_u32_e32 v3, vcc, 0, v3, vcc
	v_cmp_ge_i64_e32 vcc, v[2:3], v[0:1]
	s_or_b64 s[2:3], vcc, s[2:3]
	s_andn2_b64 exec, exec, s[2:3]
	s_cbranch_execz .LBB177_47
.LBB177_35:                             ; =>This Loop Header: Depth=1
                                        ;     Child Loop BB177_37 Depth 2
	v_lshlrev_b64 v[8:9], 2, v[2:3]
	v_add_co_u32_e32 v10, vcc, s10, v8
	v_addc_co_u32_e32 v11, vcc, v6, v9, vcc
	global_load_dword v10, v[10:11], off
	v_add_co_u32_e32 v8, vcc, s12, v8
	v_addc_co_u32_e32 v9, vcc, v7, v9, vcc
	global_load_dword v9, v[8:9], off
	s_mov_b64 s[6:7], 0
	s_waitcnt vmcnt(1)
	v_subrev_u32_e32 v8, s27, v10
	v_lshl_add_u32 v10, v8, 3, v8
	v_and_b32_e32 v10, 31, v10
	s_waitcnt vmcnt(0)
	v_mul_f32_e32 v9, v15, v9
	s_branch .LBB177_37
.LBB177_36:                             ;   in Loop: Header=BB177_37 Depth=2
	s_or_b64 exec, exec, s[8:9]
	s_xor_b64 s[8:9], s[16:17], -1
	s_and_b64 s[8:9], exec, s[8:9]
	s_or_b64 s[6:7], s[8:9], s[6:7]
	s_andn2_b64 exec, exec, s[6:7]
	s_cbranch_execz .LBB177_34
.LBB177_37:                             ;   Parent Loop BB177_35 Depth=1
                                        ; =>  This Inner Loop Header: Depth=2
	v_lshl_add_u32 v11, v10, 2, v14
	ds_read_b32 v17, v11
                                        ; implicit-def: $sgpr16_sgpr17
	s_waitcnt lgkmcnt(0)
	v_cmp_ne_u32_e32 vcc, v17, v8
	s_and_saveexec_b64 s[8:9], vcc
	s_xor_b64 s[8:9], exec, s[8:9]
	s_cbranch_execz .LBB177_45
; %bb.38:                               ;   in Loop: Header=BB177_37 Depth=2
	v_cmp_ne_u32_e32 vcc, s5, v17
                                        ; implicit-def: $sgpr16_sgpr17
	s_and_saveexec_b64 s[18:19], vcc
	s_xor_b64 s[18:19], exec, s[18:19]
; %bb.39:                               ;   in Loop: Header=BB177_37 Depth=2
	v_add_u32_e32 v10, 1, v10
	v_and_b32_e32 v10, 31, v10
	s_mov_b64 s[16:17], -1
                                        ; implicit-def: $vgpr11
; %bb.40:                               ;   in Loop: Header=BB177_37 Depth=2
	s_andn2_saveexec_b64 s[18:19], s[18:19]
	s_cbranch_execz .LBB177_44
; %bb.41:                               ;   in Loop: Header=BB177_37 Depth=2
	v_mov_b32_e32 v17, s5
	ds_cmpst_rtn_b32 v11, v11, v17, v8
	s_mov_b64 s[20:21], -1
	s_waitcnt lgkmcnt(0)
	v_cmp_eq_u32_e32 vcc, s5, v11
	s_and_saveexec_b64 s[22:23], vcc
	s_cbranch_execz .LBB177_43
; %bb.42:                               ;   in Loop: Header=BB177_37 Depth=2
	v_lshl_add_u32 v11, v10, 2, v16
	ds_add_f32 v11, v9
	s_xor_b64 s[20:21], exec, -1
.LBB177_43:                             ;   in Loop: Header=BB177_37 Depth=2
	s_or_b64 exec, exec, s[22:23]
	s_andn2_b64 s[16:17], s[16:17], exec
	s_and_b64 s[20:21], s[20:21], exec
	s_or_b64 s[16:17], s[16:17], s[20:21]
.LBB177_44:                             ;   in Loop: Header=BB177_37 Depth=2
	s_or_b64 exec, exec, s[18:19]
	s_and_b64 s[16:17], s[16:17], exec
.LBB177_45:                             ;   in Loop: Header=BB177_37 Depth=2
	s_andn2_saveexec_b64 s[8:9], s[8:9]
	s_cbranch_execz .LBB177_36
; %bb.46:                               ;   in Loop: Header=BB177_37 Depth=2
	v_lshl_add_u32 v11, v10, 2, v16
	ds_add_f32 v11, v9
	s_andn2_b64 s[16:17], s[16:17], exec
	s_branch .LBB177_36
.LBB177_47:
	s_or_b64 exec, exec, s[0:1]
.LBB177_48:
	v_mov_b32_e32 v1, s15
	v_add_co_u32_e32 v0, vcc, s14, v4
	v_addc_co_u32_e32 v1, vcc, v1, v5, vcc
	s_waitcnt lgkmcnt(0)
	global_load_dwordx2 v[0:1], v[0:1], off
	s_mov_b64 s[0:1], 0
	s_waitcnt vmcnt(0)
	v_subrev_co_u32_e32 v0, vcc, s26, v0
	v_subbrev_co_u32_e32 v1, vcc, 0, v1, vcc
	s_branch .LBB177_50
.LBB177_49:                             ;   in Loop: Header=BB177_50 Depth=1
	s_or_b64 exec, exec, s[2:3]
	v_add_co_u32_e32 v12, vcc, 16, v12
	s_xor_b64 s[2:3], vcc, -1
	s_and_b64 s[2:3], exec, s[2:3]
	s_or_b64 s[0:1], s[2:3], s[0:1]
	v_add_u32_e32 v13, 64, v13
	s_andn2_b64 exec, exec, s[0:1]
	s_cbranch_execz .LBB177_52
.LBB177_50:                             ; =>This Inner Loop Header: Depth=1
	ds_read_b32 v2, v13 offset:2048
	s_waitcnt lgkmcnt(0)
	v_cmp_gt_i32_e32 vcc, s5, v2
	s_and_saveexec_b64 s[2:3], vcc
	s_cbranch_execz .LBB177_49
; %bb.51:                               ;   in Loop: Header=BB177_50 Depth=1
	ds_read_b128 v[4:7], v14
	ds_read_b128 v[8:11], v14 offset:16
	ds_read_b128 v[16:19], v14 offset:32
	;; [unrolled: 1-line block ×3, first 2 shown]
	s_waitcnt lgkmcnt(3)
	v_cmp_gt_i32_e32 vcc, v2, v4
	v_cndmask_b32_e64 v3, 0, 1, vcc
	v_add_co_u32_e32 v3, vcc, v0, v3
	v_addc_co_u32_e32 v4, vcc, 0, v1, vcc
	v_cmp_gt_i32_e32 vcc, v2, v5
	v_cndmask_b32_e64 v5, 0, 1, vcc
	v_add_co_u32_e32 v3, vcc, v3, v5
	v_addc_co_u32_e32 v4, vcc, 0, v4, vcc
	v_cmp_gt_i32_e32 vcc, v2, v6
	v_cndmask_b32_e64 v5, 0, 1, vcc
	v_add_co_u32_e32 v3, vcc, v3, v5
	v_addc_co_u32_e32 v4, vcc, 0, v4, vcc
	v_cmp_gt_i32_e32 vcc, v2, v7
	v_cndmask_b32_e64 v5, 0, 1, vcc
	v_add_co_u32_e32 v3, vcc, v3, v5
	v_addc_co_u32_e32 v4, vcc, 0, v4, vcc
	s_waitcnt lgkmcnt(2)
	v_cmp_gt_i32_e32 vcc, v2, v8
	v_cndmask_b32_e64 v5, 0, 1, vcc
	v_add_co_u32_e32 v3, vcc, v3, v5
	v_addc_co_u32_e32 v4, vcc, 0, v4, vcc
	v_cmp_gt_i32_e32 vcc, v2, v9
	v_cndmask_b32_e64 v5, 0, 1, vcc
	v_add_co_u32_e32 v3, vcc, v3, v5
	v_addc_co_u32_e32 v4, vcc, 0, v4, vcc
	v_cmp_gt_i32_e32 vcc, v2, v10
	v_cndmask_b32_e64 v5, 0, 1, vcc
	v_add_co_u32_e32 v3, vcc, v3, v5
	v_addc_co_u32_e32 v4, vcc, 0, v4, vcc
	v_cmp_gt_i32_e32 vcc, v2, v11
	v_cndmask_b32_e64 v5, 0, 1, vcc
	v_add_co_u32_e32 v3, vcc, v3, v5
	v_addc_co_u32_e32 v4, vcc, 0, v4, vcc
	;; [unrolled: 17-line block ×3, first 2 shown]
	s_waitcnt lgkmcnt(0)
	v_cmp_gt_i32_e32 vcc, v2, v20
	v_cndmask_b32_e64 v5, 0, 1, vcc
	v_add_co_u32_e32 v3, vcc, v3, v5
	v_addc_co_u32_e32 v4, vcc, 0, v4, vcc
	v_cmp_gt_i32_e32 vcc, v2, v21
	v_cndmask_b32_e64 v5, 0, 1, vcc
	v_add_co_u32_e32 v3, vcc, v3, v5
	v_addc_co_u32_e32 v4, vcc, 0, v4, vcc
	;; [unrolled: 4-line block ×3, first 2 shown]
	ds_read_b128 v[4:7], v14 offset:64
	v_cmp_gt_i32_e32 vcc, v2, v23
	v_cndmask_b32_e64 v9, 0, 1, vcc
	v_add_co_u32_e32 v3, vcc, v3, v9
	v_addc_co_u32_e32 v15, vcc, 0, v8, vcc
	ds_read_b128 v[8:11], v14 offset:80
	s_waitcnt lgkmcnt(1)
	v_cmp_gt_i32_e32 vcc, v2, v4
	v_cndmask_b32_e64 v4, 0, 1, vcc
	v_add_co_u32_e32 v3, vcc, v3, v4
	v_addc_co_u32_e32 v4, vcc, 0, v15, vcc
	v_cmp_gt_i32_e32 vcc, v2, v5
	v_cndmask_b32_e64 v5, 0, 1, vcc
	v_add_co_u32_e32 v3, vcc, v3, v5
	v_addc_co_u32_e32 v4, vcc, 0, v4, vcc
	;; [unrolled: 4-line block ×4, first 2 shown]
	s_waitcnt lgkmcnt(0)
	v_cmp_gt_i32_e32 vcc, v2, v8
	v_cndmask_b32_e64 v5, 0, 1, vcc
	v_add_co_u32_e32 v3, vcc, v3, v5
	v_addc_co_u32_e32 v4, vcc, 0, v4, vcc
	v_cmp_gt_i32_e32 vcc, v2, v9
	v_cndmask_b32_e64 v5, 0, 1, vcc
	v_add_co_u32_e32 v3, vcc, v3, v5
	v_addc_co_u32_e32 v4, vcc, 0, v4, vcc
	;; [unrolled: 4-line block ×3, first 2 shown]
	ds_read_b128 v[4:7], v14 offset:96
	v_cmp_gt_i32_e32 vcc, v2, v11
	v_cndmask_b32_e64 v9, 0, 1, vcc
	v_add_co_u32_e32 v3, vcc, v3, v9
	v_addc_co_u32_e32 v15, vcc, 0, v8, vcc
	ds_read_b128 v[8:11], v14 offset:112
	s_waitcnt lgkmcnt(1)
	v_cmp_gt_i32_e32 vcc, v2, v4
	v_cndmask_b32_e64 v4, 0, 1, vcc
	v_add_co_u32_e32 v3, vcc, v3, v4
	v_addc_co_u32_e32 v4, vcc, 0, v15, vcc
	v_cmp_gt_i32_e32 vcc, v2, v5
	v_cndmask_b32_e64 v5, 0, 1, vcc
	v_add_co_u32_e32 v3, vcc, v3, v5
	v_addc_co_u32_e32 v4, vcc, 0, v4, vcc
	;; [unrolled: 4-line block ×4, first 2 shown]
	s_waitcnt lgkmcnt(0)
	v_cmp_gt_i32_e32 vcc, v2, v8
	v_cndmask_b32_e64 v5, 0, 1, vcc
	v_add_co_u32_e32 v3, vcc, v3, v5
	v_addc_co_u32_e32 v4, vcc, 0, v4, vcc
	v_cmp_gt_i32_e32 vcc, v2, v9
	v_cndmask_b32_e64 v5, 0, 1, vcc
	v_add_co_u32_e32 v3, vcc, v3, v5
	v_addc_co_u32_e32 v4, vcc, 0, v4, vcc
	;; [unrolled: 4-line block ×4, first 2 shown]
	v_add_u32_e32 v6, s26, v2
	v_lshlrev_b64 v[2:3], 2, v[4:5]
	v_mov_b32_e32 v5, s29
	v_add_co_u32_e32 v4, vcc, s28, v2
	v_addc_co_u32_e32 v5, vcc, v5, v3, vcc
	global_store_dword v[4:5], v6, off
	ds_read_b32 v4, v13
	v_mov_b32_e32 v5, s31
	v_add_co_u32_e32 v2, vcc, s30, v2
	v_addc_co_u32_e32 v3, vcc, v5, v3, vcc
	s_waitcnt lgkmcnt(0)
	global_store_dword v[2:3], v4, off
	s_branch .LBB177_49
.LBB177_52:
	s_endpgm
	.section	.rodata,"a",@progbits
	.p2align	6, 0x0
	.amdhsa_kernel _ZN9rocsparseL23csrgemm_fill_wf_per_rowILj256ELj16ELj32ELj137ElifEEvT4_S1_PKS1_S3_NS_24const_host_device_scalarIT5_EEPKT3_S3_PKS5_S9_S3_SB_S6_S9_S3_SB_S9_PS1_PS5_21rocsparse_index_base_SE_SE_SE_bbb
		.amdhsa_group_segment_fixed_size 4096
		.amdhsa_private_segment_fixed_size 0
		.amdhsa_kernarg_size 156
		.amdhsa_user_sgpr_count 6
		.amdhsa_user_sgpr_private_segment_buffer 1
		.amdhsa_user_sgpr_dispatch_ptr 0
		.amdhsa_user_sgpr_queue_ptr 0
		.amdhsa_user_sgpr_kernarg_segment_ptr 1
		.amdhsa_user_sgpr_dispatch_id 0
		.amdhsa_user_sgpr_flat_scratch_init 0
		.amdhsa_user_sgpr_kernarg_preload_length 0
		.amdhsa_user_sgpr_kernarg_preload_offset 0
		.amdhsa_user_sgpr_private_segment_size 0
		.amdhsa_uses_dynamic_stack 0
		.amdhsa_system_sgpr_private_segment_wavefront_offset 0
		.amdhsa_system_sgpr_workgroup_id_x 1
		.amdhsa_system_sgpr_workgroup_id_y 0
		.amdhsa_system_sgpr_workgroup_id_z 0
		.amdhsa_system_sgpr_workgroup_info 0
		.amdhsa_system_vgpr_workitem_id 0
		.amdhsa_next_free_vgpr 26
		.amdhsa_next_free_sgpr 52
		.amdhsa_accum_offset 28
		.amdhsa_reserve_vcc 1
		.amdhsa_reserve_flat_scratch 0
		.amdhsa_float_round_mode_32 0
		.amdhsa_float_round_mode_16_64 0
		.amdhsa_float_denorm_mode_32 3
		.amdhsa_float_denorm_mode_16_64 3
		.amdhsa_dx10_clamp 1
		.amdhsa_ieee_mode 1
		.amdhsa_fp16_overflow 0
		.amdhsa_tg_split 0
		.amdhsa_exception_fp_ieee_invalid_op 0
		.amdhsa_exception_fp_denorm_src 0
		.amdhsa_exception_fp_ieee_div_zero 0
		.amdhsa_exception_fp_ieee_overflow 0
		.amdhsa_exception_fp_ieee_underflow 0
		.amdhsa_exception_fp_ieee_inexact 0
		.amdhsa_exception_int_div_zero 0
	.end_amdhsa_kernel
	.section	.text._ZN9rocsparseL23csrgemm_fill_wf_per_rowILj256ELj16ELj32ELj137ElifEEvT4_S1_PKS1_S3_NS_24const_host_device_scalarIT5_EEPKT3_S3_PKS5_S9_S3_SB_S6_S9_S3_SB_S9_PS1_PS5_21rocsparse_index_base_SE_SE_SE_bbb,"axG",@progbits,_ZN9rocsparseL23csrgemm_fill_wf_per_rowILj256ELj16ELj32ELj137ElifEEvT4_S1_PKS1_S3_NS_24const_host_device_scalarIT5_EEPKT3_S3_PKS5_S9_S3_SB_S6_S9_S3_SB_S9_PS1_PS5_21rocsparse_index_base_SE_SE_SE_bbb,comdat
.Lfunc_end177:
	.size	_ZN9rocsparseL23csrgemm_fill_wf_per_rowILj256ELj16ELj32ELj137ElifEEvT4_S1_PKS1_S3_NS_24const_host_device_scalarIT5_EEPKT3_S3_PKS5_S9_S3_SB_S6_S9_S3_SB_S9_PS1_PS5_21rocsparse_index_base_SE_SE_SE_bbb, .Lfunc_end177-_ZN9rocsparseL23csrgemm_fill_wf_per_rowILj256ELj16ELj32ELj137ElifEEvT4_S1_PKS1_S3_NS_24const_host_device_scalarIT5_EEPKT3_S3_PKS5_S9_S3_SB_S6_S9_S3_SB_S9_PS1_PS5_21rocsparse_index_base_SE_SE_SE_bbb
                                        ; -- End function
	.section	.AMDGPU.csdata,"",@progbits
; Kernel info:
; codeLenInByte = 2284
; NumSgprs: 56
; NumVgprs: 26
; NumAgprs: 0
; TotalNumVgprs: 26
; ScratchSize: 0
; MemoryBound: 0
; FloatMode: 240
; IeeeMode: 1
; LDSByteSize: 4096 bytes/workgroup (compile time only)
; SGPRBlocks: 6
; VGPRBlocks: 3
; NumSGPRsForWavesPerEU: 56
; NumVGPRsForWavesPerEU: 26
; AccumOffset: 28
; Occupancy: 8
; WaveLimiterHint : 1
; COMPUTE_PGM_RSRC2:SCRATCH_EN: 0
; COMPUTE_PGM_RSRC2:USER_SGPR: 6
; COMPUTE_PGM_RSRC2:TRAP_HANDLER: 0
; COMPUTE_PGM_RSRC2:TGID_X_EN: 1
; COMPUTE_PGM_RSRC2:TGID_Y_EN: 0
; COMPUTE_PGM_RSRC2:TGID_Z_EN: 0
; COMPUTE_PGM_RSRC2:TIDIG_COMP_CNT: 0
; COMPUTE_PGM_RSRC3_GFX90A:ACCUM_OFFSET: 6
; COMPUTE_PGM_RSRC3_GFX90A:TG_SPLIT: 0
	.section	.text._ZN9rocsparseL26csrgemm_fill_block_per_rowILj128ELj16ELj256ELj137ELj32ElifEEvT5_PKS1_S3_NS_24const_host_device_scalarIT6_EEPKT4_S3_PKS5_S9_S3_SB_S6_S9_S3_SB_S9_PS1_PS5_21rocsparse_index_base_SE_SE_SE_bbb,"axG",@progbits,_ZN9rocsparseL26csrgemm_fill_block_per_rowILj128ELj16ELj256ELj137ELj32ElifEEvT5_PKS1_S3_NS_24const_host_device_scalarIT6_EEPKT4_S3_PKS5_S9_S3_SB_S6_S9_S3_SB_S9_PS1_PS5_21rocsparse_index_base_SE_SE_SE_bbb,comdat
	.globl	_ZN9rocsparseL26csrgemm_fill_block_per_rowILj128ELj16ELj256ELj137ELj32ElifEEvT5_PKS1_S3_NS_24const_host_device_scalarIT6_EEPKT4_S3_PKS5_S9_S3_SB_S6_S9_S3_SB_S9_PS1_PS5_21rocsparse_index_base_SE_SE_SE_bbb ; -- Begin function _ZN9rocsparseL26csrgemm_fill_block_per_rowILj128ELj16ELj256ELj137ELj32ElifEEvT5_PKS1_S3_NS_24const_host_device_scalarIT6_EEPKT4_S3_PKS5_S9_S3_SB_S6_S9_S3_SB_S9_PS1_PS5_21rocsparse_index_base_SE_SE_SE_bbb
	.p2align	8
	.type	_ZN9rocsparseL26csrgemm_fill_block_per_rowILj128ELj16ELj256ELj137ELj32ElifEEvT5_PKS1_S3_NS_24const_host_device_scalarIT6_EEPKT4_S3_PKS5_S9_S3_SB_S6_S9_S3_SB_S9_PS1_PS5_21rocsparse_index_base_SE_SE_SE_bbb,@function
_ZN9rocsparseL26csrgemm_fill_block_per_rowILj128ELj16ELj256ELj137ELj32ElifEEvT5_PKS1_S3_NS_24const_host_device_scalarIT6_EEPKT4_S3_PKS5_S9_S3_SB_S6_S9_S3_SB_S9_PS1_PS5_21rocsparse_index_base_SE_SE_SE_bbb: ; @_ZN9rocsparseL26csrgemm_fill_block_per_rowILj128ELj16ELj256ELj137ELj32ElifEEvT5_PKS1_S3_NS_24const_host_device_scalarIT6_EEPKT4_S3_PKS5_S9_S3_SB_S6_S9_S3_SB_S9_PS1_PS5_21rocsparse_index_base_SE_SE_SE_bbb
; %bb.0:
	s_load_dword s7, s[4:5], 0x98
	s_load_dwordx2 s[2:3], s[4:5], 0x18
	s_load_dwordx2 s[0:1], s[4:5], 0x50
	s_waitcnt lgkmcnt(0)
	s_bitcmp1_b32 s7, 0
	s_cselect_b64 s[8:9], -1, 0
	s_bitcmp1_b32 s7, 16
	s_cselect_b64 s[10:11], -1, 0
	s_xor_b64 s[12:13], s[8:9], -1
	s_or_b64 s[12:13], s[12:13], s[10:11]
	s_and_b64 vcc, exec, s[12:13]
	s_cbranch_vccnz .LBB178_2
; %bb.1:
	s_load_dword s2, s[2:3], 0x0
	s_waitcnt lgkmcnt(0)
	v_mov_b32_e32 v11, s2
	s_branch .LBB178_3
.LBB178_2:
	v_mov_b32_e32 v1, s2
	v_cndmask_b32_e64 v11, 0, v1, s[8:9]
.LBB178_3:
	s_load_dwordx4 s[28:31], s[4:5], 0x88
	s_bitcmp1_b32 s7, 8
	s_cselect_b64 s[2:3], -1, 0
	s_xor_b64 s[12:13], s[2:3], -1
	s_or_b64 s[10:11], s[12:13], s[10:11]
	s_and_b64 vcc, exec, s[10:11]
	s_cbranch_vccnz .LBB178_5
; %bb.4:
	s_load_dword s0, s[0:1], 0x0
	s_waitcnt lgkmcnt(0)
	v_mov_b32_e32 v10, s0
	s_branch .LBB178_6
.LBB178_5:
	v_mov_b32_e32 v1, s0
	v_cndmask_b32_e64 v10, 0, v1, s[2:3]
.LBB178_6:
	s_load_dwordx4 s[36:39], s[4:5], 0x78
	s_load_dwordx8 s[12:19], s[4:5], 0x58
	s_load_dwordx4 s[40:43], s[4:5], 0x40
	s_load_dwordx8 s[20:27], s[4:5], 0x20
	s_load_dwordx4 s[44:47], s[4:5], 0x8
	s_load_dword s33, s[4:5], 0x0
	s_movk_i32 s0, 0x100
	v_cmp_gt_u32_e64 s[0:1], s0, v0
	v_lshl_add_u32 v1, v0, 2, 0
	s_and_saveexec_b64 s[4:5], s[0:1]
	s_cbranch_execz .LBB178_9
; %bb.7:
	v_or_b32_e32 v2, 0xffffff80, v0
	v_lshl_add_u32 v3, v0, 2, 0
	s_mov_b64 s[10:11], 0
	s_waitcnt lgkmcnt(0)
	v_mov_b32_e32 v4, s33
	v_mov_b32_e32 v5, 0
.LBB178_8:                              ; =>This Inner Loop Header: Depth=1
	v_add_co_u32_e32 v2, vcc, 0x80, v2
	s_xor_b64 s[34:35], vcc, -1
	s_and_b64 s[34:35], exec, s[34:35]
	ds_write2st64_b32 v3, v4, v5 offset1:4
	s_or_b64 s[10:11], s[34:35], s[10:11]
	v_add_u32_e32 v3, 0x200, v3
	s_andn2_b64 exec, exec, s[10:11]
	s_cbranch_execnz .LBB178_8
.LBB178_9:
	s_or_b64 exec, exec, s[4:5]
	s_waitcnt lgkmcnt(0)
	s_barrier
	s_load_dword s4, s[44:45], 0x0
	s_mov_b32 s5, 0
	s_waitcnt lgkmcnt(0)
	s_add_i32 s4, s4, s6
	s_lshl_b64 s[4:5], s[4:5], 2
	s_add_u32 s4, s46, s4
	s_addc_u32 s5, s47, s5
	s_load_dword s10, s[4:5], 0x0
	s_and_b64 vcc, exec, s[8:9]
	s_cbranch_vccz .LBB178_29
; %bb.10:
	s_waitcnt lgkmcnt(0)
	s_ashr_i32 s11, s10, 31
	s_lshl_b64 s[4:5], s[10:11], 3
	s_add_u32 s4, s20, s4
	s_addc_u32 s5, s21, s5
	s_load_dwordx4 s[44:47], s[4:5], 0x0
	v_lshrrev_b32_e32 v2, 4, v0
	v_subrev_co_u32_e32 v2, vcc, s28, v2
	v_subb_co_u32_e64 v3, s[6:7], 0, 0, vcc
	s_waitcnt lgkmcnt(0)
	s_sub_u32 s4, s46, s28
	v_mov_b32_e32 v4, s45
	v_add_co_u32_e32 v2, vcc, s44, v2
	s_subb_u32 s5, s47, 0
	v_addc_co_u32_e32 v3, vcc, v4, v3, vcc
	v_cmp_gt_i64_e32 vcc, s[4:5], v[2:3]
	s_and_saveexec_b64 s[6:7], vcc
	s_cbranch_execz .LBB178_28
; %bb.11:
	v_and_b32_e32 v4, 15, v0
	v_subrev_co_u32_e32 v12, vcc, s29, v4
	s_mov_b32 s20, 0
	v_subb_co_u32_e64 v13, s[8:9], 0, 0, vcc
	s_mov_b32 s11, s29
	s_mov_b64 s[8:9], 0
	v_mov_b32_e32 v14, s23
	v_mov_b32_e32 v15, s27
	v_mov_b32_e32 v16, s20
	s_movk_i32 s23, 0x89
	s_branch .LBB178_13
.LBB178_12:                             ;   in Loop: Header=BB178_13 Depth=1
	s_or_b64 exec, exec, s[20:21]
	v_add_co_u32_e32 v2, vcc, 8, v2
	v_addc_co_u32_e32 v3, vcc, 0, v3, vcc
	v_cmp_le_i64_e32 vcc, s[4:5], v[2:3]
	s_or_b64 s[8:9], vcc, s[8:9]
	s_andn2_b64 exec, exec, s[8:9]
	s_cbranch_execz .LBB178_28
.LBB178_13:                             ; =>This Loop Header: Depth=1
                                        ;     Child Loop BB178_16 Depth 2
                                        ;       Child Loop BB178_18 Depth 3
	v_lshlrev_b64 v[8:9], 2, v[2:3]
	v_add_co_u32_e32 v4, vcc, s22, v8
	v_addc_co_u32_e32 v5, vcc, v14, v9, vcc
	global_load_dword v4, v[4:5], off
	s_waitcnt vmcnt(0)
	v_subrev_u32_e32 v4, s28, v4
	v_ashrrev_i32_e32 v5, 31, v4
	v_lshlrev_b64 v[4:5], 3, v[4:5]
	v_add_co_u32_e32 v4, vcc, s26, v4
	v_addc_co_u32_e32 v5, vcc, v15, v5, vcc
	global_load_dwordx4 v[18:21], v[4:5], off
	s_waitcnt vmcnt(0)
	v_subrev_co_u32_e32 v4, vcc, s11, v20
	v_subb_co_u32_e32 v5, vcc, v21, v16, vcc
	v_add_co_u32_e32 v6, vcc, v18, v12
	v_addc_co_u32_e32 v7, vcc, v19, v13, vcc
	v_cmp_lt_i64_e32 vcc, v[6:7], v[4:5]
	s_and_saveexec_b64 s[20:21], vcc
	s_cbranch_execz .LBB178_12
; %bb.14:                               ;   in Loop: Header=BB178_13 Depth=1
	v_mov_b32_e32 v17, s25
	v_add_co_u32_e32 v8, vcc, s24, v8
	v_addc_co_u32_e32 v9, vcc, v17, v9, vcc
	global_load_dword v8, v[8:9], off
	s_mov_b64 s[34:35], 0
	s_waitcnt vmcnt(0)
	v_mul_f32_e32 v8, v11, v8
	s_branch .LBB178_16
.LBB178_15:                             ;   in Loop: Header=BB178_16 Depth=2
	s_or_b64 exec, exec, s[44:45]
	v_add_co_u32_e32 v6, vcc, 16, v6
	v_addc_co_u32_e32 v7, vcc, 0, v7, vcc
	v_cmp_ge_i64_e32 vcc, v[6:7], v[4:5]
	s_or_b64 s[34:35], vcc, s[34:35]
	s_andn2_b64 exec, exec, s[34:35]
	s_cbranch_execz .LBB178_12
.LBB178_16:                             ;   Parent Loop BB178_13 Depth=1
                                        ; =>  This Loop Header: Depth=2
                                        ;       Child Loop BB178_18 Depth 3
	v_lshlrev_b64 v[18:19], 2, v[6:7]
	v_mov_b32_e32 v9, s41
	v_add_co_u32_e32 v20, vcc, s40, v18
	v_addc_co_u32_e32 v21, vcc, v9, v19, vcc
	global_load_dword v9, v[20:21], off
	v_mov_b32_e32 v17, s43
	v_add_co_u32_e32 v18, vcc, s42, v18
	v_addc_co_u32_e32 v19, vcc, v17, v19, vcc
	global_load_dword v17, v[18:19], off
	s_mov_b64 s[44:45], 0
	s_waitcnt vmcnt(1)
	v_subrev_u32_e32 v9, s29, v9
	v_mul_lo_u32 v18, v9, s23
	v_and_b32_e32 v18, 0xff, v18
	s_waitcnt vmcnt(0)
	v_mul_f32_e32 v17, v8, v17
	s_branch .LBB178_18
.LBB178_17:                             ;   in Loop: Header=BB178_18 Depth=3
	s_or_b64 exec, exec, s[46:47]
	s_xor_b64 s[46:47], s[48:49], -1
	s_and_b64 s[46:47], exec, s[46:47]
	s_or_b64 s[44:45], s[46:47], s[44:45]
	s_andn2_b64 exec, exec, s[44:45]
	s_cbranch_execz .LBB178_15
.LBB178_18:                             ;   Parent Loop BB178_13 Depth=1
                                        ;     Parent Loop BB178_16 Depth=2
                                        ; =>    This Inner Loop Header: Depth=3
	v_lshl_add_u32 v19, v18, 2, 0
	ds_read_b32 v20, v19
                                        ; implicit-def: $sgpr48_sgpr49
	s_waitcnt lgkmcnt(0)
	v_cmp_ne_u32_e32 vcc, v20, v9
	s_and_saveexec_b64 s[46:47], vcc
	s_xor_b64 s[46:47], exec, s[46:47]
	s_cbranch_execz .LBB178_26
; %bb.19:                               ;   in Loop: Header=BB178_18 Depth=3
	v_cmp_ne_u32_e32 vcc, s33, v20
                                        ; implicit-def: $sgpr48_sgpr49
	s_and_saveexec_b64 s[50:51], vcc
	s_xor_b64 s[50:51], exec, s[50:51]
; %bb.20:                               ;   in Loop: Header=BB178_18 Depth=3
	v_add_u32_e32 v18, 1, v18
	v_and_b32_e32 v18, 0xff, v18
	s_mov_b64 s[48:49], -1
                                        ; implicit-def: $vgpr19
; %bb.21:                               ;   in Loop: Header=BB178_18 Depth=3
	s_andn2_saveexec_b64 s[50:51], s[50:51]
	s_cbranch_execz .LBB178_25
; %bb.22:                               ;   in Loop: Header=BB178_18 Depth=3
	v_mov_b32_e32 v20, s33
	ds_cmpst_rtn_b32 v20, v19, v20, v9
	s_mov_b64 s[52:53], -1
	s_waitcnt lgkmcnt(0)
	v_cmp_eq_u32_e32 vcc, s33, v20
	s_and_saveexec_b64 s[54:55], vcc
	s_cbranch_execz .LBB178_24
; %bb.23:                               ;   in Loop: Header=BB178_18 Depth=3
	ds_add_f32 v19, v17 offset:1024
	s_xor_b64 s[52:53], exec, -1
.LBB178_24:                             ;   in Loop: Header=BB178_18 Depth=3
	s_or_b64 exec, exec, s[54:55]
	s_andn2_b64 s[48:49], s[48:49], exec
	s_and_b64 s[52:53], s[52:53], exec
	s_or_b64 s[48:49], s[48:49], s[52:53]
.LBB178_25:                             ;   in Loop: Header=BB178_18 Depth=3
	s_or_b64 exec, exec, s[50:51]
	s_and_b64 s[48:49], s[48:49], exec
                                        ; implicit-def: $vgpr19
.LBB178_26:                             ;   in Loop: Header=BB178_18 Depth=3
	s_andn2_saveexec_b64 s[46:47], s[46:47]
	s_cbranch_execz .LBB178_17
; %bb.27:                               ;   in Loop: Header=BB178_18 Depth=3
	ds_add_f32 v19, v17 offset:1024
	s_andn2_b64 s[48:49], s[48:49], exec
	s_branch .LBB178_17
.LBB178_28:
	s_or_b64 exec, exec, s[6:7]
.LBB178_29:
	s_andn2_b64 vcc, exec, s[2:3]
	s_cbranch_vccnz .LBB178_46
; %bb.30:
	s_waitcnt lgkmcnt(0)
	s_ashr_i32 s11, s10, 31
	s_lshl_b64 s[2:3], s[10:11], 3
	s_add_u32 s2, s12, s2
	s_addc_u32 s3, s13, s3
	s_load_dwordx4 s[4:7], s[2:3], 0x0
	v_subrev_co_u32_e32 v2, vcc, s31, v0
	v_subb_co_u32_e64 v3, s[2:3], 0, 0, vcc
	s_waitcnt lgkmcnt(0)
	s_sub_u32 s2, s6, s31
	v_mov_b32_e32 v4, s5
	v_add_co_u32_e32 v2, vcc, s4, v2
	s_subb_u32 s3, s7, 0
	v_addc_co_u32_e32 v3, vcc, v4, v3, vcc
	v_cmp_gt_i64_e32 vcc, s[2:3], v[2:3]
	s_and_saveexec_b64 s[4:5], vcc
	s_cbranch_execz .LBB178_45
; %bb.31:
	s_mov_b64 s[6:7], 0
	v_mov_b32_e32 v4, s15
	v_mov_b32_e32 v5, s17
	s_movk_i32 s11, 0x89
	s_branch .LBB178_33
.LBB178_32:                             ;   in Loop: Header=BB178_33 Depth=1
	s_or_b64 exec, exec, s[8:9]
	v_add_co_u32_e32 v2, vcc, 0x80, v2
	v_addc_co_u32_e32 v3, vcc, 0, v3, vcc
	v_cmp_le_i64_e32 vcc, s[2:3], v[2:3]
	s_or_b64 s[6:7], vcc, s[6:7]
	s_andn2_b64 exec, exec, s[6:7]
	s_cbranch_execz .LBB178_45
.LBB178_33:                             ; =>This Loop Header: Depth=1
                                        ;     Child Loop BB178_35 Depth 2
	v_lshlrev_b64 v[6:7], 2, v[2:3]
	v_add_co_u32_e32 v8, vcc, s14, v6
	v_addc_co_u32_e32 v9, vcc, v4, v7, vcc
	global_load_dword v8, v[8:9], off
	v_add_co_u32_e32 v6, vcc, s16, v6
	v_addc_co_u32_e32 v7, vcc, v5, v7, vcc
	global_load_dword v7, v[6:7], off
	s_mov_b64 s[8:9], 0
	s_waitcnt vmcnt(1)
	v_subrev_u32_e32 v6, s31, v8
	v_mul_lo_u32 v8, v6, s11
	v_and_b32_e32 v8, 0xff, v8
	s_waitcnt vmcnt(0)
	v_mul_f32_e32 v7, v10, v7
	s_branch .LBB178_35
.LBB178_34:                             ;   in Loop: Header=BB178_35 Depth=2
	s_or_b64 exec, exec, s[12:13]
	s_xor_b64 s[12:13], s[20:21], -1
	s_and_b64 s[12:13], exec, s[12:13]
	s_or_b64 s[8:9], s[12:13], s[8:9]
	s_andn2_b64 exec, exec, s[8:9]
	s_cbranch_execz .LBB178_32
.LBB178_35:                             ;   Parent Loop BB178_33 Depth=1
                                        ; =>  This Inner Loop Header: Depth=2
	v_lshl_add_u32 v9, v8, 2, 0
	ds_read_b32 v11, v9
                                        ; implicit-def: $sgpr20_sgpr21
	s_waitcnt lgkmcnt(0)
	v_cmp_ne_u32_e32 vcc, v11, v6
	s_and_saveexec_b64 s[12:13], vcc
	s_xor_b64 s[12:13], exec, s[12:13]
	s_cbranch_execz .LBB178_43
; %bb.36:                               ;   in Loop: Header=BB178_35 Depth=2
	v_cmp_ne_u32_e32 vcc, s33, v11
                                        ; implicit-def: $sgpr20_sgpr21
	s_and_saveexec_b64 s[22:23], vcc
	s_xor_b64 s[22:23], exec, s[22:23]
; %bb.37:                               ;   in Loop: Header=BB178_35 Depth=2
	v_add_u32_e32 v8, 1, v8
	v_and_b32_e32 v8, 0xff, v8
	s_mov_b64 s[20:21], -1
                                        ; implicit-def: $vgpr9
; %bb.38:                               ;   in Loop: Header=BB178_35 Depth=2
	s_andn2_saveexec_b64 s[22:23], s[22:23]
	s_cbranch_execz .LBB178_42
; %bb.39:                               ;   in Loop: Header=BB178_35 Depth=2
	v_mov_b32_e32 v11, s33
	ds_cmpst_rtn_b32 v11, v9, v11, v6
	s_mov_b64 s[24:25], -1
	s_waitcnt lgkmcnt(0)
	v_cmp_eq_u32_e32 vcc, s33, v11
	s_and_saveexec_b64 s[26:27], vcc
	s_cbranch_execz .LBB178_41
; %bb.40:                               ;   in Loop: Header=BB178_35 Depth=2
	ds_add_f32 v9, v7 offset:1024
	s_xor_b64 s[24:25], exec, -1
.LBB178_41:                             ;   in Loop: Header=BB178_35 Depth=2
	s_or_b64 exec, exec, s[26:27]
	s_andn2_b64 s[20:21], s[20:21], exec
	s_and_b64 s[24:25], s[24:25], exec
	s_or_b64 s[20:21], s[20:21], s[24:25]
.LBB178_42:                             ;   in Loop: Header=BB178_35 Depth=2
	s_or_b64 exec, exec, s[22:23]
	s_and_b64 s[20:21], s[20:21], exec
                                        ; implicit-def: $vgpr9
.LBB178_43:                             ;   in Loop: Header=BB178_35 Depth=2
	s_andn2_saveexec_b64 s[12:13], s[12:13]
	s_cbranch_execz .LBB178_34
; %bb.44:                               ;   in Loop: Header=BB178_35 Depth=2
	ds_add_f32 v9, v7 offset:1024
	s_andn2_b64 s[20:21], s[20:21], exec
	s_branch .LBB178_34
.LBB178_45:
	s_or_b64 exec, exec, s[4:5]
.LBB178_46:
	s_waitcnt lgkmcnt(0)
	s_barrier
	s_and_saveexec_b64 s[8:9], s[0:1]
	s_cbranch_execz .LBB178_59
; %bb.47:
	v_mbcnt_lo_u32_b32 v2, -1, 0
	v_mbcnt_hi_u32_b32 v2, -1, v2
	v_lshrrev_b32_e32 v4, 3, v0
	v_sub_u32_e32 v2, 63, v2
	v_and_b32_e32 v4, 12, v4
	s_movk_i32 s0, 0x7f
	s_movk_i32 s6, 0x5f
	v_mov_b32_e32 v6, 0
	v_lshrrev_b64 v[2:3], v2, -1
	v_add_u32_e32 v7, 0, v4
	v_cmp_eq_u32_e64 s[0:1], s0, v0
	v_cmp_lt_u32_e64 s[2:3], 31, v0
	v_cmp_lt_u32_e64 s[4:5], 63, v0
	;; [unrolled: 1-line block ×3, first 2 shown]
	v_or_b32_e32 v8, 0xffffff80, v0
	s_mov_b64 s[12:13], 0
	v_mov_b32_e32 v9, 0
	s_branch .LBB178_49
.LBB178_48:                             ;   in Loop: Header=BB178_49 Depth=1
	s_or_b64 exec, exec, s[14:15]
	s_waitcnt lgkmcnt(0)
	s_barrier
	ds_read_b32 v4, v6 offset:2060
	v_add_co_u32_e32 v8, vcc, 0x80, v8
	s_xor_b64 s[14:15], vcc, -1
	s_and_b64 s[14:15], exec, s[14:15]
	s_waitcnt lgkmcnt(0)
	v_add_u32_e32 v9, v4, v9
	s_or_b64 s[12:13], s[14:15], s[12:13]
	v_add_u32_e32 v1, 0x200, v1
	s_andn2_b64 exec, exec, s[12:13]
	s_cbranch_execz .LBB178_59
.LBB178_49:                             ; =>This Inner Loop Header: Depth=1
	ds_read2st64_b32 v[4:5], v1 offset1:4
	s_waitcnt lgkmcnt(0)
	s_barrier
	v_cmp_gt_i32_e32 vcc, s33, v4
	v_and_b32_e32 v11, vcc_lo, v2
	s_bcnt1_i32_b64 s11, vcc
	v_and_b32_e32 v10, vcc_hi, v3
	v_bcnt_u32_b32 v11, v11, 0
	v_bcnt_u32_b32 v10, v10, v11
	v_mov_b32_e32 v11, s11
	ds_write_b32 v7, v11 offset:2048
	s_waitcnt lgkmcnt(0)
	s_barrier
	s_and_saveexec_b64 s[14:15], s[2:3]
	s_cbranch_execnz .LBB178_54
; %bb.50:                               ;   in Loop: Header=BB178_49 Depth=1
	s_or_b64 exec, exec, s[14:15]
	s_and_saveexec_b64 s[14:15], s[4:5]
	s_cbranch_execnz .LBB178_55
.LBB178_51:                             ;   in Loop: Header=BB178_49 Depth=1
	s_or_b64 exec, exec, s[14:15]
	s_and_saveexec_b64 s[14:15], s[6:7]
	s_cbranch_execnz .LBB178_56
.LBB178_52:                             ;   in Loop: Header=BB178_49 Depth=1
	s_or_b64 exec, exec, s[14:15]
	s_and_saveexec_b64 s[14:15], vcc
	s_cbranch_execnz .LBB178_57
.LBB178_53:                             ;   in Loop: Header=BB178_49 Depth=1
	s_or_b64 exec, exec, s[14:15]
	s_and_saveexec_b64 s[14:15], s[0:1]
	s_cbranch_execz .LBB178_48
	s_branch .LBB178_58
.LBB178_54:                             ;   in Loop: Header=BB178_49 Depth=1
	ds_read_b32 v11, v6 offset:2048
	s_waitcnt lgkmcnt(0)
	v_add_u32_e32 v10, v11, v10
	s_or_b64 exec, exec, s[14:15]
	s_and_saveexec_b64 s[14:15], s[4:5]
	s_cbranch_execz .LBB178_51
.LBB178_55:                             ;   in Loop: Header=BB178_49 Depth=1
	ds_read_b32 v11, v6 offset:2052
	s_waitcnt lgkmcnt(0)
	v_add_u32_e32 v10, v11, v10
	s_or_b64 exec, exec, s[14:15]
	s_and_saveexec_b64 s[14:15], s[6:7]
	s_cbranch_execz .LBB178_52
.LBB178_56:                             ;   in Loop: Header=BB178_49 Depth=1
	ds_read_b32 v11, v6 offset:2056
	s_waitcnt lgkmcnt(0)
	v_add_u32_e32 v10, v11, v10
	s_or_b64 exec, exec, s[14:15]
	s_and_saveexec_b64 s[14:15], vcc
	s_cbranch_execz .LBB178_53
.LBB178_57:                             ;   in Loop: Header=BB178_49 Depth=1
	v_add3_u32 v11, v9, -1, v10
	v_lshl_add_u32 v11, v11, 2, 0
	ds_write2st64_b32 v11, v4, v5 offset1:4
	s_or_b64 exec, exec, s[14:15]
	s_and_saveexec_b64 s[14:15], s[0:1]
	s_cbranch_execz .LBB178_48
.LBB178_58:                             ;   in Loop: Header=BB178_49 Depth=1
	ds_write_b32 v6, v10 offset:2060
	s_branch .LBB178_48
.LBB178_59:
	s_or_b64 exec, exec, s[8:9]
	s_ashr_i32 s11, s10, 31
	s_lshl_b64 s[0:1], s[10:11], 3
	s_add_u32 s0, s18, s0
	s_addc_u32 s1, s19, s1
	s_load_dwordx4 s[0:3], s[0:1], 0x0
	s_waitcnt lgkmcnt(0)
	s_sub_i32 s8, s2, s0
	v_cmp_gt_i32_e32 vcc, s8, v0
	s_and_saveexec_b64 s[4:5], vcc
	s_cbranch_execz .LBB178_69
; %bb.60:
	s_sub_u32 s4, s0, s30
	s_subb_u32 s5, s1, 0
	s_and_b32 s9, s8, 7
	s_sub_i32 s0, s0, s2
	s_cmp_lt_u32 s0, -7
	s_cselect_b64 s[0:1], -1, 0
	s_and_b32 s10, s8, -8
	s_cmp_lg_u32 s9, 0
	v_cndmask_b32_e64 v1, 0, 1, s[0:1]
	s_cselect_b64 s[2:3], -1, 0
	v_cmp_ne_u32_e64 s[0:1], 1, v1
	v_cndmask_b32_e64 v1, 0, 1, s[2:3]
	s_mov_b64 s[6:7], 0
	v_cmp_ne_u32_e64 s[2:3], 1, v1
	v_mov_b32_e32 v1, s37
	s_branch .LBB178_62
.LBB178_61:                             ;   in Loop: Header=BB178_62 Depth=1
	v_lshlrev_b64 v[4:5], 2, v[4:5]
	v_add_co_u32_e32 v6, vcc, s36, v4
	s_waitcnt lgkmcnt(0)
	v_add_u32_e32 v2, s30, v2
	v_addc_co_u32_e32 v7, vcc, v1, v5, vcc
	global_store_dword v[6:7], v2, off
	v_mov_b32_e32 v2, s39
	v_add_co_u32_e32 v4, vcc, s38, v4
	v_addc_co_u32_e32 v5, vcc, v2, v5, vcc
	v_add_u32_e32 v0, 0x80, v0
	v_cmp_le_i32_e32 vcc, s8, v0
	s_or_b64 s[6:7], vcc, s[6:7]
	global_store_dword v[4:5], v3, off
	s_andn2_b64 exec, exec, s[6:7]
	s_cbranch_execz .LBB178_69
.LBB178_62:                             ; =>This Loop Header: Depth=1
                                        ;     Child Loop BB178_64 Depth 2
                                        ;     Child Loop BB178_68 Depth 2
	v_lshl_add_u32 v2, v0, 2, 0
	ds_read2st64_b32 v[2:3], v2 offset1:4
	s_and_b64 vcc, exec, s[0:1]
	v_pk_mov_b32 v[4:5], s[4:5], s[4:5] op_sel:[0,1]
	s_mov_b32 s11, 0
	s_cbranch_vccnz .LBB178_66
; %bb.63:                               ;   in Loop: Header=BB178_62 Depth=1
	s_mov_b32 s12, 0
	v_pk_mov_b32 v[4:5], s[4:5], s[4:5] op_sel:[0,1]
.LBB178_64:                             ;   Parent Loop BB178_62 Depth=1
                                        ; =>  This Inner Loop Header: Depth=2
	v_mov_b32_e32 v12, s12
	ds_read2_b32 v[6:7], v12 offset1:1
	ds_read2_b32 v[8:9], v12 offset0:2 offset1:3
	ds_read2_b32 v[10:11], v12 offset0:4 offset1:5
	;; [unrolled: 1-line block ×3, first 2 shown]
	s_add_i32 s11, s11, 8
	s_waitcnt lgkmcnt(3)
	v_cmp_gt_i32_e32 vcc, v2, v6
	v_cndmask_b32_e64 v6, 0, 1, vcc
	v_cmp_gt_i32_e32 vcc, v2, v7
	v_cndmask_b32_e64 v7, 0, 1, vcc
	s_waitcnt lgkmcnt(2)
	v_cmp_gt_i32_e32 vcc, v2, v8
	v_cndmask_b32_e64 v8, 0, 1, vcc
	v_cmp_gt_i32_e32 vcc, v2, v9
	v_cndmask_b32_e64 v9, 0, 1, vcc
	;; [unrolled: 5-line block ×4, first 2 shown]
	v_add_co_u32_e32 v4, vcc, v4, v6
	v_addc_co_u32_e32 v5, vcc, 0, v5, vcc
	v_add_co_u32_e32 v4, vcc, v4, v7
	v_addc_co_u32_e32 v5, vcc, 0, v5, vcc
	;; [unrolled: 2-line block ×7, first 2 shown]
	s_add_i32 s12, s12, 32
	v_add_co_u32_e32 v4, vcc, v4, v13
	s_cmp_eq_u32 s10, s11
	v_addc_co_u32_e32 v5, vcc, 0, v5, vcc
	s_cbranch_scc0 .LBB178_64
; %bb.65:                               ;   in Loop: Header=BB178_62 Depth=1
	s_mov_b32 s11, s10
.LBB178_66:                             ;   in Loop: Header=BB178_62 Depth=1
	s_and_b64 vcc, exec, s[2:3]
	s_cbranch_vccnz .LBB178_61
; %bb.67:                               ;   in Loop: Header=BB178_62 Depth=1
	s_lshl_b32 s11, s11, 2
	s_add_i32 s11, s11, 0
	s_mov_b32 s12, s9
.LBB178_68:                             ;   Parent Loop BB178_62 Depth=1
                                        ; =>  This Inner Loop Header: Depth=2
	v_mov_b32_e32 v6, s11
	ds_read_b32 v6, v6
	s_add_i32 s11, s11, 4
	s_add_i32 s12, s12, -1
	s_cmp_lg_u32 s12, 0
	s_waitcnt lgkmcnt(0)
	v_cmp_gt_i32_e32 vcc, v2, v6
	v_cndmask_b32_e64 v6, 0, 1, vcc
	v_add_co_u32_e32 v4, vcc, v4, v6
	v_addc_co_u32_e32 v5, vcc, 0, v5, vcc
	s_cbranch_scc1 .LBB178_68
	s_branch .LBB178_61
.LBB178_69:
	s_endpgm
	.section	.rodata,"a",@progbits
	.p2align	6, 0x0
	.amdhsa_kernel _ZN9rocsparseL26csrgemm_fill_block_per_rowILj128ELj16ELj256ELj137ELj32ElifEEvT5_PKS1_S3_NS_24const_host_device_scalarIT6_EEPKT4_S3_PKS5_S9_S3_SB_S6_S9_S3_SB_S9_PS1_PS5_21rocsparse_index_base_SE_SE_SE_bbb
		.amdhsa_group_segment_fixed_size 0
		.amdhsa_private_segment_fixed_size 0
		.amdhsa_kernarg_size 156
		.amdhsa_user_sgpr_count 6
		.amdhsa_user_sgpr_private_segment_buffer 1
		.amdhsa_user_sgpr_dispatch_ptr 0
		.amdhsa_user_sgpr_queue_ptr 0
		.amdhsa_user_sgpr_kernarg_segment_ptr 1
		.amdhsa_user_sgpr_dispatch_id 0
		.amdhsa_user_sgpr_flat_scratch_init 0
		.amdhsa_user_sgpr_kernarg_preload_length 0
		.amdhsa_user_sgpr_kernarg_preload_offset 0
		.amdhsa_user_sgpr_private_segment_size 0
		.amdhsa_uses_dynamic_stack 0
		.amdhsa_system_sgpr_private_segment_wavefront_offset 0
		.amdhsa_system_sgpr_workgroup_id_x 1
		.amdhsa_system_sgpr_workgroup_id_y 0
		.amdhsa_system_sgpr_workgroup_id_z 0
		.amdhsa_system_sgpr_workgroup_info 0
		.amdhsa_system_vgpr_workitem_id 0
		.amdhsa_next_free_vgpr 22
		.amdhsa_next_free_sgpr 56
		.amdhsa_accum_offset 24
		.amdhsa_reserve_vcc 1
		.amdhsa_reserve_flat_scratch 0
		.amdhsa_float_round_mode_32 0
		.amdhsa_float_round_mode_16_64 0
		.amdhsa_float_denorm_mode_32 3
		.amdhsa_float_denorm_mode_16_64 3
		.amdhsa_dx10_clamp 1
		.amdhsa_ieee_mode 1
		.amdhsa_fp16_overflow 0
		.amdhsa_tg_split 0
		.amdhsa_exception_fp_ieee_invalid_op 0
		.amdhsa_exception_fp_denorm_src 0
		.amdhsa_exception_fp_ieee_div_zero 0
		.amdhsa_exception_fp_ieee_overflow 0
		.amdhsa_exception_fp_ieee_underflow 0
		.amdhsa_exception_fp_ieee_inexact 0
		.amdhsa_exception_int_div_zero 0
	.end_amdhsa_kernel
	.section	.text._ZN9rocsparseL26csrgemm_fill_block_per_rowILj128ELj16ELj256ELj137ELj32ElifEEvT5_PKS1_S3_NS_24const_host_device_scalarIT6_EEPKT4_S3_PKS5_S9_S3_SB_S6_S9_S3_SB_S9_PS1_PS5_21rocsparse_index_base_SE_SE_SE_bbb,"axG",@progbits,_ZN9rocsparseL26csrgemm_fill_block_per_rowILj128ELj16ELj256ELj137ELj32ElifEEvT5_PKS1_S3_NS_24const_host_device_scalarIT6_EEPKT4_S3_PKS5_S9_S3_SB_S6_S9_S3_SB_S9_PS1_PS5_21rocsparse_index_base_SE_SE_SE_bbb,comdat
.Lfunc_end178:
	.size	_ZN9rocsparseL26csrgemm_fill_block_per_rowILj128ELj16ELj256ELj137ELj32ElifEEvT5_PKS1_S3_NS_24const_host_device_scalarIT6_EEPKT4_S3_PKS5_S9_S3_SB_S6_S9_S3_SB_S9_PS1_PS5_21rocsparse_index_base_SE_SE_SE_bbb, .Lfunc_end178-_ZN9rocsparseL26csrgemm_fill_block_per_rowILj128ELj16ELj256ELj137ELj32ElifEEvT5_PKS1_S3_NS_24const_host_device_scalarIT6_EEPKT4_S3_PKS5_S9_S3_SB_S6_S9_S3_SB_S9_PS1_PS5_21rocsparse_index_base_SE_SE_SE_bbb
                                        ; -- End function
	.section	.AMDGPU.csdata,"",@progbits
; Kernel info:
; codeLenInByte = 2376
; NumSgprs: 60
; NumVgprs: 22
; NumAgprs: 0
; TotalNumVgprs: 22
; ScratchSize: 0
; MemoryBound: 0
; FloatMode: 240
; IeeeMode: 1
; LDSByteSize: 0 bytes/workgroup (compile time only)
; SGPRBlocks: 7
; VGPRBlocks: 2
; NumSGPRsForWavesPerEU: 60
; NumVGPRsForWavesPerEU: 22
; AccumOffset: 24
; Occupancy: 8
; WaveLimiterHint : 1
; COMPUTE_PGM_RSRC2:SCRATCH_EN: 0
; COMPUTE_PGM_RSRC2:USER_SGPR: 6
; COMPUTE_PGM_RSRC2:TRAP_HANDLER: 0
; COMPUTE_PGM_RSRC2:TGID_X_EN: 1
; COMPUTE_PGM_RSRC2:TGID_Y_EN: 0
; COMPUTE_PGM_RSRC2:TGID_Z_EN: 0
; COMPUTE_PGM_RSRC2:TIDIG_COMP_CNT: 0
; COMPUTE_PGM_RSRC3_GFX90A:ACCUM_OFFSET: 5
; COMPUTE_PGM_RSRC3_GFX90A:TG_SPLIT: 0
	.section	.text._ZN9rocsparseL26csrgemm_fill_block_per_rowILj128ELj16ELj256ELj137ELj64ElifEEvT5_PKS1_S3_NS_24const_host_device_scalarIT6_EEPKT4_S3_PKS5_S9_S3_SB_S6_S9_S3_SB_S9_PS1_PS5_21rocsparse_index_base_SE_SE_SE_bbb,"axG",@progbits,_ZN9rocsparseL26csrgemm_fill_block_per_rowILj128ELj16ELj256ELj137ELj64ElifEEvT5_PKS1_S3_NS_24const_host_device_scalarIT6_EEPKT4_S3_PKS5_S9_S3_SB_S6_S9_S3_SB_S9_PS1_PS5_21rocsparse_index_base_SE_SE_SE_bbb,comdat
	.globl	_ZN9rocsparseL26csrgemm_fill_block_per_rowILj128ELj16ELj256ELj137ELj64ElifEEvT5_PKS1_S3_NS_24const_host_device_scalarIT6_EEPKT4_S3_PKS5_S9_S3_SB_S6_S9_S3_SB_S9_PS1_PS5_21rocsparse_index_base_SE_SE_SE_bbb ; -- Begin function _ZN9rocsparseL26csrgemm_fill_block_per_rowILj128ELj16ELj256ELj137ELj64ElifEEvT5_PKS1_S3_NS_24const_host_device_scalarIT6_EEPKT4_S3_PKS5_S9_S3_SB_S6_S9_S3_SB_S9_PS1_PS5_21rocsparse_index_base_SE_SE_SE_bbb
	.p2align	8
	.type	_ZN9rocsparseL26csrgemm_fill_block_per_rowILj128ELj16ELj256ELj137ELj64ElifEEvT5_PKS1_S3_NS_24const_host_device_scalarIT6_EEPKT4_S3_PKS5_S9_S3_SB_S6_S9_S3_SB_S9_PS1_PS5_21rocsparse_index_base_SE_SE_SE_bbb,@function
_ZN9rocsparseL26csrgemm_fill_block_per_rowILj128ELj16ELj256ELj137ELj64ElifEEvT5_PKS1_S3_NS_24const_host_device_scalarIT6_EEPKT4_S3_PKS5_S9_S3_SB_S6_S9_S3_SB_S9_PS1_PS5_21rocsparse_index_base_SE_SE_SE_bbb: ; @_ZN9rocsparseL26csrgemm_fill_block_per_rowILj128ELj16ELj256ELj137ELj64ElifEEvT5_PKS1_S3_NS_24const_host_device_scalarIT6_EEPKT4_S3_PKS5_S9_S3_SB_S6_S9_S3_SB_S9_PS1_PS5_21rocsparse_index_base_SE_SE_SE_bbb
; %bb.0:
	s_load_dword s7, s[4:5], 0x98
	s_load_dwordx2 s[2:3], s[4:5], 0x18
	s_load_dwordx2 s[0:1], s[4:5], 0x50
	s_waitcnt lgkmcnt(0)
	s_bitcmp1_b32 s7, 0
	s_cselect_b64 s[8:9], -1, 0
	s_bitcmp1_b32 s7, 16
	s_cselect_b64 s[10:11], -1, 0
	s_xor_b64 s[12:13], s[8:9], -1
	s_or_b64 s[12:13], s[12:13], s[10:11]
	s_and_b64 vcc, exec, s[12:13]
	s_cbranch_vccnz .LBB179_2
; %bb.1:
	s_load_dword s2, s[2:3], 0x0
	s_waitcnt lgkmcnt(0)
	v_mov_b32_e32 v12, s2
	s_branch .LBB179_3
.LBB179_2:
	v_mov_b32_e32 v1, s2
	v_cndmask_b32_e64 v12, 0, v1, s[8:9]
.LBB179_3:
	s_load_dwordx4 s[28:31], s[4:5], 0x88
	s_bitcmp1_b32 s7, 8
	s_cselect_b64 s[2:3], -1, 0
	s_xor_b64 s[12:13], s[2:3], -1
	s_or_b64 s[10:11], s[12:13], s[10:11]
	s_and_b64 vcc, exec, s[10:11]
	s_cbranch_vccnz .LBB179_5
; %bb.4:
	s_load_dword s0, s[0:1], 0x0
	s_waitcnt lgkmcnt(0)
	v_mov_b32_e32 v10, s0
	s_branch .LBB179_6
.LBB179_5:
	v_mov_b32_e32 v1, s0
	v_cndmask_b32_e64 v10, 0, v1, s[2:3]
.LBB179_6:
	s_load_dwordx4 s[36:39], s[4:5], 0x78
	s_load_dwordx8 s[12:19], s[4:5], 0x58
	s_load_dwordx4 s[40:43], s[4:5], 0x40
	s_load_dwordx8 s[20:27], s[4:5], 0x20
	s_load_dwordx4 s[44:47], s[4:5], 0x8
	s_load_dword s33, s[4:5], 0x0
	s_movk_i32 s0, 0x100
	v_cmp_gt_u32_e64 s[0:1], s0, v0
	v_lshl_add_u32 v1, v0, 2, 0
	s_and_saveexec_b64 s[4:5], s[0:1]
	s_cbranch_execz .LBB179_9
; %bb.7:
	v_or_b32_e32 v2, 0xffffff80, v0
	v_lshl_add_u32 v3, v0, 2, 0
	s_mov_b64 s[10:11], 0
	s_waitcnt lgkmcnt(0)
	v_mov_b32_e32 v4, s33
	v_mov_b32_e32 v5, 0
.LBB179_8:                              ; =>This Inner Loop Header: Depth=1
	v_add_co_u32_e32 v2, vcc, 0x80, v2
	s_xor_b64 s[34:35], vcc, -1
	s_and_b64 s[34:35], exec, s[34:35]
	ds_write2st64_b32 v3, v4, v5 offset1:4
	s_or_b64 s[10:11], s[34:35], s[10:11]
	v_add_u32_e32 v3, 0x200, v3
	s_andn2_b64 exec, exec, s[10:11]
	s_cbranch_execnz .LBB179_8
.LBB179_9:
	s_or_b64 exec, exec, s[4:5]
	s_waitcnt lgkmcnt(0)
	s_barrier
	s_load_dword s4, s[44:45], 0x0
	s_mov_b32 s5, 0
	v_lshrrev_b32_e32 v11, 4, v0
	s_waitcnt lgkmcnt(0)
	s_add_i32 s4, s4, s6
	s_lshl_b64 s[4:5], s[4:5], 2
	s_add_u32 s4, s46, s4
	s_addc_u32 s5, s47, s5
	s_load_dword s4, s[4:5], 0x0
	s_and_b64 vcc, exec, s[8:9]
	s_cbranch_vccz .LBB179_29
; %bb.10:
	s_waitcnt lgkmcnt(0)
	s_ashr_i32 s5, s4, 31
	s_lshl_b64 s[6:7], s[4:5], 3
	s_add_u32 s6, s20, s6
	s_addc_u32 s7, s21, s7
	s_load_dwordx4 s[8:11], s[6:7], 0x0
	v_subrev_co_u32_e32 v2, vcc, s28, v11
	v_subb_co_u32_e64 v3, s[6:7], 0, 0, vcc
	s_waitcnt lgkmcnt(0)
	s_sub_u32 s6, s10, s28
	v_mov_b32_e32 v4, s9
	v_add_co_u32_e32 v2, vcc, s8, v2
	s_subb_u32 s7, s11, 0
	v_addc_co_u32_e32 v3, vcc, v4, v3, vcc
	v_cmp_gt_i64_e32 vcc, s[6:7], v[2:3]
	s_and_saveexec_b64 s[8:9], vcc
	s_cbranch_execz .LBB179_28
; %bb.11:
	v_and_b32_e32 v4, 15, v0
	v_subrev_co_u32_e32 v13, vcc, s29, v4
	s_mov_b32 s20, 0
	v_subb_co_u32_e64 v14, s[10:11], 0, 0, vcc
	s_mov_b32 s5, s29
	s_mov_b64 s[10:11], 0
	v_mov_b32_e32 v15, s23
	v_mov_b32_e32 v16, s27
	;; [unrolled: 1-line block ×3, first 2 shown]
	s_movk_i32 s23, 0x89
	s_branch .LBB179_13
.LBB179_12:                             ;   in Loop: Header=BB179_13 Depth=1
	s_or_b64 exec, exec, s[20:21]
	v_add_co_u32_e32 v2, vcc, 8, v2
	v_addc_co_u32_e32 v3, vcc, 0, v3, vcc
	v_cmp_le_i64_e32 vcc, s[6:7], v[2:3]
	s_or_b64 s[10:11], vcc, s[10:11]
	s_andn2_b64 exec, exec, s[10:11]
	s_cbranch_execz .LBB179_28
.LBB179_13:                             ; =>This Loop Header: Depth=1
                                        ;     Child Loop BB179_16 Depth 2
                                        ;       Child Loop BB179_18 Depth 3
	v_lshlrev_b64 v[8:9], 2, v[2:3]
	v_add_co_u32_e32 v4, vcc, s22, v8
	v_addc_co_u32_e32 v5, vcc, v15, v9, vcc
	global_load_dword v4, v[4:5], off
	s_waitcnt vmcnt(0)
	v_subrev_u32_e32 v4, s28, v4
	v_ashrrev_i32_e32 v5, 31, v4
	v_lshlrev_b64 v[4:5], 3, v[4:5]
	v_add_co_u32_e32 v4, vcc, s26, v4
	v_addc_co_u32_e32 v5, vcc, v16, v5, vcc
	global_load_dwordx4 v[18:21], v[4:5], off
	s_waitcnt vmcnt(0)
	v_subrev_co_u32_e32 v4, vcc, s5, v20
	v_subb_co_u32_e32 v5, vcc, v21, v17, vcc
	v_add_co_u32_e32 v6, vcc, v18, v13
	v_addc_co_u32_e32 v7, vcc, v19, v14, vcc
	v_cmp_lt_i64_e32 vcc, v[6:7], v[4:5]
	s_and_saveexec_b64 s[20:21], vcc
	s_cbranch_execz .LBB179_12
; %bb.14:                               ;   in Loop: Header=BB179_13 Depth=1
	v_mov_b32_e32 v18, s25
	v_add_co_u32_e32 v8, vcc, s24, v8
	v_addc_co_u32_e32 v9, vcc, v18, v9, vcc
	global_load_dword v8, v[8:9], off
	s_mov_b64 s[34:35], 0
	s_waitcnt vmcnt(0)
	v_mul_f32_e32 v8, v12, v8
	s_branch .LBB179_16
.LBB179_15:                             ;   in Loop: Header=BB179_16 Depth=2
	s_or_b64 exec, exec, s[44:45]
	v_add_co_u32_e32 v6, vcc, 16, v6
	v_addc_co_u32_e32 v7, vcc, 0, v7, vcc
	v_cmp_ge_i64_e32 vcc, v[6:7], v[4:5]
	s_or_b64 s[34:35], vcc, s[34:35]
	s_andn2_b64 exec, exec, s[34:35]
	s_cbranch_execz .LBB179_12
.LBB179_16:                             ;   Parent Loop BB179_13 Depth=1
                                        ; =>  This Loop Header: Depth=2
                                        ;       Child Loop BB179_18 Depth 3
	v_lshlrev_b64 v[18:19], 2, v[6:7]
	v_mov_b32_e32 v9, s41
	v_add_co_u32_e32 v20, vcc, s40, v18
	v_addc_co_u32_e32 v21, vcc, v9, v19, vcc
	global_load_dword v9, v[20:21], off
	v_mov_b32_e32 v20, s43
	v_add_co_u32_e32 v18, vcc, s42, v18
	v_addc_co_u32_e32 v19, vcc, v20, v19, vcc
	global_load_dword v18, v[18:19], off
	s_mov_b64 s[44:45], 0
	s_waitcnt vmcnt(1)
	v_subrev_u32_e32 v9, s29, v9
	v_mul_lo_u32 v19, v9, s23
	v_and_b32_e32 v19, 0xff, v19
	s_waitcnt vmcnt(0)
	v_mul_f32_e32 v18, v8, v18
	s_branch .LBB179_18
.LBB179_17:                             ;   in Loop: Header=BB179_18 Depth=3
	s_or_b64 exec, exec, s[46:47]
	s_xor_b64 s[46:47], s[48:49], -1
	s_and_b64 s[46:47], exec, s[46:47]
	s_or_b64 s[44:45], s[46:47], s[44:45]
	s_andn2_b64 exec, exec, s[44:45]
	s_cbranch_execz .LBB179_15
.LBB179_18:                             ;   Parent Loop BB179_13 Depth=1
                                        ;     Parent Loop BB179_16 Depth=2
                                        ; =>    This Inner Loop Header: Depth=3
	v_lshl_add_u32 v20, v19, 2, 0
	ds_read_b32 v21, v20
                                        ; implicit-def: $sgpr48_sgpr49
	s_waitcnt lgkmcnt(0)
	v_cmp_ne_u32_e32 vcc, v21, v9
	s_and_saveexec_b64 s[46:47], vcc
	s_xor_b64 s[46:47], exec, s[46:47]
	s_cbranch_execz .LBB179_26
; %bb.19:                               ;   in Loop: Header=BB179_18 Depth=3
	v_cmp_ne_u32_e32 vcc, s33, v21
                                        ; implicit-def: $sgpr48_sgpr49
	s_and_saveexec_b64 s[50:51], vcc
	s_xor_b64 s[50:51], exec, s[50:51]
; %bb.20:                               ;   in Loop: Header=BB179_18 Depth=3
	v_add_u32_e32 v19, 1, v19
	v_and_b32_e32 v19, 0xff, v19
	s_mov_b64 s[48:49], -1
                                        ; implicit-def: $vgpr20
; %bb.21:                               ;   in Loop: Header=BB179_18 Depth=3
	s_andn2_saveexec_b64 s[50:51], s[50:51]
	s_cbranch_execz .LBB179_25
; %bb.22:                               ;   in Loop: Header=BB179_18 Depth=3
	v_mov_b32_e32 v21, s33
	ds_cmpst_rtn_b32 v21, v20, v21, v9
	s_mov_b64 s[52:53], -1
	s_waitcnt lgkmcnt(0)
	v_cmp_eq_u32_e32 vcc, s33, v21
	s_and_saveexec_b64 s[54:55], vcc
	s_cbranch_execz .LBB179_24
; %bb.23:                               ;   in Loop: Header=BB179_18 Depth=3
	ds_add_f32 v20, v18 offset:1024
	s_xor_b64 s[52:53], exec, -1
.LBB179_24:                             ;   in Loop: Header=BB179_18 Depth=3
	s_or_b64 exec, exec, s[54:55]
	s_andn2_b64 s[48:49], s[48:49], exec
	s_and_b64 s[52:53], s[52:53], exec
	s_or_b64 s[48:49], s[48:49], s[52:53]
.LBB179_25:                             ;   in Loop: Header=BB179_18 Depth=3
	s_or_b64 exec, exec, s[50:51]
	s_and_b64 s[48:49], s[48:49], exec
                                        ; implicit-def: $vgpr20
.LBB179_26:                             ;   in Loop: Header=BB179_18 Depth=3
	s_andn2_saveexec_b64 s[46:47], s[46:47]
	s_cbranch_execz .LBB179_17
; %bb.27:                               ;   in Loop: Header=BB179_18 Depth=3
	ds_add_f32 v20, v18 offset:1024
	s_andn2_b64 s[48:49], s[48:49], exec
	s_branch .LBB179_17
.LBB179_28:
	s_or_b64 exec, exec, s[8:9]
.LBB179_29:
	s_andn2_b64 vcc, exec, s[2:3]
	s_cbranch_vccnz .LBB179_46
; %bb.30:
	s_waitcnt lgkmcnt(0)
	s_ashr_i32 s5, s4, 31
	s_lshl_b64 s[2:3], s[4:5], 3
	s_add_u32 s2, s12, s2
	s_addc_u32 s3, s13, s3
	s_load_dwordx4 s[8:11], s[2:3], 0x0
	v_subrev_co_u32_e32 v2, vcc, s31, v0
	v_subb_co_u32_e64 v3, s[2:3], 0, 0, vcc
	s_waitcnt lgkmcnt(0)
	s_sub_u32 s2, s10, s31
	v_mov_b32_e32 v4, s9
	v_add_co_u32_e32 v2, vcc, s8, v2
	s_subb_u32 s3, s11, 0
	v_addc_co_u32_e32 v3, vcc, v4, v3, vcc
	v_cmp_gt_i64_e32 vcc, s[2:3], v[2:3]
	s_and_saveexec_b64 s[6:7], vcc
	s_cbranch_execz .LBB179_45
; %bb.31:
	s_mov_b64 s[8:9], 0
	v_mov_b32_e32 v4, s15
	v_mov_b32_e32 v5, s17
	s_movk_i32 s5, 0x89
	s_branch .LBB179_33
.LBB179_32:                             ;   in Loop: Header=BB179_33 Depth=1
	s_or_b64 exec, exec, s[10:11]
	v_add_co_u32_e32 v2, vcc, 0x80, v2
	v_addc_co_u32_e32 v3, vcc, 0, v3, vcc
	v_cmp_le_i64_e32 vcc, s[2:3], v[2:3]
	s_or_b64 s[8:9], vcc, s[8:9]
	s_andn2_b64 exec, exec, s[8:9]
	s_cbranch_execz .LBB179_45
.LBB179_33:                             ; =>This Loop Header: Depth=1
                                        ;     Child Loop BB179_35 Depth 2
	v_lshlrev_b64 v[6:7], 2, v[2:3]
	v_add_co_u32_e32 v8, vcc, s14, v6
	v_addc_co_u32_e32 v9, vcc, v4, v7, vcc
	global_load_dword v8, v[8:9], off
	v_add_co_u32_e32 v6, vcc, s16, v6
	v_addc_co_u32_e32 v7, vcc, v5, v7, vcc
	global_load_dword v7, v[6:7], off
	s_mov_b64 s[10:11], 0
	s_waitcnt vmcnt(1)
	v_subrev_u32_e32 v6, s31, v8
	v_mul_lo_u32 v8, v6, s5
	v_and_b32_e32 v8, 0xff, v8
	s_waitcnt vmcnt(0)
	v_mul_f32_e32 v7, v10, v7
	s_branch .LBB179_35
.LBB179_34:                             ;   in Loop: Header=BB179_35 Depth=2
	s_or_b64 exec, exec, s[12:13]
	s_xor_b64 s[12:13], s[20:21], -1
	s_and_b64 s[12:13], exec, s[12:13]
	s_or_b64 s[10:11], s[12:13], s[10:11]
	s_andn2_b64 exec, exec, s[10:11]
	s_cbranch_execz .LBB179_32
.LBB179_35:                             ;   Parent Loop BB179_33 Depth=1
                                        ; =>  This Inner Loop Header: Depth=2
	v_lshl_add_u32 v9, v8, 2, 0
	ds_read_b32 v12, v9
                                        ; implicit-def: $sgpr20_sgpr21
	s_waitcnt lgkmcnt(0)
	v_cmp_ne_u32_e32 vcc, v12, v6
	s_and_saveexec_b64 s[12:13], vcc
	s_xor_b64 s[12:13], exec, s[12:13]
	s_cbranch_execz .LBB179_43
; %bb.36:                               ;   in Loop: Header=BB179_35 Depth=2
	v_cmp_ne_u32_e32 vcc, s33, v12
                                        ; implicit-def: $sgpr20_sgpr21
	s_and_saveexec_b64 s[22:23], vcc
	s_xor_b64 s[22:23], exec, s[22:23]
; %bb.37:                               ;   in Loop: Header=BB179_35 Depth=2
	v_add_u32_e32 v8, 1, v8
	v_and_b32_e32 v8, 0xff, v8
	s_mov_b64 s[20:21], -1
                                        ; implicit-def: $vgpr9
; %bb.38:                               ;   in Loop: Header=BB179_35 Depth=2
	s_andn2_saveexec_b64 s[22:23], s[22:23]
	s_cbranch_execz .LBB179_42
; %bb.39:                               ;   in Loop: Header=BB179_35 Depth=2
	v_mov_b32_e32 v12, s33
	ds_cmpst_rtn_b32 v12, v9, v12, v6
	s_mov_b64 s[24:25], -1
	s_waitcnt lgkmcnt(0)
	v_cmp_eq_u32_e32 vcc, s33, v12
	s_and_saveexec_b64 s[26:27], vcc
	s_cbranch_execz .LBB179_41
; %bb.40:                               ;   in Loop: Header=BB179_35 Depth=2
	ds_add_f32 v9, v7 offset:1024
	s_xor_b64 s[24:25], exec, -1
.LBB179_41:                             ;   in Loop: Header=BB179_35 Depth=2
	s_or_b64 exec, exec, s[26:27]
	s_andn2_b64 s[20:21], s[20:21], exec
	s_and_b64 s[24:25], s[24:25], exec
	s_or_b64 s[20:21], s[20:21], s[24:25]
.LBB179_42:                             ;   in Loop: Header=BB179_35 Depth=2
	s_or_b64 exec, exec, s[22:23]
	s_and_b64 s[20:21], s[20:21], exec
                                        ; implicit-def: $vgpr9
.LBB179_43:                             ;   in Loop: Header=BB179_35 Depth=2
	s_andn2_saveexec_b64 s[12:13], s[12:13]
	s_cbranch_execz .LBB179_34
; %bb.44:                               ;   in Loop: Header=BB179_35 Depth=2
	ds_add_f32 v9, v7 offset:1024
	s_andn2_b64 s[20:21], s[20:21], exec
	s_branch .LBB179_34
.LBB179_45:
	s_or_b64 exec, exec, s[6:7]
.LBB179_46:
	s_waitcnt lgkmcnt(0)
	s_barrier
	s_and_saveexec_b64 s[6:7], s[0:1]
	s_cbranch_execz .LBB179_55
; %bb.47:
	v_mbcnt_lo_u32_b32 v2, -1, 0
	v_mbcnt_hi_u32_b32 v2, -1, v2
	v_sub_u32_e32 v2, 63, v2
	v_and_b32_e32 v4, 4, v11
	s_movk_i32 s2, 0x7f
	v_mov_b32_e32 v6, 0
	v_lshrrev_b64 v[2:3], v2, -1
	v_add_u32_e32 v7, 0, v4
	v_cmp_lt_u32_e64 s[0:1], 63, v0
	v_cmp_eq_u32_e64 s[2:3], s2, v0
	v_or_b32_e32 v8, 0xffffff80, v0
	s_mov_b64 s[8:9], 0
	v_mov_b32_e32 v9, 0
	s_branch .LBB179_49
.LBB179_48:                             ;   in Loop: Header=BB179_49 Depth=1
	s_or_b64 exec, exec, s[10:11]
	s_waitcnt lgkmcnt(0)
	s_barrier
	ds_read_b32 v4, v6 offset:2052
	v_add_co_u32_e32 v8, vcc, 0x80, v8
	s_xor_b64 s[10:11], vcc, -1
	s_and_b64 s[10:11], exec, s[10:11]
	s_waitcnt lgkmcnt(0)
	v_add_u32_e32 v9, v4, v9
	s_or_b64 s[8:9], s[10:11], s[8:9]
	v_add_u32_e32 v1, 0x200, v1
	s_andn2_b64 exec, exec, s[8:9]
	s_cbranch_execz .LBB179_55
.LBB179_49:                             ; =>This Inner Loop Header: Depth=1
	ds_read2st64_b32 v[4:5], v1 offset1:4
	s_waitcnt lgkmcnt(0)
	s_barrier
	v_cmp_gt_i32_e32 vcc, s33, v4
	v_and_b32_e32 v11, vcc_lo, v2
	s_bcnt1_i32_b64 s5, vcc
	v_and_b32_e32 v10, vcc_hi, v3
	v_bcnt_u32_b32 v11, v11, 0
	v_bcnt_u32_b32 v10, v10, v11
	v_mov_b32_e32 v11, s5
	ds_write_b32 v7, v11 offset:2048
	s_waitcnt lgkmcnt(0)
	s_barrier
	s_and_saveexec_b64 s[10:11], s[0:1]
	s_cbranch_execnz .LBB179_52
; %bb.50:                               ;   in Loop: Header=BB179_49 Depth=1
	s_or_b64 exec, exec, s[10:11]
	s_and_saveexec_b64 s[10:11], vcc
	s_cbranch_execnz .LBB179_53
.LBB179_51:                             ;   in Loop: Header=BB179_49 Depth=1
	s_or_b64 exec, exec, s[10:11]
	s_and_saveexec_b64 s[10:11], s[2:3]
	s_cbranch_execz .LBB179_48
	s_branch .LBB179_54
.LBB179_52:                             ;   in Loop: Header=BB179_49 Depth=1
	ds_read_b32 v11, v6 offset:2048
	s_waitcnt lgkmcnt(0)
	v_add_u32_e32 v10, v11, v10
	s_or_b64 exec, exec, s[10:11]
	s_and_saveexec_b64 s[10:11], vcc
	s_cbranch_execz .LBB179_51
.LBB179_53:                             ;   in Loop: Header=BB179_49 Depth=1
	v_add3_u32 v11, v9, -1, v10
	v_lshl_add_u32 v11, v11, 2, 0
	ds_write2st64_b32 v11, v4, v5 offset1:4
	s_or_b64 exec, exec, s[10:11]
	s_and_saveexec_b64 s[10:11], s[2:3]
	s_cbranch_execz .LBB179_48
.LBB179_54:                             ;   in Loop: Header=BB179_49 Depth=1
	ds_write_b32 v6, v10 offset:2052
	s_branch .LBB179_48
.LBB179_55:
	s_or_b64 exec, exec, s[6:7]
	s_ashr_i32 s5, s4, 31
	s_lshl_b64 s[0:1], s[4:5], 3
	s_add_u32 s0, s18, s0
	s_addc_u32 s1, s19, s1
	s_load_dwordx4 s[0:3], s[0:1], 0x0
	s_waitcnt lgkmcnt(0)
	s_sub_i32 s8, s2, s0
	v_cmp_gt_i32_e32 vcc, s8, v0
	s_and_saveexec_b64 s[4:5], vcc
	s_cbranch_execz .LBB179_65
; %bb.56:
	s_sub_u32 s4, s0, s30
	s_subb_u32 s5, s1, 0
	s_and_b32 s9, s8, 7
	s_sub_i32 s0, s0, s2
	s_cmp_lt_u32 s0, -7
	s_cselect_b64 s[0:1], -1, 0
	s_and_b32 s10, s8, -8
	s_cmp_lg_u32 s9, 0
	v_cndmask_b32_e64 v1, 0, 1, s[0:1]
	s_cselect_b64 s[2:3], -1, 0
	v_cmp_ne_u32_e64 s[0:1], 1, v1
	v_cndmask_b32_e64 v1, 0, 1, s[2:3]
	s_mov_b64 s[6:7], 0
	v_cmp_ne_u32_e64 s[2:3], 1, v1
	v_mov_b32_e32 v1, s37
	s_branch .LBB179_58
.LBB179_57:                             ;   in Loop: Header=BB179_58 Depth=1
	v_lshlrev_b64 v[4:5], 2, v[4:5]
	v_add_co_u32_e32 v6, vcc, s36, v4
	s_waitcnt lgkmcnt(0)
	v_add_u32_e32 v2, s30, v2
	v_addc_co_u32_e32 v7, vcc, v1, v5, vcc
	global_store_dword v[6:7], v2, off
	v_mov_b32_e32 v2, s39
	v_add_co_u32_e32 v4, vcc, s38, v4
	v_addc_co_u32_e32 v5, vcc, v2, v5, vcc
	v_add_u32_e32 v0, 0x80, v0
	v_cmp_le_i32_e32 vcc, s8, v0
	s_or_b64 s[6:7], vcc, s[6:7]
	global_store_dword v[4:5], v3, off
	s_andn2_b64 exec, exec, s[6:7]
	s_cbranch_execz .LBB179_65
.LBB179_58:                             ; =>This Loop Header: Depth=1
                                        ;     Child Loop BB179_60 Depth 2
                                        ;     Child Loop BB179_64 Depth 2
	v_lshl_add_u32 v2, v0, 2, 0
	ds_read2st64_b32 v[2:3], v2 offset1:4
	s_and_b64 vcc, exec, s[0:1]
	v_pk_mov_b32 v[4:5], s[4:5], s[4:5] op_sel:[0,1]
	s_mov_b32 s11, 0
	s_cbranch_vccnz .LBB179_62
; %bb.59:                               ;   in Loop: Header=BB179_58 Depth=1
	s_mov_b32 s12, 0
	v_pk_mov_b32 v[4:5], s[4:5], s[4:5] op_sel:[0,1]
.LBB179_60:                             ;   Parent Loop BB179_58 Depth=1
                                        ; =>  This Inner Loop Header: Depth=2
	v_mov_b32_e32 v12, s12
	ds_read2_b32 v[6:7], v12 offset1:1
	ds_read2_b32 v[8:9], v12 offset0:2 offset1:3
	ds_read2_b32 v[10:11], v12 offset0:4 offset1:5
	;; [unrolled: 1-line block ×3, first 2 shown]
	s_add_i32 s11, s11, 8
	s_waitcnt lgkmcnt(3)
	v_cmp_gt_i32_e32 vcc, v2, v6
	v_cndmask_b32_e64 v6, 0, 1, vcc
	v_cmp_gt_i32_e32 vcc, v2, v7
	v_cndmask_b32_e64 v7, 0, 1, vcc
	s_waitcnt lgkmcnt(2)
	v_cmp_gt_i32_e32 vcc, v2, v8
	v_cndmask_b32_e64 v8, 0, 1, vcc
	v_cmp_gt_i32_e32 vcc, v2, v9
	v_cndmask_b32_e64 v9, 0, 1, vcc
	s_waitcnt lgkmcnt(1)
	v_cmp_gt_i32_e32 vcc, v2, v10
	v_cndmask_b32_e64 v10, 0, 1, vcc
	v_cmp_gt_i32_e32 vcc, v2, v11
	v_cndmask_b32_e64 v11, 0, 1, vcc
	s_waitcnt lgkmcnt(0)
	v_cmp_gt_i32_e32 vcc, v2, v12
	v_cndmask_b32_e64 v12, 0, 1, vcc
	v_cmp_gt_i32_e32 vcc, v2, v13
	v_cndmask_b32_e64 v13, 0, 1, vcc
	v_add_co_u32_e32 v4, vcc, v4, v6
	v_addc_co_u32_e32 v5, vcc, 0, v5, vcc
	v_add_co_u32_e32 v4, vcc, v4, v7
	v_addc_co_u32_e32 v5, vcc, 0, v5, vcc
	;; [unrolled: 2-line block ×7, first 2 shown]
	s_add_i32 s12, s12, 32
	v_add_co_u32_e32 v4, vcc, v4, v13
	s_cmp_eq_u32 s10, s11
	v_addc_co_u32_e32 v5, vcc, 0, v5, vcc
	s_cbranch_scc0 .LBB179_60
; %bb.61:                               ;   in Loop: Header=BB179_58 Depth=1
	s_mov_b32 s11, s10
.LBB179_62:                             ;   in Loop: Header=BB179_58 Depth=1
	s_and_b64 vcc, exec, s[2:3]
	s_cbranch_vccnz .LBB179_57
; %bb.63:                               ;   in Loop: Header=BB179_58 Depth=1
	s_lshl_b32 s11, s11, 2
	s_add_i32 s11, s11, 0
	s_mov_b32 s12, s9
.LBB179_64:                             ;   Parent Loop BB179_58 Depth=1
                                        ; =>  This Inner Loop Header: Depth=2
	v_mov_b32_e32 v6, s11
	ds_read_b32 v6, v6
	s_add_i32 s11, s11, 4
	s_add_i32 s12, s12, -1
	s_cmp_lg_u32 s12, 0
	s_waitcnt lgkmcnt(0)
	v_cmp_gt_i32_e32 vcc, v2, v6
	v_cndmask_b32_e64 v6, 0, 1, vcc
	v_add_co_u32_e32 v4, vcc, v4, v6
	v_addc_co_u32_e32 v5, vcc, 0, v5, vcc
	s_cbranch_scc1 .LBB179_64
	s_branch .LBB179_57
.LBB179_65:
	s_endpgm
	.section	.rodata,"a",@progbits
	.p2align	6, 0x0
	.amdhsa_kernel _ZN9rocsparseL26csrgemm_fill_block_per_rowILj128ELj16ELj256ELj137ELj64ElifEEvT5_PKS1_S3_NS_24const_host_device_scalarIT6_EEPKT4_S3_PKS5_S9_S3_SB_S6_S9_S3_SB_S9_PS1_PS5_21rocsparse_index_base_SE_SE_SE_bbb
		.amdhsa_group_segment_fixed_size 0
		.amdhsa_private_segment_fixed_size 0
		.amdhsa_kernarg_size 156
		.amdhsa_user_sgpr_count 6
		.amdhsa_user_sgpr_private_segment_buffer 1
		.amdhsa_user_sgpr_dispatch_ptr 0
		.amdhsa_user_sgpr_queue_ptr 0
		.amdhsa_user_sgpr_kernarg_segment_ptr 1
		.amdhsa_user_sgpr_dispatch_id 0
		.amdhsa_user_sgpr_flat_scratch_init 0
		.amdhsa_user_sgpr_kernarg_preload_length 0
		.amdhsa_user_sgpr_kernarg_preload_offset 0
		.amdhsa_user_sgpr_private_segment_size 0
		.amdhsa_uses_dynamic_stack 0
		.amdhsa_system_sgpr_private_segment_wavefront_offset 0
		.amdhsa_system_sgpr_workgroup_id_x 1
		.amdhsa_system_sgpr_workgroup_id_y 0
		.amdhsa_system_sgpr_workgroup_id_z 0
		.amdhsa_system_sgpr_workgroup_info 0
		.amdhsa_system_vgpr_workitem_id 0
		.amdhsa_next_free_vgpr 22
		.amdhsa_next_free_sgpr 56
		.amdhsa_accum_offset 24
		.amdhsa_reserve_vcc 1
		.amdhsa_reserve_flat_scratch 0
		.amdhsa_float_round_mode_32 0
		.amdhsa_float_round_mode_16_64 0
		.amdhsa_float_denorm_mode_32 3
		.amdhsa_float_denorm_mode_16_64 3
		.amdhsa_dx10_clamp 1
		.amdhsa_ieee_mode 1
		.amdhsa_fp16_overflow 0
		.amdhsa_tg_split 0
		.amdhsa_exception_fp_ieee_invalid_op 0
		.amdhsa_exception_fp_denorm_src 0
		.amdhsa_exception_fp_ieee_div_zero 0
		.amdhsa_exception_fp_ieee_overflow 0
		.amdhsa_exception_fp_ieee_underflow 0
		.amdhsa_exception_fp_ieee_inexact 0
		.amdhsa_exception_int_div_zero 0
	.end_amdhsa_kernel
	.section	.text._ZN9rocsparseL26csrgemm_fill_block_per_rowILj128ELj16ELj256ELj137ELj64ElifEEvT5_PKS1_S3_NS_24const_host_device_scalarIT6_EEPKT4_S3_PKS5_S9_S3_SB_S6_S9_S3_SB_S9_PS1_PS5_21rocsparse_index_base_SE_SE_SE_bbb,"axG",@progbits,_ZN9rocsparseL26csrgemm_fill_block_per_rowILj128ELj16ELj256ELj137ELj64ElifEEvT5_PKS1_S3_NS_24const_host_device_scalarIT6_EEPKT4_S3_PKS5_S9_S3_SB_S6_S9_S3_SB_S9_PS1_PS5_21rocsparse_index_base_SE_SE_SE_bbb,comdat
.Lfunc_end179:
	.size	_ZN9rocsparseL26csrgemm_fill_block_per_rowILj128ELj16ELj256ELj137ELj64ElifEEvT5_PKS1_S3_NS_24const_host_device_scalarIT6_EEPKT4_S3_PKS5_S9_S3_SB_S6_S9_S3_SB_S9_PS1_PS5_21rocsparse_index_base_SE_SE_SE_bbb, .Lfunc_end179-_ZN9rocsparseL26csrgemm_fill_block_per_rowILj128ELj16ELj256ELj137ELj64ElifEEvT5_PKS1_S3_NS_24const_host_device_scalarIT6_EEPKT4_S3_PKS5_S9_S3_SB_S6_S9_S3_SB_S9_PS1_PS5_21rocsparse_index_base_SE_SE_SE_bbb
                                        ; -- End function
	.section	.AMDGPU.csdata,"",@progbits
; Kernel info:
; codeLenInByte = 2272
; NumSgprs: 60
; NumVgprs: 22
; NumAgprs: 0
; TotalNumVgprs: 22
; ScratchSize: 0
; MemoryBound: 0
; FloatMode: 240
; IeeeMode: 1
; LDSByteSize: 0 bytes/workgroup (compile time only)
; SGPRBlocks: 7
; VGPRBlocks: 2
; NumSGPRsForWavesPerEU: 60
; NumVGPRsForWavesPerEU: 22
; AccumOffset: 24
; Occupancy: 8
; WaveLimiterHint : 1
; COMPUTE_PGM_RSRC2:SCRATCH_EN: 0
; COMPUTE_PGM_RSRC2:USER_SGPR: 6
; COMPUTE_PGM_RSRC2:TRAP_HANDLER: 0
; COMPUTE_PGM_RSRC2:TGID_X_EN: 1
; COMPUTE_PGM_RSRC2:TGID_Y_EN: 0
; COMPUTE_PGM_RSRC2:TGID_Z_EN: 0
; COMPUTE_PGM_RSRC2:TIDIG_COMP_CNT: 0
; COMPUTE_PGM_RSRC3_GFX90A:ACCUM_OFFSET: 5
; COMPUTE_PGM_RSRC3_GFX90A:TG_SPLIT: 0
	.section	.text._ZN9rocsparseL26csrgemm_fill_block_per_rowILj256ELj32ELj512ELj137ELj32ElifEEvT5_PKS1_S3_NS_24const_host_device_scalarIT6_EEPKT4_S3_PKS5_S9_S3_SB_S6_S9_S3_SB_S9_PS1_PS5_21rocsparse_index_base_SE_SE_SE_bbb,"axG",@progbits,_ZN9rocsparseL26csrgemm_fill_block_per_rowILj256ELj32ELj512ELj137ELj32ElifEEvT5_PKS1_S3_NS_24const_host_device_scalarIT6_EEPKT4_S3_PKS5_S9_S3_SB_S6_S9_S3_SB_S9_PS1_PS5_21rocsparse_index_base_SE_SE_SE_bbb,comdat
	.globl	_ZN9rocsparseL26csrgemm_fill_block_per_rowILj256ELj32ELj512ELj137ELj32ElifEEvT5_PKS1_S3_NS_24const_host_device_scalarIT6_EEPKT4_S3_PKS5_S9_S3_SB_S6_S9_S3_SB_S9_PS1_PS5_21rocsparse_index_base_SE_SE_SE_bbb ; -- Begin function _ZN9rocsparseL26csrgemm_fill_block_per_rowILj256ELj32ELj512ELj137ELj32ElifEEvT5_PKS1_S3_NS_24const_host_device_scalarIT6_EEPKT4_S3_PKS5_S9_S3_SB_S6_S9_S3_SB_S9_PS1_PS5_21rocsparse_index_base_SE_SE_SE_bbb
	.p2align	8
	.type	_ZN9rocsparseL26csrgemm_fill_block_per_rowILj256ELj32ELj512ELj137ELj32ElifEEvT5_PKS1_S3_NS_24const_host_device_scalarIT6_EEPKT4_S3_PKS5_S9_S3_SB_S6_S9_S3_SB_S9_PS1_PS5_21rocsparse_index_base_SE_SE_SE_bbb,@function
_ZN9rocsparseL26csrgemm_fill_block_per_rowILj256ELj32ELj512ELj137ELj32ElifEEvT5_PKS1_S3_NS_24const_host_device_scalarIT6_EEPKT4_S3_PKS5_S9_S3_SB_S6_S9_S3_SB_S9_PS1_PS5_21rocsparse_index_base_SE_SE_SE_bbb: ; @_ZN9rocsparseL26csrgemm_fill_block_per_rowILj256ELj32ELj512ELj137ELj32ElifEEvT5_PKS1_S3_NS_24const_host_device_scalarIT6_EEPKT4_S3_PKS5_S9_S3_SB_S6_S9_S3_SB_S9_PS1_PS5_21rocsparse_index_base_SE_SE_SE_bbb
; %bb.0:
	s_load_dword s7, s[4:5], 0x98
	s_load_dwordx2 s[2:3], s[4:5], 0x18
	s_load_dwordx2 s[0:1], s[4:5], 0x50
	s_waitcnt lgkmcnt(0)
	s_bitcmp1_b32 s7, 0
	s_cselect_b64 s[8:9], -1, 0
	s_bitcmp1_b32 s7, 16
	s_cselect_b64 s[10:11], -1, 0
	s_xor_b64 s[12:13], s[8:9], -1
	s_or_b64 s[12:13], s[12:13], s[10:11]
	s_and_b64 vcc, exec, s[12:13]
	s_cbranch_vccnz .LBB180_2
; %bb.1:
	s_load_dword s2, s[2:3], 0x0
	s_waitcnt lgkmcnt(0)
	v_mov_b32_e32 v12, s2
	s_branch .LBB180_3
.LBB180_2:
	v_mov_b32_e32 v1, s2
	v_cndmask_b32_e64 v12, 0, v1, s[8:9]
.LBB180_3:
	s_load_dwordx4 s[28:31], s[4:5], 0x88
	s_bitcmp1_b32 s7, 8
	s_cselect_b64 s[2:3], -1, 0
	s_xor_b64 s[12:13], s[2:3], -1
	s_or_b64 s[10:11], s[12:13], s[10:11]
	s_and_b64 vcc, exec, s[10:11]
	s_cbranch_vccnz .LBB180_5
; %bb.4:
	s_load_dword s0, s[0:1], 0x0
	s_waitcnt lgkmcnt(0)
	v_mov_b32_e32 v10, s0
	s_branch .LBB180_6
.LBB180_5:
	v_mov_b32_e32 v1, s0
	v_cndmask_b32_e64 v10, 0, v1, s[2:3]
.LBB180_6:
	s_load_dwordx4 s[36:39], s[4:5], 0x78
	s_load_dwordx8 s[12:19], s[4:5], 0x58
	s_load_dwordx4 s[40:43], s[4:5], 0x40
	s_load_dwordx8 s[20:27], s[4:5], 0x20
	s_load_dwordx4 s[44:47], s[4:5], 0x8
	s_load_dword s33, s[4:5], 0x0
	s_movk_i32 s0, 0x200
	v_cmp_gt_u32_e64 s[0:1], s0, v0
	v_lshl_add_u32 v1, v0, 2, 0
	s_and_saveexec_b64 s[4:5], s[0:1]
	s_cbranch_execz .LBB180_9
; %bb.7:
	v_or_b32_e32 v2, 0xffffff00, v0
	v_lshl_add_u32 v3, v0, 2, 0
	s_mov_b64 s[10:11], 0
	s_waitcnt lgkmcnt(0)
	v_mov_b32_e32 v4, s33
	v_mov_b32_e32 v5, 0
.LBB180_8:                              ; =>This Inner Loop Header: Depth=1
	v_add_co_u32_e32 v2, vcc, 0x100, v2
	s_xor_b64 s[34:35], vcc, -1
	s_and_b64 s[34:35], exec, s[34:35]
	ds_write2st64_b32 v3, v4, v5 offset1:8
	s_or_b64 s[10:11], s[34:35], s[10:11]
	v_add_u32_e32 v3, 0x400, v3
	s_andn2_b64 exec, exec, s[10:11]
	s_cbranch_execnz .LBB180_8
.LBB180_9:
	s_or_b64 exec, exec, s[4:5]
	s_waitcnt lgkmcnt(0)
	s_barrier
	s_load_dword s4, s[44:45], 0x0
	s_mov_b32 s5, 0
	v_lshrrev_b32_e32 v11, 5, v0
	s_waitcnt lgkmcnt(0)
	s_add_i32 s4, s4, s6
	s_lshl_b64 s[4:5], s[4:5], 2
	s_add_u32 s4, s46, s4
	s_addc_u32 s5, s47, s5
	s_load_dword s34, s[4:5], 0x0
	s_and_b64 vcc, exec, s[8:9]
	s_cbranch_vccz .LBB180_29
; %bb.10:
	s_waitcnt lgkmcnt(0)
	s_ashr_i32 s35, s34, 31
	s_lshl_b64 s[4:5], s[34:35], 3
	s_add_u32 s4, s20, s4
	s_addc_u32 s5, s21, s5
	s_load_dwordx4 s[8:11], s[4:5], 0x0
	v_subrev_co_u32_e32 v2, vcc, s28, v11
	v_subb_co_u32_e64 v3, s[4:5], 0, 0, vcc
	s_waitcnt lgkmcnt(0)
	s_sub_u32 s4, s10, s28
	v_mov_b32_e32 v4, s9
	v_add_co_u32_e32 v2, vcc, s8, v2
	s_subb_u32 s5, s11, 0
	v_addc_co_u32_e32 v3, vcc, v4, v3, vcc
	v_cmp_gt_i64_e32 vcc, s[4:5], v[2:3]
	s_and_saveexec_b64 s[6:7], vcc
	s_cbranch_execz .LBB180_28
; %bb.11:
	v_and_b32_e32 v4, 31, v0
	v_subrev_co_u32_e32 v13, vcc, s29, v4
	s_mov_b32 s10, 0
	v_subb_co_u32_e64 v14, s[8:9], 0, 0, vcc
	s_mov_b32 s35, s29
	s_mov_b64 s[8:9], 0
	v_mov_b32_e32 v15, s23
	v_mov_b32_e32 v16, s27
	;; [unrolled: 1-line block ×3, first 2 shown]
	s_movk_i32 s23, 0x89
	s_branch .LBB180_13
.LBB180_12:                             ;   in Loop: Header=BB180_13 Depth=1
	s_or_b64 exec, exec, s[10:11]
	v_add_co_u32_e32 v2, vcc, 8, v2
	v_addc_co_u32_e32 v3, vcc, 0, v3, vcc
	v_cmp_le_i64_e32 vcc, s[4:5], v[2:3]
	s_or_b64 s[8:9], vcc, s[8:9]
	s_andn2_b64 exec, exec, s[8:9]
	s_cbranch_execz .LBB180_28
.LBB180_13:                             ; =>This Loop Header: Depth=1
                                        ;     Child Loop BB180_16 Depth 2
                                        ;       Child Loop BB180_18 Depth 3
	v_lshlrev_b64 v[8:9], 2, v[2:3]
	v_add_co_u32_e32 v4, vcc, s22, v8
	v_addc_co_u32_e32 v5, vcc, v15, v9, vcc
	global_load_dword v4, v[4:5], off
	s_waitcnt vmcnt(0)
	v_subrev_u32_e32 v4, s28, v4
	v_ashrrev_i32_e32 v5, 31, v4
	v_lshlrev_b64 v[4:5], 3, v[4:5]
	v_add_co_u32_e32 v4, vcc, s26, v4
	v_addc_co_u32_e32 v5, vcc, v16, v5, vcc
	global_load_dwordx4 v[18:21], v[4:5], off
	s_waitcnt vmcnt(0)
	v_subrev_co_u32_e32 v4, vcc, s35, v20
	v_subb_co_u32_e32 v5, vcc, v21, v17, vcc
	v_add_co_u32_e32 v6, vcc, v18, v13
	v_addc_co_u32_e32 v7, vcc, v19, v14, vcc
	v_cmp_lt_i64_e32 vcc, v[6:7], v[4:5]
	s_and_saveexec_b64 s[10:11], vcc
	s_cbranch_execz .LBB180_12
; %bb.14:                               ;   in Loop: Header=BB180_13 Depth=1
	v_mov_b32_e32 v18, s25
	v_add_co_u32_e32 v8, vcc, s24, v8
	v_addc_co_u32_e32 v9, vcc, v18, v9, vcc
	global_load_dword v8, v[8:9], off
	s_mov_b64 s[20:21], 0
	s_waitcnt vmcnt(0)
	v_mul_f32_e32 v8, v12, v8
	s_branch .LBB180_16
.LBB180_15:                             ;   in Loop: Header=BB180_16 Depth=2
	s_or_b64 exec, exec, s[44:45]
	v_add_co_u32_e32 v6, vcc, 32, v6
	v_addc_co_u32_e32 v7, vcc, 0, v7, vcc
	v_cmp_ge_i64_e32 vcc, v[6:7], v[4:5]
	s_or_b64 s[20:21], vcc, s[20:21]
	s_andn2_b64 exec, exec, s[20:21]
	s_cbranch_execz .LBB180_12
.LBB180_16:                             ;   Parent Loop BB180_13 Depth=1
                                        ; =>  This Loop Header: Depth=2
                                        ;       Child Loop BB180_18 Depth 3
	v_lshlrev_b64 v[18:19], 2, v[6:7]
	v_mov_b32_e32 v9, s41
	v_add_co_u32_e32 v20, vcc, s40, v18
	v_addc_co_u32_e32 v21, vcc, v9, v19, vcc
	global_load_dword v9, v[20:21], off
	v_mov_b32_e32 v20, s43
	v_add_co_u32_e32 v18, vcc, s42, v18
	v_addc_co_u32_e32 v19, vcc, v20, v19, vcc
	global_load_dword v18, v[18:19], off
	s_mov_b64 s[44:45], 0
	s_waitcnt vmcnt(1)
	v_subrev_u32_e32 v9, s29, v9
	v_mul_lo_u32 v19, v9, s23
	v_and_b32_e32 v19, 0x1ff, v19
	s_waitcnt vmcnt(0)
	v_mul_f32_e32 v18, v8, v18
	s_branch .LBB180_18
.LBB180_17:                             ;   in Loop: Header=BB180_18 Depth=3
	s_or_b64 exec, exec, s[46:47]
	s_xor_b64 s[46:47], s[48:49], -1
	s_and_b64 s[46:47], exec, s[46:47]
	s_or_b64 s[44:45], s[46:47], s[44:45]
	s_andn2_b64 exec, exec, s[44:45]
	s_cbranch_execz .LBB180_15
.LBB180_18:                             ;   Parent Loop BB180_13 Depth=1
                                        ;     Parent Loop BB180_16 Depth=2
                                        ; =>    This Inner Loop Header: Depth=3
	v_lshl_add_u32 v20, v19, 2, 0
	ds_read_b32 v21, v20
                                        ; implicit-def: $sgpr48_sgpr49
	s_waitcnt lgkmcnt(0)
	v_cmp_ne_u32_e32 vcc, v21, v9
	s_and_saveexec_b64 s[46:47], vcc
	s_xor_b64 s[46:47], exec, s[46:47]
	s_cbranch_execz .LBB180_26
; %bb.19:                               ;   in Loop: Header=BB180_18 Depth=3
	v_cmp_ne_u32_e32 vcc, s33, v21
                                        ; implicit-def: $sgpr48_sgpr49
	s_and_saveexec_b64 s[50:51], vcc
	s_xor_b64 s[50:51], exec, s[50:51]
; %bb.20:                               ;   in Loop: Header=BB180_18 Depth=3
	v_add_u32_e32 v19, 1, v19
	v_and_b32_e32 v19, 0x1ff, v19
	s_mov_b64 s[48:49], -1
                                        ; implicit-def: $vgpr20
; %bb.21:                               ;   in Loop: Header=BB180_18 Depth=3
	s_andn2_saveexec_b64 s[50:51], s[50:51]
	s_cbranch_execz .LBB180_25
; %bb.22:                               ;   in Loop: Header=BB180_18 Depth=3
	v_mov_b32_e32 v21, s33
	ds_cmpst_rtn_b32 v21, v20, v21, v9
	s_mov_b64 s[52:53], -1
	s_waitcnt lgkmcnt(0)
	v_cmp_eq_u32_e32 vcc, s33, v21
	s_and_saveexec_b64 s[54:55], vcc
	s_cbranch_execz .LBB180_24
; %bb.23:                               ;   in Loop: Header=BB180_18 Depth=3
	ds_add_f32 v20, v18 offset:2048
	s_xor_b64 s[52:53], exec, -1
.LBB180_24:                             ;   in Loop: Header=BB180_18 Depth=3
	s_or_b64 exec, exec, s[54:55]
	s_andn2_b64 s[48:49], s[48:49], exec
	s_and_b64 s[52:53], s[52:53], exec
	s_or_b64 s[48:49], s[48:49], s[52:53]
.LBB180_25:                             ;   in Loop: Header=BB180_18 Depth=3
	s_or_b64 exec, exec, s[50:51]
	s_and_b64 s[48:49], s[48:49], exec
                                        ; implicit-def: $vgpr20
.LBB180_26:                             ;   in Loop: Header=BB180_18 Depth=3
	s_andn2_saveexec_b64 s[46:47], s[46:47]
	s_cbranch_execz .LBB180_17
; %bb.27:                               ;   in Loop: Header=BB180_18 Depth=3
	ds_add_f32 v20, v18 offset:2048
	s_andn2_b64 s[48:49], s[48:49], exec
	s_branch .LBB180_17
.LBB180_28:
	s_or_b64 exec, exec, s[6:7]
.LBB180_29:
	s_andn2_b64 vcc, exec, s[2:3]
	s_cbranch_vccnz .LBB180_46
; %bb.30:
	s_waitcnt lgkmcnt(0)
	s_ashr_i32 s35, s34, 31
	s_lshl_b64 s[2:3], s[34:35], 3
	s_add_u32 s2, s12, s2
	s_addc_u32 s3, s13, s3
	s_load_dwordx4 s[4:7], s[2:3], 0x0
	v_subrev_co_u32_e32 v2, vcc, s31, v0
	v_subb_co_u32_e64 v3, s[2:3], 0, 0, vcc
	s_waitcnt lgkmcnt(0)
	s_sub_u32 s2, s6, s31
	v_mov_b32_e32 v4, s5
	v_add_co_u32_e32 v2, vcc, s4, v2
	s_subb_u32 s3, s7, 0
	v_addc_co_u32_e32 v3, vcc, v4, v3, vcc
	v_cmp_gt_i64_e32 vcc, s[2:3], v[2:3]
	s_and_saveexec_b64 s[4:5], vcc
	s_cbranch_execz .LBB180_45
; %bb.31:
	s_mov_b64 s[6:7], 0
	v_mov_b32_e32 v4, s15
	v_mov_b32_e32 v5, s17
	s_movk_i32 s15, 0x89
	s_branch .LBB180_33
.LBB180_32:                             ;   in Loop: Header=BB180_33 Depth=1
	s_or_b64 exec, exec, s[8:9]
	v_add_co_u32_e32 v2, vcc, 0x100, v2
	v_addc_co_u32_e32 v3, vcc, 0, v3, vcc
	v_cmp_le_i64_e32 vcc, s[2:3], v[2:3]
	s_or_b64 s[6:7], vcc, s[6:7]
	s_andn2_b64 exec, exec, s[6:7]
	s_cbranch_execz .LBB180_45
.LBB180_33:                             ; =>This Loop Header: Depth=1
                                        ;     Child Loop BB180_35 Depth 2
	v_lshlrev_b64 v[6:7], 2, v[2:3]
	v_add_co_u32_e32 v8, vcc, s14, v6
	v_addc_co_u32_e32 v9, vcc, v4, v7, vcc
	global_load_dword v8, v[8:9], off
	v_add_co_u32_e32 v6, vcc, s16, v6
	v_addc_co_u32_e32 v7, vcc, v5, v7, vcc
	global_load_dword v7, v[6:7], off
	s_mov_b64 s[8:9], 0
	s_waitcnt vmcnt(1)
	v_subrev_u32_e32 v6, s31, v8
	v_mul_lo_u32 v8, v6, s15
	v_and_b32_e32 v8, 0x1ff, v8
	s_waitcnt vmcnt(0)
	v_mul_f32_e32 v7, v10, v7
	s_branch .LBB180_35
.LBB180_34:                             ;   in Loop: Header=BB180_35 Depth=2
	s_or_b64 exec, exec, s[10:11]
	s_xor_b64 s[10:11], s[12:13], -1
	s_and_b64 s[10:11], exec, s[10:11]
	s_or_b64 s[8:9], s[10:11], s[8:9]
	s_andn2_b64 exec, exec, s[8:9]
	s_cbranch_execz .LBB180_32
.LBB180_35:                             ;   Parent Loop BB180_33 Depth=1
                                        ; =>  This Inner Loop Header: Depth=2
	v_lshl_add_u32 v9, v8, 2, 0
	ds_read_b32 v12, v9
                                        ; implicit-def: $sgpr12_sgpr13
	s_waitcnt lgkmcnt(0)
	v_cmp_ne_u32_e32 vcc, v12, v6
	s_and_saveexec_b64 s[10:11], vcc
	s_xor_b64 s[10:11], exec, s[10:11]
	s_cbranch_execz .LBB180_43
; %bb.36:                               ;   in Loop: Header=BB180_35 Depth=2
	v_cmp_ne_u32_e32 vcc, s33, v12
                                        ; implicit-def: $sgpr12_sgpr13
	s_and_saveexec_b64 s[20:21], vcc
	s_xor_b64 s[20:21], exec, s[20:21]
; %bb.37:                               ;   in Loop: Header=BB180_35 Depth=2
	v_add_u32_e32 v8, 1, v8
	v_and_b32_e32 v8, 0x1ff, v8
	s_mov_b64 s[12:13], -1
                                        ; implicit-def: $vgpr9
; %bb.38:                               ;   in Loop: Header=BB180_35 Depth=2
	s_andn2_saveexec_b64 s[20:21], s[20:21]
	s_cbranch_execz .LBB180_42
; %bb.39:                               ;   in Loop: Header=BB180_35 Depth=2
	v_mov_b32_e32 v12, s33
	ds_cmpst_rtn_b32 v12, v9, v12, v6
	s_mov_b64 s[22:23], -1
	s_waitcnt lgkmcnt(0)
	v_cmp_eq_u32_e32 vcc, s33, v12
	s_and_saveexec_b64 s[24:25], vcc
	s_cbranch_execz .LBB180_41
; %bb.40:                               ;   in Loop: Header=BB180_35 Depth=2
	ds_add_f32 v9, v7 offset:2048
	s_xor_b64 s[22:23], exec, -1
.LBB180_41:                             ;   in Loop: Header=BB180_35 Depth=2
	s_or_b64 exec, exec, s[24:25]
	s_andn2_b64 s[12:13], s[12:13], exec
	s_and_b64 s[22:23], s[22:23], exec
	s_or_b64 s[12:13], s[12:13], s[22:23]
.LBB180_42:                             ;   in Loop: Header=BB180_35 Depth=2
	s_or_b64 exec, exec, s[20:21]
	s_and_b64 s[12:13], s[12:13], exec
                                        ; implicit-def: $vgpr9
.LBB180_43:                             ;   in Loop: Header=BB180_35 Depth=2
	s_andn2_saveexec_b64 s[10:11], s[10:11]
	s_cbranch_execz .LBB180_34
; %bb.44:                               ;   in Loop: Header=BB180_35 Depth=2
	ds_add_f32 v9, v7 offset:2048
	s_andn2_b64 s[12:13], s[12:13], exec
	s_branch .LBB180_34
.LBB180_45:
	s_or_b64 exec, exec, s[4:5]
.LBB180_46:
	s_waitcnt lgkmcnt(0)
	s_barrier
	s_and_saveexec_b64 s[16:17], s[0:1]
	s_cbranch_execz .LBB180_67
; %bb.47:
	v_mbcnt_lo_u32_b32 v2, -1, 0
	v_mbcnt_hi_u32_b32 v2, -1, v2
	v_sub_u32_e32 v2, 63, v2
	s_movk_i32 s0, 0xff
	s_movk_i32 s6, 0x5f
	;; [unrolled: 1-line block ×6, first 2 shown]
	v_mov_b32_e32 v6, 0
	v_lshrrev_b64 v[2:3], v2, -1
	v_lshl_add_u32 v7, v11, 2, 0
	v_cmp_eq_u32_e64 s[0:1], s0, v0
	v_cmp_lt_u32_e64 s[2:3], 31, v0
	v_cmp_lt_u32_e64 s[4:5], 63, v0
	;; [unrolled: 1-line block ×7, first 2 shown]
	v_or_b32_e32 v8, 0xffffff00, v0
	s_mov_b64 s[20:21], 0
	v_mov_b32_e32 v9, 0
	s_branch .LBB180_49
.LBB180_48:                             ;   in Loop: Header=BB180_49 Depth=1
	s_or_b64 exec, exec, s[22:23]
	s_waitcnt lgkmcnt(0)
	s_barrier
	ds_read_b32 v4, v6 offset:4124
	v_add_co_u32_e32 v8, vcc, 0x100, v8
	s_xor_b64 s[22:23], vcc, -1
	s_and_b64 s[22:23], exec, s[22:23]
	s_waitcnt lgkmcnt(0)
	v_add_u32_e32 v9, v4, v9
	s_or_b64 s[20:21], s[22:23], s[20:21]
	v_add_u32_e32 v1, 0x400, v1
	s_andn2_b64 exec, exec, s[20:21]
	s_cbranch_execz .LBB180_67
.LBB180_49:                             ; =>This Inner Loop Header: Depth=1
	ds_read2st64_b32 v[4:5], v1 offset1:8
	s_waitcnt lgkmcnt(0)
	s_barrier
	v_cmp_gt_i32_e32 vcc, s33, v4
	v_and_b32_e32 v11, vcc_lo, v2
	s_bcnt1_i32_b64 s22, vcc
	v_and_b32_e32 v10, vcc_hi, v3
	v_bcnt_u32_b32 v11, v11, 0
	v_bcnt_u32_b32 v10, v10, v11
	v_mov_b32_e32 v11, s22
	ds_write_b32 v7, v11 offset:4096
	s_waitcnt lgkmcnt(0)
	s_barrier
	s_and_saveexec_b64 s[22:23], s[2:3]
	s_cbranch_execnz .LBB180_58
; %bb.50:                               ;   in Loop: Header=BB180_49 Depth=1
	s_or_b64 exec, exec, s[22:23]
	s_and_saveexec_b64 s[22:23], s[4:5]
	s_cbranch_execnz .LBB180_59
.LBB180_51:                             ;   in Loop: Header=BB180_49 Depth=1
	s_or_b64 exec, exec, s[22:23]
	s_and_saveexec_b64 s[22:23], s[6:7]
	s_cbranch_execnz .LBB180_60
.LBB180_52:                             ;   in Loop: Header=BB180_49 Depth=1
	s_or_b64 exec, exec, s[22:23]
	s_and_saveexec_b64 s[22:23], s[8:9]
	s_cbranch_execnz .LBB180_61
.LBB180_53:                             ;   in Loop: Header=BB180_49 Depth=1
	s_or_b64 exec, exec, s[22:23]
	s_and_saveexec_b64 s[22:23], s[10:11]
	s_cbranch_execnz .LBB180_62
.LBB180_54:                             ;   in Loop: Header=BB180_49 Depth=1
	s_or_b64 exec, exec, s[22:23]
	s_and_saveexec_b64 s[22:23], s[12:13]
	s_cbranch_execnz .LBB180_63
.LBB180_55:                             ;   in Loop: Header=BB180_49 Depth=1
	s_or_b64 exec, exec, s[22:23]
	s_and_saveexec_b64 s[22:23], s[14:15]
	s_cbranch_execnz .LBB180_64
.LBB180_56:                             ;   in Loop: Header=BB180_49 Depth=1
	s_or_b64 exec, exec, s[22:23]
	s_and_saveexec_b64 s[22:23], vcc
	s_cbranch_execnz .LBB180_65
.LBB180_57:                             ;   in Loop: Header=BB180_49 Depth=1
	s_or_b64 exec, exec, s[22:23]
	s_and_saveexec_b64 s[22:23], s[0:1]
	s_cbranch_execz .LBB180_48
	s_branch .LBB180_66
.LBB180_58:                             ;   in Loop: Header=BB180_49 Depth=1
	ds_read_b32 v11, v6 offset:4096
	s_waitcnt lgkmcnt(0)
	v_add_u32_e32 v10, v11, v10
	s_or_b64 exec, exec, s[22:23]
	s_and_saveexec_b64 s[22:23], s[4:5]
	s_cbranch_execz .LBB180_51
.LBB180_59:                             ;   in Loop: Header=BB180_49 Depth=1
	ds_read_b32 v11, v6 offset:4100
	s_waitcnt lgkmcnt(0)
	v_add_u32_e32 v10, v11, v10
	s_or_b64 exec, exec, s[22:23]
	s_and_saveexec_b64 s[22:23], s[6:7]
	s_cbranch_execz .LBB180_52
.LBB180_60:                             ;   in Loop: Header=BB180_49 Depth=1
	ds_read_b32 v11, v6 offset:4104
	s_waitcnt lgkmcnt(0)
	v_add_u32_e32 v10, v11, v10
	s_or_b64 exec, exec, s[22:23]
	s_and_saveexec_b64 s[22:23], s[8:9]
	s_cbranch_execz .LBB180_53
.LBB180_61:                             ;   in Loop: Header=BB180_49 Depth=1
	ds_read_b32 v11, v6 offset:4108
	s_waitcnt lgkmcnt(0)
	v_add_u32_e32 v10, v11, v10
	s_or_b64 exec, exec, s[22:23]
	s_and_saveexec_b64 s[22:23], s[10:11]
	s_cbranch_execz .LBB180_54
.LBB180_62:                             ;   in Loop: Header=BB180_49 Depth=1
	ds_read_b32 v11, v6 offset:4112
	s_waitcnt lgkmcnt(0)
	v_add_u32_e32 v10, v11, v10
	s_or_b64 exec, exec, s[22:23]
	s_and_saveexec_b64 s[22:23], s[12:13]
	s_cbranch_execz .LBB180_55
.LBB180_63:                             ;   in Loop: Header=BB180_49 Depth=1
	ds_read_b32 v11, v6 offset:4116
	s_waitcnt lgkmcnt(0)
	v_add_u32_e32 v10, v11, v10
	s_or_b64 exec, exec, s[22:23]
	s_and_saveexec_b64 s[22:23], s[14:15]
	s_cbranch_execz .LBB180_56
.LBB180_64:                             ;   in Loop: Header=BB180_49 Depth=1
	ds_read_b32 v11, v6 offset:4120
	s_waitcnt lgkmcnt(0)
	v_add_u32_e32 v10, v11, v10
	s_or_b64 exec, exec, s[22:23]
	s_and_saveexec_b64 s[22:23], vcc
	s_cbranch_execz .LBB180_57
.LBB180_65:                             ;   in Loop: Header=BB180_49 Depth=1
	v_add3_u32 v11, v9, -1, v10
	v_lshl_add_u32 v11, v11, 2, 0
	ds_write2st64_b32 v11, v4, v5 offset1:8
	s_or_b64 exec, exec, s[22:23]
	s_and_saveexec_b64 s[22:23], s[0:1]
	s_cbranch_execz .LBB180_48
.LBB180_66:                             ;   in Loop: Header=BB180_49 Depth=1
	ds_write_b32 v6, v10 offset:4124
	s_branch .LBB180_48
.LBB180_67:
	s_or_b64 exec, exec, s[16:17]
	s_ashr_i32 s35, s34, 31
	s_lshl_b64 s[0:1], s[34:35], 3
	s_add_u32 s0, s18, s0
	s_addc_u32 s1, s19, s1
	s_load_dwordx4 s[0:3], s[0:1], 0x0
	s_waitcnt lgkmcnt(0)
	s_sub_i32 s8, s2, s0
	v_cmp_gt_i32_e32 vcc, s8, v0
	s_and_saveexec_b64 s[4:5], vcc
	s_cbranch_execz .LBB180_77
; %bb.68:
	s_sub_u32 s4, s0, s30
	s_subb_u32 s5, s1, 0
	s_and_b32 s9, s8, 7
	s_sub_i32 s0, s0, s2
	s_cmp_lt_u32 s0, -7
	s_cselect_b64 s[0:1], -1, 0
	s_and_b32 s10, s8, -8
	s_cmp_lg_u32 s9, 0
	v_cndmask_b32_e64 v1, 0, 1, s[0:1]
	s_cselect_b64 s[2:3], -1, 0
	v_cmp_ne_u32_e64 s[0:1], 1, v1
	v_cndmask_b32_e64 v1, 0, 1, s[2:3]
	s_mov_b64 s[6:7], 0
	v_cmp_ne_u32_e64 s[2:3], 1, v1
	v_mov_b32_e32 v1, s37
	s_branch .LBB180_70
.LBB180_69:                             ;   in Loop: Header=BB180_70 Depth=1
	v_lshlrev_b64 v[4:5], 2, v[4:5]
	v_add_co_u32_e32 v6, vcc, s36, v4
	s_waitcnt lgkmcnt(0)
	v_add_u32_e32 v2, s30, v2
	v_addc_co_u32_e32 v7, vcc, v1, v5, vcc
	global_store_dword v[6:7], v2, off
	v_mov_b32_e32 v2, s39
	v_add_co_u32_e32 v4, vcc, s38, v4
	v_addc_co_u32_e32 v5, vcc, v2, v5, vcc
	v_add_u32_e32 v0, 0x100, v0
	v_cmp_le_i32_e32 vcc, s8, v0
	s_or_b64 s[6:7], vcc, s[6:7]
	global_store_dword v[4:5], v3, off
	s_andn2_b64 exec, exec, s[6:7]
	s_cbranch_execz .LBB180_77
.LBB180_70:                             ; =>This Loop Header: Depth=1
                                        ;     Child Loop BB180_72 Depth 2
                                        ;     Child Loop BB180_76 Depth 2
	v_lshl_add_u32 v2, v0, 2, 0
	ds_read2st64_b32 v[2:3], v2 offset1:8
	s_and_b64 vcc, exec, s[0:1]
	v_pk_mov_b32 v[4:5], s[4:5], s[4:5] op_sel:[0,1]
	s_mov_b32 s11, 0
	s_cbranch_vccnz .LBB180_74
; %bb.71:                               ;   in Loop: Header=BB180_70 Depth=1
	s_mov_b32 s12, 0
	v_pk_mov_b32 v[4:5], s[4:5], s[4:5] op_sel:[0,1]
.LBB180_72:                             ;   Parent Loop BB180_70 Depth=1
                                        ; =>  This Inner Loop Header: Depth=2
	v_mov_b32_e32 v12, s12
	ds_read2_b32 v[6:7], v12 offset1:1
	ds_read2_b32 v[8:9], v12 offset0:2 offset1:3
	ds_read2_b32 v[10:11], v12 offset0:4 offset1:5
	;; [unrolled: 1-line block ×3, first 2 shown]
	s_add_i32 s11, s11, 8
	s_waitcnt lgkmcnt(3)
	v_cmp_gt_i32_e32 vcc, v2, v6
	v_cndmask_b32_e64 v6, 0, 1, vcc
	v_cmp_gt_i32_e32 vcc, v2, v7
	v_cndmask_b32_e64 v7, 0, 1, vcc
	s_waitcnt lgkmcnt(2)
	v_cmp_gt_i32_e32 vcc, v2, v8
	v_cndmask_b32_e64 v8, 0, 1, vcc
	v_cmp_gt_i32_e32 vcc, v2, v9
	v_cndmask_b32_e64 v9, 0, 1, vcc
	;; [unrolled: 5-line block ×4, first 2 shown]
	v_add_co_u32_e32 v4, vcc, v4, v6
	v_addc_co_u32_e32 v5, vcc, 0, v5, vcc
	v_add_co_u32_e32 v4, vcc, v4, v7
	v_addc_co_u32_e32 v5, vcc, 0, v5, vcc
	;; [unrolled: 2-line block ×7, first 2 shown]
	s_add_i32 s12, s12, 32
	v_add_co_u32_e32 v4, vcc, v4, v13
	s_cmp_eq_u32 s10, s11
	v_addc_co_u32_e32 v5, vcc, 0, v5, vcc
	s_cbranch_scc0 .LBB180_72
; %bb.73:                               ;   in Loop: Header=BB180_70 Depth=1
	s_mov_b32 s11, s10
.LBB180_74:                             ;   in Loop: Header=BB180_70 Depth=1
	s_and_b64 vcc, exec, s[2:3]
	s_cbranch_vccnz .LBB180_69
; %bb.75:                               ;   in Loop: Header=BB180_70 Depth=1
	s_lshl_b32 s11, s11, 2
	s_add_i32 s11, s11, 0
	s_mov_b32 s12, s9
.LBB180_76:                             ;   Parent Loop BB180_70 Depth=1
                                        ; =>  This Inner Loop Header: Depth=2
	v_mov_b32_e32 v6, s11
	ds_read_b32 v6, v6
	s_add_i32 s11, s11, 4
	s_add_i32 s12, s12, -1
	s_cmp_lg_u32 s12, 0
	s_waitcnt lgkmcnt(0)
	v_cmp_gt_i32_e32 vcc, v2, v6
	v_cndmask_b32_e64 v6, 0, 1, vcc
	v_add_co_u32_e32 v4, vcc, v4, v6
	v_addc_co_u32_e32 v5, vcc, 0, v5, vcc
	s_cbranch_scc1 .LBB180_76
	s_branch .LBB180_69
.LBB180_77:
	s_endpgm
	.section	.rodata,"a",@progbits
	.p2align	6, 0x0
	.amdhsa_kernel _ZN9rocsparseL26csrgemm_fill_block_per_rowILj256ELj32ELj512ELj137ELj32ElifEEvT5_PKS1_S3_NS_24const_host_device_scalarIT6_EEPKT4_S3_PKS5_S9_S3_SB_S6_S9_S3_SB_S9_PS1_PS5_21rocsparse_index_base_SE_SE_SE_bbb
		.amdhsa_group_segment_fixed_size 0
		.amdhsa_private_segment_fixed_size 0
		.amdhsa_kernarg_size 156
		.amdhsa_user_sgpr_count 6
		.amdhsa_user_sgpr_private_segment_buffer 1
		.amdhsa_user_sgpr_dispatch_ptr 0
		.amdhsa_user_sgpr_queue_ptr 0
		.amdhsa_user_sgpr_kernarg_segment_ptr 1
		.amdhsa_user_sgpr_dispatch_id 0
		.amdhsa_user_sgpr_flat_scratch_init 0
		.amdhsa_user_sgpr_kernarg_preload_length 0
		.amdhsa_user_sgpr_kernarg_preload_offset 0
		.amdhsa_user_sgpr_private_segment_size 0
		.amdhsa_uses_dynamic_stack 0
		.amdhsa_system_sgpr_private_segment_wavefront_offset 0
		.amdhsa_system_sgpr_workgroup_id_x 1
		.amdhsa_system_sgpr_workgroup_id_y 0
		.amdhsa_system_sgpr_workgroup_id_z 0
		.amdhsa_system_sgpr_workgroup_info 0
		.amdhsa_system_vgpr_workitem_id 0
		.amdhsa_next_free_vgpr 22
		.amdhsa_next_free_sgpr 56
		.amdhsa_accum_offset 24
		.amdhsa_reserve_vcc 1
		.amdhsa_reserve_flat_scratch 0
		.amdhsa_float_round_mode_32 0
		.amdhsa_float_round_mode_16_64 0
		.amdhsa_float_denorm_mode_32 3
		.amdhsa_float_denorm_mode_16_64 3
		.amdhsa_dx10_clamp 1
		.amdhsa_ieee_mode 1
		.amdhsa_fp16_overflow 0
		.amdhsa_tg_split 0
		.amdhsa_exception_fp_ieee_invalid_op 0
		.amdhsa_exception_fp_denorm_src 0
		.amdhsa_exception_fp_ieee_div_zero 0
		.amdhsa_exception_fp_ieee_overflow 0
		.amdhsa_exception_fp_ieee_underflow 0
		.amdhsa_exception_fp_ieee_inexact 0
		.amdhsa_exception_int_div_zero 0
	.end_amdhsa_kernel
	.section	.text._ZN9rocsparseL26csrgemm_fill_block_per_rowILj256ELj32ELj512ELj137ELj32ElifEEvT5_PKS1_S3_NS_24const_host_device_scalarIT6_EEPKT4_S3_PKS5_S9_S3_SB_S6_S9_S3_SB_S9_PS1_PS5_21rocsparse_index_base_SE_SE_SE_bbb,"axG",@progbits,_ZN9rocsparseL26csrgemm_fill_block_per_rowILj256ELj32ELj512ELj137ELj32ElifEEvT5_PKS1_S3_NS_24const_host_device_scalarIT6_EEPKT4_S3_PKS5_S9_S3_SB_S6_S9_S3_SB_S9_PS1_PS5_21rocsparse_index_base_SE_SE_SE_bbb,comdat
.Lfunc_end180:
	.size	_ZN9rocsparseL26csrgemm_fill_block_per_rowILj256ELj32ELj512ELj137ELj32ElifEEvT5_PKS1_S3_NS_24const_host_device_scalarIT6_EEPKT4_S3_PKS5_S9_S3_SB_S6_S9_S3_SB_S9_PS1_PS5_21rocsparse_index_base_SE_SE_SE_bbb, .Lfunc_end180-_ZN9rocsparseL26csrgemm_fill_block_per_rowILj256ELj32ELj512ELj137ELj32ElifEEvT5_PKS1_S3_NS_24const_host_device_scalarIT6_EEPKT4_S3_PKS5_S9_S3_SB_S6_S9_S3_SB_S9_PS1_PS5_21rocsparse_index_base_SE_SE_SE_bbb
                                        ; -- End function
	.section	.AMDGPU.csdata,"",@progbits
; Kernel info:
; codeLenInByte = 2580
; NumSgprs: 60
; NumVgprs: 22
; NumAgprs: 0
; TotalNumVgprs: 22
; ScratchSize: 0
; MemoryBound: 0
; FloatMode: 240
; IeeeMode: 1
; LDSByteSize: 0 bytes/workgroup (compile time only)
; SGPRBlocks: 7
; VGPRBlocks: 2
; NumSGPRsForWavesPerEU: 60
; NumVGPRsForWavesPerEU: 22
; AccumOffset: 24
; Occupancy: 8
; WaveLimiterHint : 1
; COMPUTE_PGM_RSRC2:SCRATCH_EN: 0
; COMPUTE_PGM_RSRC2:USER_SGPR: 6
; COMPUTE_PGM_RSRC2:TRAP_HANDLER: 0
; COMPUTE_PGM_RSRC2:TGID_X_EN: 1
; COMPUTE_PGM_RSRC2:TGID_Y_EN: 0
; COMPUTE_PGM_RSRC2:TGID_Z_EN: 0
; COMPUTE_PGM_RSRC2:TIDIG_COMP_CNT: 0
; COMPUTE_PGM_RSRC3_GFX90A:ACCUM_OFFSET: 5
; COMPUTE_PGM_RSRC3_GFX90A:TG_SPLIT: 0
	.section	.text._ZN9rocsparseL26csrgemm_fill_block_per_rowILj256ELj32ELj512ELj137ELj64ElifEEvT5_PKS1_S3_NS_24const_host_device_scalarIT6_EEPKT4_S3_PKS5_S9_S3_SB_S6_S9_S3_SB_S9_PS1_PS5_21rocsparse_index_base_SE_SE_SE_bbb,"axG",@progbits,_ZN9rocsparseL26csrgemm_fill_block_per_rowILj256ELj32ELj512ELj137ELj64ElifEEvT5_PKS1_S3_NS_24const_host_device_scalarIT6_EEPKT4_S3_PKS5_S9_S3_SB_S6_S9_S3_SB_S9_PS1_PS5_21rocsparse_index_base_SE_SE_SE_bbb,comdat
	.globl	_ZN9rocsparseL26csrgemm_fill_block_per_rowILj256ELj32ELj512ELj137ELj64ElifEEvT5_PKS1_S3_NS_24const_host_device_scalarIT6_EEPKT4_S3_PKS5_S9_S3_SB_S6_S9_S3_SB_S9_PS1_PS5_21rocsparse_index_base_SE_SE_SE_bbb ; -- Begin function _ZN9rocsparseL26csrgemm_fill_block_per_rowILj256ELj32ELj512ELj137ELj64ElifEEvT5_PKS1_S3_NS_24const_host_device_scalarIT6_EEPKT4_S3_PKS5_S9_S3_SB_S6_S9_S3_SB_S9_PS1_PS5_21rocsparse_index_base_SE_SE_SE_bbb
	.p2align	8
	.type	_ZN9rocsparseL26csrgemm_fill_block_per_rowILj256ELj32ELj512ELj137ELj64ElifEEvT5_PKS1_S3_NS_24const_host_device_scalarIT6_EEPKT4_S3_PKS5_S9_S3_SB_S6_S9_S3_SB_S9_PS1_PS5_21rocsparse_index_base_SE_SE_SE_bbb,@function
_ZN9rocsparseL26csrgemm_fill_block_per_rowILj256ELj32ELj512ELj137ELj64ElifEEvT5_PKS1_S3_NS_24const_host_device_scalarIT6_EEPKT4_S3_PKS5_S9_S3_SB_S6_S9_S3_SB_S9_PS1_PS5_21rocsparse_index_base_SE_SE_SE_bbb: ; @_ZN9rocsparseL26csrgemm_fill_block_per_rowILj256ELj32ELj512ELj137ELj64ElifEEvT5_PKS1_S3_NS_24const_host_device_scalarIT6_EEPKT4_S3_PKS5_S9_S3_SB_S6_S9_S3_SB_S9_PS1_PS5_21rocsparse_index_base_SE_SE_SE_bbb
; %bb.0:
	s_load_dword s7, s[4:5], 0x98
	s_load_dwordx2 s[2:3], s[4:5], 0x18
	s_load_dwordx2 s[0:1], s[4:5], 0x50
	s_waitcnt lgkmcnt(0)
	s_bitcmp1_b32 s7, 0
	s_cselect_b64 s[8:9], -1, 0
	s_bitcmp1_b32 s7, 16
	s_cselect_b64 s[10:11], -1, 0
	s_xor_b64 s[12:13], s[8:9], -1
	s_or_b64 s[12:13], s[12:13], s[10:11]
	s_and_b64 vcc, exec, s[12:13]
	s_cbranch_vccnz .LBB181_2
; %bb.1:
	s_load_dword s2, s[2:3], 0x0
	s_waitcnt lgkmcnt(0)
	v_mov_b32_e32 v11, s2
	s_branch .LBB181_3
.LBB181_2:
	v_mov_b32_e32 v1, s2
	v_cndmask_b32_e64 v11, 0, v1, s[8:9]
.LBB181_3:
	s_load_dwordx4 s[28:31], s[4:5], 0x88
	s_bitcmp1_b32 s7, 8
	s_cselect_b64 s[2:3], -1, 0
	s_xor_b64 s[12:13], s[2:3], -1
	s_or_b64 s[10:11], s[12:13], s[10:11]
	s_and_b64 vcc, exec, s[10:11]
	s_cbranch_vccnz .LBB181_5
; %bb.4:
	s_load_dword s0, s[0:1], 0x0
	s_waitcnt lgkmcnt(0)
	v_mov_b32_e32 v10, s0
	s_branch .LBB181_6
.LBB181_5:
	v_mov_b32_e32 v1, s0
	v_cndmask_b32_e64 v10, 0, v1, s[2:3]
.LBB181_6:
	s_load_dwordx4 s[36:39], s[4:5], 0x78
	s_load_dwordx8 s[12:19], s[4:5], 0x58
	s_load_dwordx4 s[40:43], s[4:5], 0x40
	s_load_dwordx8 s[20:27], s[4:5], 0x20
	s_load_dwordx4 s[44:47], s[4:5], 0x8
	s_load_dword s33, s[4:5], 0x0
	s_movk_i32 s0, 0x200
	v_cmp_gt_u32_e64 s[0:1], s0, v0
	v_lshl_add_u32 v1, v0, 2, 0
	s_and_saveexec_b64 s[4:5], s[0:1]
	s_cbranch_execz .LBB181_9
; %bb.7:
	v_or_b32_e32 v2, 0xffffff00, v0
	v_lshl_add_u32 v3, v0, 2, 0
	s_mov_b64 s[10:11], 0
	s_waitcnt lgkmcnt(0)
	v_mov_b32_e32 v4, s33
	v_mov_b32_e32 v5, 0
.LBB181_8:                              ; =>This Inner Loop Header: Depth=1
	v_add_co_u32_e32 v2, vcc, 0x100, v2
	s_xor_b64 s[34:35], vcc, -1
	s_and_b64 s[34:35], exec, s[34:35]
	ds_write2st64_b32 v3, v4, v5 offset1:8
	s_or_b64 s[10:11], s[34:35], s[10:11]
	v_add_u32_e32 v3, 0x400, v3
	s_andn2_b64 exec, exec, s[10:11]
	s_cbranch_execnz .LBB181_8
.LBB181_9:
	s_or_b64 exec, exec, s[4:5]
	s_waitcnt lgkmcnt(0)
	s_barrier
	s_load_dword s4, s[44:45], 0x0
	s_mov_b32 s5, 0
	s_waitcnt lgkmcnt(0)
	s_add_i32 s4, s4, s6
	s_lshl_b64 s[4:5], s[4:5], 2
	s_add_u32 s4, s46, s4
	s_addc_u32 s5, s47, s5
	s_load_dword s10, s[4:5], 0x0
	s_and_b64 vcc, exec, s[8:9]
	s_cbranch_vccz .LBB181_29
; %bb.10:
	s_waitcnt lgkmcnt(0)
	s_ashr_i32 s11, s10, 31
	s_lshl_b64 s[4:5], s[10:11], 3
	s_add_u32 s4, s20, s4
	s_addc_u32 s5, s21, s5
	s_load_dwordx4 s[44:47], s[4:5], 0x0
	v_lshrrev_b32_e32 v2, 5, v0
	v_subrev_co_u32_e32 v2, vcc, s28, v2
	v_subb_co_u32_e64 v3, s[6:7], 0, 0, vcc
	s_waitcnt lgkmcnt(0)
	s_sub_u32 s4, s46, s28
	v_mov_b32_e32 v4, s45
	v_add_co_u32_e32 v2, vcc, s44, v2
	s_subb_u32 s5, s47, 0
	v_addc_co_u32_e32 v3, vcc, v4, v3, vcc
	v_cmp_gt_i64_e32 vcc, s[4:5], v[2:3]
	s_and_saveexec_b64 s[6:7], vcc
	s_cbranch_execz .LBB181_28
; %bb.11:
	v_and_b32_e32 v4, 31, v0
	v_subrev_co_u32_e32 v12, vcc, s29, v4
	s_mov_b32 s20, 0
	v_subb_co_u32_e64 v13, s[8:9], 0, 0, vcc
	s_mov_b32 s11, s29
	s_mov_b64 s[8:9], 0
	v_mov_b32_e32 v14, s23
	v_mov_b32_e32 v15, s27
	;; [unrolled: 1-line block ×3, first 2 shown]
	s_movk_i32 s23, 0x89
	s_branch .LBB181_13
.LBB181_12:                             ;   in Loop: Header=BB181_13 Depth=1
	s_or_b64 exec, exec, s[20:21]
	v_add_co_u32_e32 v2, vcc, 8, v2
	v_addc_co_u32_e32 v3, vcc, 0, v3, vcc
	v_cmp_le_i64_e32 vcc, s[4:5], v[2:3]
	s_or_b64 s[8:9], vcc, s[8:9]
	s_andn2_b64 exec, exec, s[8:9]
	s_cbranch_execz .LBB181_28
.LBB181_13:                             ; =>This Loop Header: Depth=1
                                        ;     Child Loop BB181_16 Depth 2
                                        ;       Child Loop BB181_18 Depth 3
	v_lshlrev_b64 v[8:9], 2, v[2:3]
	v_add_co_u32_e32 v4, vcc, s22, v8
	v_addc_co_u32_e32 v5, vcc, v14, v9, vcc
	global_load_dword v4, v[4:5], off
	s_waitcnt vmcnt(0)
	v_subrev_u32_e32 v4, s28, v4
	v_ashrrev_i32_e32 v5, 31, v4
	v_lshlrev_b64 v[4:5], 3, v[4:5]
	v_add_co_u32_e32 v4, vcc, s26, v4
	v_addc_co_u32_e32 v5, vcc, v15, v5, vcc
	global_load_dwordx4 v[18:21], v[4:5], off
	s_waitcnt vmcnt(0)
	v_subrev_co_u32_e32 v4, vcc, s11, v20
	v_subb_co_u32_e32 v5, vcc, v21, v16, vcc
	v_add_co_u32_e32 v6, vcc, v18, v12
	v_addc_co_u32_e32 v7, vcc, v19, v13, vcc
	v_cmp_lt_i64_e32 vcc, v[6:7], v[4:5]
	s_and_saveexec_b64 s[20:21], vcc
	s_cbranch_execz .LBB181_12
; %bb.14:                               ;   in Loop: Header=BB181_13 Depth=1
	v_mov_b32_e32 v17, s25
	v_add_co_u32_e32 v8, vcc, s24, v8
	v_addc_co_u32_e32 v9, vcc, v17, v9, vcc
	global_load_dword v8, v[8:9], off
	s_mov_b64 s[34:35], 0
	s_waitcnt vmcnt(0)
	v_mul_f32_e32 v8, v11, v8
	s_branch .LBB181_16
.LBB181_15:                             ;   in Loop: Header=BB181_16 Depth=2
	s_or_b64 exec, exec, s[44:45]
	v_add_co_u32_e32 v6, vcc, 32, v6
	v_addc_co_u32_e32 v7, vcc, 0, v7, vcc
	v_cmp_ge_i64_e32 vcc, v[6:7], v[4:5]
	s_or_b64 s[34:35], vcc, s[34:35]
	s_andn2_b64 exec, exec, s[34:35]
	s_cbranch_execz .LBB181_12
.LBB181_16:                             ;   Parent Loop BB181_13 Depth=1
                                        ; =>  This Loop Header: Depth=2
                                        ;       Child Loop BB181_18 Depth 3
	v_lshlrev_b64 v[18:19], 2, v[6:7]
	v_mov_b32_e32 v9, s41
	v_add_co_u32_e32 v20, vcc, s40, v18
	v_addc_co_u32_e32 v21, vcc, v9, v19, vcc
	global_load_dword v9, v[20:21], off
	v_mov_b32_e32 v17, s43
	v_add_co_u32_e32 v18, vcc, s42, v18
	v_addc_co_u32_e32 v19, vcc, v17, v19, vcc
	global_load_dword v17, v[18:19], off
	s_mov_b64 s[44:45], 0
	s_waitcnt vmcnt(1)
	v_subrev_u32_e32 v9, s29, v9
	v_mul_lo_u32 v18, v9, s23
	v_and_b32_e32 v18, 0x1ff, v18
	s_waitcnt vmcnt(0)
	v_mul_f32_e32 v17, v8, v17
	s_branch .LBB181_18
.LBB181_17:                             ;   in Loop: Header=BB181_18 Depth=3
	s_or_b64 exec, exec, s[46:47]
	s_xor_b64 s[46:47], s[48:49], -1
	s_and_b64 s[46:47], exec, s[46:47]
	s_or_b64 s[44:45], s[46:47], s[44:45]
	s_andn2_b64 exec, exec, s[44:45]
	s_cbranch_execz .LBB181_15
.LBB181_18:                             ;   Parent Loop BB181_13 Depth=1
                                        ;     Parent Loop BB181_16 Depth=2
                                        ; =>    This Inner Loop Header: Depth=3
	v_lshl_add_u32 v19, v18, 2, 0
	ds_read_b32 v20, v19
                                        ; implicit-def: $sgpr48_sgpr49
	s_waitcnt lgkmcnt(0)
	v_cmp_ne_u32_e32 vcc, v20, v9
	s_and_saveexec_b64 s[46:47], vcc
	s_xor_b64 s[46:47], exec, s[46:47]
	s_cbranch_execz .LBB181_26
; %bb.19:                               ;   in Loop: Header=BB181_18 Depth=3
	v_cmp_ne_u32_e32 vcc, s33, v20
                                        ; implicit-def: $sgpr48_sgpr49
	s_and_saveexec_b64 s[50:51], vcc
	s_xor_b64 s[50:51], exec, s[50:51]
; %bb.20:                               ;   in Loop: Header=BB181_18 Depth=3
	v_add_u32_e32 v18, 1, v18
	v_and_b32_e32 v18, 0x1ff, v18
	s_mov_b64 s[48:49], -1
                                        ; implicit-def: $vgpr19
; %bb.21:                               ;   in Loop: Header=BB181_18 Depth=3
	s_andn2_saveexec_b64 s[50:51], s[50:51]
	s_cbranch_execz .LBB181_25
; %bb.22:                               ;   in Loop: Header=BB181_18 Depth=3
	v_mov_b32_e32 v20, s33
	ds_cmpst_rtn_b32 v20, v19, v20, v9
	s_mov_b64 s[52:53], -1
	s_waitcnt lgkmcnt(0)
	v_cmp_eq_u32_e32 vcc, s33, v20
	s_and_saveexec_b64 s[54:55], vcc
	s_cbranch_execz .LBB181_24
; %bb.23:                               ;   in Loop: Header=BB181_18 Depth=3
	ds_add_f32 v19, v17 offset:2048
	s_xor_b64 s[52:53], exec, -1
.LBB181_24:                             ;   in Loop: Header=BB181_18 Depth=3
	s_or_b64 exec, exec, s[54:55]
	s_andn2_b64 s[48:49], s[48:49], exec
	s_and_b64 s[52:53], s[52:53], exec
	s_or_b64 s[48:49], s[48:49], s[52:53]
.LBB181_25:                             ;   in Loop: Header=BB181_18 Depth=3
	s_or_b64 exec, exec, s[50:51]
	s_and_b64 s[48:49], s[48:49], exec
                                        ; implicit-def: $vgpr19
.LBB181_26:                             ;   in Loop: Header=BB181_18 Depth=3
	s_andn2_saveexec_b64 s[46:47], s[46:47]
	s_cbranch_execz .LBB181_17
; %bb.27:                               ;   in Loop: Header=BB181_18 Depth=3
	ds_add_f32 v19, v17 offset:2048
	s_andn2_b64 s[48:49], s[48:49], exec
	s_branch .LBB181_17
.LBB181_28:
	s_or_b64 exec, exec, s[6:7]
.LBB181_29:
	s_andn2_b64 vcc, exec, s[2:3]
	s_cbranch_vccnz .LBB181_46
; %bb.30:
	s_waitcnt lgkmcnt(0)
	s_ashr_i32 s11, s10, 31
	s_lshl_b64 s[2:3], s[10:11], 3
	s_add_u32 s2, s12, s2
	s_addc_u32 s3, s13, s3
	s_load_dwordx4 s[4:7], s[2:3], 0x0
	v_subrev_co_u32_e32 v2, vcc, s31, v0
	v_subb_co_u32_e64 v3, s[2:3], 0, 0, vcc
	s_waitcnt lgkmcnt(0)
	s_sub_u32 s2, s6, s31
	v_mov_b32_e32 v4, s5
	v_add_co_u32_e32 v2, vcc, s4, v2
	s_subb_u32 s3, s7, 0
	v_addc_co_u32_e32 v3, vcc, v4, v3, vcc
	v_cmp_gt_i64_e32 vcc, s[2:3], v[2:3]
	s_and_saveexec_b64 s[4:5], vcc
	s_cbranch_execz .LBB181_45
; %bb.31:
	s_mov_b64 s[6:7], 0
	v_mov_b32_e32 v4, s15
	v_mov_b32_e32 v5, s17
	s_movk_i32 s11, 0x89
	s_branch .LBB181_33
.LBB181_32:                             ;   in Loop: Header=BB181_33 Depth=1
	s_or_b64 exec, exec, s[8:9]
	v_add_co_u32_e32 v2, vcc, 0x100, v2
	v_addc_co_u32_e32 v3, vcc, 0, v3, vcc
	v_cmp_le_i64_e32 vcc, s[2:3], v[2:3]
	s_or_b64 s[6:7], vcc, s[6:7]
	s_andn2_b64 exec, exec, s[6:7]
	s_cbranch_execz .LBB181_45
.LBB181_33:                             ; =>This Loop Header: Depth=1
                                        ;     Child Loop BB181_35 Depth 2
	v_lshlrev_b64 v[6:7], 2, v[2:3]
	v_add_co_u32_e32 v8, vcc, s14, v6
	v_addc_co_u32_e32 v9, vcc, v4, v7, vcc
	global_load_dword v8, v[8:9], off
	v_add_co_u32_e32 v6, vcc, s16, v6
	v_addc_co_u32_e32 v7, vcc, v5, v7, vcc
	global_load_dword v7, v[6:7], off
	s_mov_b64 s[8:9], 0
	s_waitcnt vmcnt(1)
	v_subrev_u32_e32 v6, s31, v8
	v_mul_lo_u32 v8, v6, s11
	v_and_b32_e32 v8, 0x1ff, v8
	s_waitcnt vmcnt(0)
	v_mul_f32_e32 v7, v10, v7
	s_branch .LBB181_35
.LBB181_34:                             ;   in Loop: Header=BB181_35 Depth=2
	s_or_b64 exec, exec, s[12:13]
	s_xor_b64 s[12:13], s[20:21], -1
	s_and_b64 s[12:13], exec, s[12:13]
	s_or_b64 s[8:9], s[12:13], s[8:9]
	s_andn2_b64 exec, exec, s[8:9]
	s_cbranch_execz .LBB181_32
.LBB181_35:                             ;   Parent Loop BB181_33 Depth=1
                                        ; =>  This Inner Loop Header: Depth=2
	v_lshl_add_u32 v9, v8, 2, 0
	ds_read_b32 v11, v9
                                        ; implicit-def: $sgpr20_sgpr21
	s_waitcnt lgkmcnt(0)
	v_cmp_ne_u32_e32 vcc, v11, v6
	s_and_saveexec_b64 s[12:13], vcc
	s_xor_b64 s[12:13], exec, s[12:13]
	s_cbranch_execz .LBB181_43
; %bb.36:                               ;   in Loop: Header=BB181_35 Depth=2
	v_cmp_ne_u32_e32 vcc, s33, v11
                                        ; implicit-def: $sgpr20_sgpr21
	s_and_saveexec_b64 s[22:23], vcc
	s_xor_b64 s[22:23], exec, s[22:23]
; %bb.37:                               ;   in Loop: Header=BB181_35 Depth=2
	v_add_u32_e32 v8, 1, v8
	v_and_b32_e32 v8, 0x1ff, v8
	s_mov_b64 s[20:21], -1
                                        ; implicit-def: $vgpr9
; %bb.38:                               ;   in Loop: Header=BB181_35 Depth=2
	s_andn2_saveexec_b64 s[22:23], s[22:23]
	s_cbranch_execz .LBB181_42
; %bb.39:                               ;   in Loop: Header=BB181_35 Depth=2
	v_mov_b32_e32 v11, s33
	ds_cmpst_rtn_b32 v11, v9, v11, v6
	s_mov_b64 s[24:25], -1
	s_waitcnt lgkmcnt(0)
	v_cmp_eq_u32_e32 vcc, s33, v11
	s_and_saveexec_b64 s[26:27], vcc
	s_cbranch_execz .LBB181_41
; %bb.40:                               ;   in Loop: Header=BB181_35 Depth=2
	ds_add_f32 v9, v7 offset:2048
	s_xor_b64 s[24:25], exec, -1
.LBB181_41:                             ;   in Loop: Header=BB181_35 Depth=2
	s_or_b64 exec, exec, s[26:27]
	s_andn2_b64 s[20:21], s[20:21], exec
	s_and_b64 s[24:25], s[24:25], exec
	s_or_b64 s[20:21], s[20:21], s[24:25]
.LBB181_42:                             ;   in Loop: Header=BB181_35 Depth=2
	s_or_b64 exec, exec, s[22:23]
	s_and_b64 s[20:21], s[20:21], exec
                                        ; implicit-def: $vgpr9
.LBB181_43:                             ;   in Loop: Header=BB181_35 Depth=2
	s_andn2_saveexec_b64 s[12:13], s[12:13]
	s_cbranch_execz .LBB181_34
; %bb.44:                               ;   in Loop: Header=BB181_35 Depth=2
	ds_add_f32 v9, v7 offset:2048
	s_andn2_b64 s[20:21], s[20:21], exec
	s_branch .LBB181_34
.LBB181_45:
	s_or_b64 exec, exec, s[4:5]
.LBB181_46:
	s_waitcnt lgkmcnt(0)
	s_barrier
	s_and_saveexec_b64 s[8:9], s[0:1]
	s_cbranch_execz .LBB181_59
; %bb.47:
	v_mbcnt_lo_u32_b32 v2, -1, 0
	v_mbcnt_hi_u32_b32 v2, -1, v2
	v_lshrrev_b32_e32 v4, 4, v0
	v_sub_u32_e32 v2, 63, v2
	v_and_b32_e32 v4, 12, v4
	s_movk_i32 s0, 0xff
	s_movk_i32 s4, 0x7f
	;; [unrolled: 1-line block ×3, first 2 shown]
	v_mov_b32_e32 v6, 0
	v_lshrrev_b64 v[2:3], v2, -1
	v_add_u32_e32 v7, 0, v4
	v_cmp_eq_u32_e64 s[0:1], s0, v0
	v_cmp_lt_u32_e64 s[2:3], 63, v0
	v_cmp_lt_u32_e64 s[4:5], s4, v0
	;; [unrolled: 1-line block ×3, first 2 shown]
	v_or_b32_e32 v8, 0xffffff00, v0
	s_mov_b64 s[12:13], 0
	v_mov_b32_e32 v9, 0
	s_branch .LBB181_49
.LBB181_48:                             ;   in Loop: Header=BB181_49 Depth=1
	s_or_b64 exec, exec, s[14:15]
	s_waitcnt lgkmcnt(0)
	s_barrier
	ds_read_b32 v4, v6 offset:4108
	v_add_co_u32_e32 v8, vcc, 0x100, v8
	s_xor_b64 s[14:15], vcc, -1
	s_and_b64 s[14:15], exec, s[14:15]
	s_waitcnt lgkmcnt(0)
	v_add_u32_e32 v9, v4, v9
	s_or_b64 s[12:13], s[14:15], s[12:13]
	v_add_u32_e32 v1, 0x400, v1
	s_andn2_b64 exec, exec, s[12:13]
	s_cbranch_execz .LBB181_59
.LBB181_49:                             ; =>This Inner Loop Header: Depth=1
	ds_read2st64_b32 v[4:5], v1 offset1:8
	s_waitcnt lgkmcnt(0)
	s_barrier
	v_cmp_gt_i32_e32 vcc, s33, v4
	v_and_b32_e32 v11, vcc_lo, v2
	s_bcnt1_i32_b64 s11, vcc
	v_and_b32_e32 v10, vcc_hi, v3
	v_bcnt_u32_b32 v11, v11, 0
	v_bcnt_u32_b32 v10, v10, v11
	v_mov_b32_e32 v11, s11
	ds_write_b32 v7, v11 offset:4096
	s_waitcnt lgkmcnt(0)
	s_barrier
	s_and_saveexec_b64 s[14:15], s[2:3]
	s_cbranch_execnz .LBB181_54
; %bb.50:                               ;   in Loop: Header=BB181_49 Depth=1
	s_or_b64 exec, exec, s[14:15]
	s_and_saveexec_b64 s[14:15], s[4:5]
	s_cbranch_execnz .LBB181_55
.LBB181_51:                             ;   in Loop: Header=BB181_49 Depth=1
	s_or_b64 exec, exec, s[14:15]
	s_and_saveexec_b64 s[14:15], s[6:7]
	s_cbranch_execnz .LBB181_56
.LBB181_52:                             ;   in Loop: Header=BB181_49 Depth=1
	s_or_b64 exec, exec, s[14:15]
	s_and_saveexec_b64 s[14:15], vcc
	s_cbranch_execnz .LBB181_57
.LBB181_53:                             ;   in Loop: Header=BB181_49 Depth=1
	s_or_b64 exec, exec, s[14:15]
	s_and_saveexec_b64 s[14:15], s[0:1]
	s_cbranch_execz .LBB181_48
	s_branch .LBB181_58
.LBB181_54:                             ;   in Loop: Header=BB181_49 Depth=1
	ds_read_b32 v11, v6 offset:4096
	s_waitcnt lgkmcnt(0)
	v_add_u32_e32 v10, v11, v10
	s_or_b64 exec, exec, s[14:15]
	s_and_saveexec_b64 s[14:15], s[4:5]
	s_cbranch_execz .LBB181_51
.LBB181_55:                             ;   in Loop: Header=BB181_49 Depth=1
	ds_read_b32 v11, v6 offset:4100
	s_waitcnt lgkmcnt(0)
	v_add_u32_e32 v10, v11, v10
	s_or_b64 exec, exec, s[14:15]
	s_and_saveexec_b64 s[14:15], s[6:7]
	s_cbranch_execz .LBB181_52
.LBB181_56:                             ;   in Loop: Header=BB181_49 Depth=1
	ds_read_b32 v11, v6 offset:4104
	s_waitcnt lgkmcnt(0)
	v_add_u32_e32 v10, v11, v10
	s_or_b64 exec, exec, s[14:15]
	s_and_saveexec_b64 s[14:15], vcc
	s_cbranch_execz .LBB181_53
.LBB181_57:                             ;   in Loop: Header=BB181_49 Depth=1
	v_add3_u32 v11, v9, -1, v10
	v_lshl_add_u32 v11, v11, 2, 0
	ds_write2st64_b32 v11, v4, v5 offset1:8
	s_or_b64 exec, exec, s[14:15]
	s_and_saveexec_b64 s[14:15], s[0:1]
	s_cbranch_execz .LBB181_48
.LBB181_58:                             ;   in Loop: Header=BB181_49 Depth=1
	ds_write_b32 v6, v10 offset:4108
	s_branch .LBB181_48
.LBB181_59:
	s_or_b64 exec, exec, s[8:9]
	s_ashr_i32 s11, s10, 31
	s_lshl_b64 s[0:1], s[10:11], 3
	s_add_u32 s0, s18, s0
	s_addc_u32 s1, s19, s1
	s_load_dwordx4 s[0:3], s[0:1], 0x0
	s_waitcnt lgkmcnt(0)
	s_sub_i32 s8, s2, s0
	v_cmp_gt_i32_e32 vcc, s8, v0
	s_and_saveexec_b64 s[4:5], vcc
	s_cbranch_execz .LBB181_69
; %bb.60:
	s_sub_u32 s4, s0, s30
	s_subb_u32 s5, s1, 0
	s_and_b32 s9, s8, 7
	s_sub_i32 s0, s0, s2
	s_cmp_lt_u32 s0, -7
	s_cselect_b64 s[0:1], -1, 0
	s_and_b32 s10, s8, -8
	s_cmp_lg_u32 s9, 0
	v_cndmask_b32_e64 v1, 0, 1, s[0:1]
	s_cselect_b64 s[2:3], -1, 0
	v_cmp_ne_u32_e64 s[0:1], 1, v1
	v_cndmask_b32_e64 v1, 0, 1, s[2:3]
	s_mov_b64 s[6:7], 0
	v_cmp_ne_u32_e64 s[2:3], 1, v1
	v_mov_b32_e32 v1, s37
	s_branch .LBB181_62
.LBB181_61:                             ;   in Loop: Header=BB181_62 Depth=1
	v_lshlrev_b64 v[4:5], 2, v[4:5]
	v_add_co_u32_e32 v6, vcc, s36, v4
	s_waitcnt lgkmcnt(0)
	v_add_u32_e32 v2, s30, v2
	v_addc_co_u32_e32 v7, vcc, v1, v5, vcc
	global_store_dword v[6:7], v2, off
	v_mov_b32_e32 v2, s39
	v_add_co_u32_e32 v4, vcc, s38, v4
	v_addc_co_u32_e32 v5, vcc, v2, v5, vcc
	v_add_u32_e32 v0, 0x100, v0
	v_cmp_le_i32_e32 vcc, s8, v0
	s_or_b64 s[6:7], vcc, s[6:7]
	global_store_dword v[4:5], v3, off
	s_andn2_b64 exec, exec, s[6:7]
	s_cbranch_execz .LBB181_69
.LBB181_62:                             ; =>This Loop Header: Depth=1
                                        ;     Child Loop BB181_64 Depth 2
                                        ;     Child Loop BB181_68 Depth 2
	v_lshl_add_u32 v2, v0, 2, 0
	ds_read2st64_b32 v[2:3], v2 offset1:8
	s_and_b64 vcc, exec, s[0:1]
	v_pk_mov_b32 v[4:5], s[4:5], s[4:5] op_sel:[0,1]
	s_mov_b32 s11, 0
	s_cbranch_vccnz .LBB181_66
; %bb.63:                               ;   in Loop: Header=BB181_62 Depth=1
	s_mov_b32 s12, 0
	v_pk_mov_b32 v[4:5], s[4:5], s[4:5] op_sel:[0,1]
.LBB181_64:                             ;   Parent Loop BB181_62 Depth=1
                                        ; =>  This Inner Loop Header: Depth=2
	v_mov_b32_e32 v12, s12
	ds_read2_b32 v[6:7], v12 offset1:1
	ds_read2_b32 v[8:9], v12 offset0:2 offset1:3
	ds_read2_b32 v[10:11], v12 offset0:4 offset1:5
	;; [unrolled: 1-line block ×3, first 2 shown]
	s_add_i32 s11, s11, 8
	s_waitcnt lgkmcnt(3)
	v_cmp_gt_i32_e32 vcc, v2, v6
	v_cndmask_b32_e64 v6, 0, 1, vcc
	v_cmp_gt_i32_e32 vcc, v2, v7
	v_cndmask_b32_e64 v7, 0, 1, vcc
	s_waitcnt lgkmcnt(2)
	v_cmp_gt_i32_e32 vcc, v2, v8
	v_cndmask_b32_e64 v8, 0, 1, vcc
	v_cmp_gt_i32_e32 vcc, v2, v9
	v_cndmask_b32_e64 v9, 0, 1, vcc
	;; [unrolled: 5-line block ×4, first 2 shown]
	v_add_co_u32_e32 v4, vcc, v4, v6
	v_addc_co_u32_e32 v5, vcc, 0, v5, vcc
	v_add_co_u32_e32 v4, vcc, v4, v7
	v_addc_co_u32_e32 v5, vcc, 0, v5, vcc
	;; [unrolled: 2-line block ×7, first 2 shown]
	s_add_i32 s12, s12, 32
	v_add_co_u32_e32 v4, vcc, v4, v13
	s_cmp_eq_u32 s10, s11
	v_addc_co_u32_e32 v5, vcc, 0, v5, vcc
	s_cbranch_scc0 .LBB181_64
; %bb.65:                               ;   in Loop: Header=BB181_62 Depth=1
	s_mov_b32 s11, s10
.LBB181_66:                             ;   in Loop: Header=BB181_62 Depth=1
	s_and_b64 vcc, exec, s[2:3]
	s_cbranch_vccnz .LBB181_61
; %bb.67:                               ;   in Loop: Header=BB181_62 Depth=1
	s_lshl_b32 s11, s11, 2
	s_add_i32 s11, s11, 0
	s_mov_b32 s12, s9
.LBB181_68:                             ;   Parent Loop BB181_62 Depth=1
                                        ; =>  This Inner Loop Header: Depth=2
	v_mov_b32_e32 v6, s11
	ds_read_b32 v6, v6
	s_add_i32 s11, s11, 4
	s_add_i32 s12, s12, -1
	s_cmp_lg_u32 s12, 0
	s_waitcnt lgkmcnt(0)
	v_cmp_gt_i32_e32 vcc, v2, v6
	v_cndmask_b32_e64 v6, 0, 1, vcc
	v_add_co_u32_e32 v4, vcc, v4, v6
	v_addc_co_u32_e32 v5, vcc, 0, v5, vcc
	s_cbranch_scc1 .LBB181_68
	s_branch .LBB181_61
.LBB181_69:
	s_endpgm
	.section	.rodata,"a",@progbits
	.p2align	6, 0x0
	.amdhsa_kernel _ZN9rocsparseL26csrgemm_fill_block_per_rowILj256ELj32ELj512ELj137ELj64ElifEEvT5_PKS1_S3_NS_24const_host_device_scalarIT6_EEPKT4_S3_PKS5_S9_S3_SB_S6_S9_S3_SB_S9_PS1_PS5_21rocsparse_index_base_SE_SE_SE_bbb
		.amdhsa_group_segment_fixed_size 0
		.amdhsa_private_segment_fixed_size 0
		.amdhsa_kernarg_size 156
		.amdhsa_user_sgpr_count 6
		.amdhsa_user_sgpr_private_segment_buffer 1
		.amdhsa_user_sgpr_dispatch_ptr 0
		.amdhsa_user_sgpr_queue_ptr 0
		.amdhsa_user_sgpr_kernarg_segment_ptr 1
		.amdhsa_user_sgpr_dispatch_id 0
		.amdhsa_user_sgpr_flat_scratch_init 0
		.amdhsa_user_sgpr_kernarg_preload_length 0
		.amdhsa_user_sgpr_kernarg_preload_offset 0
		.amdhsa_user_sgpr_private_segment_size 0
		.amdhsa_uses_dynamic_stack 0
		.amdhsa_system_sgpr_private_segment_wavefront_offset 0
		.amdhsa_system_sgpr_workgroup_id_x 1
		.amdhsa_system_sgpr_workgroup_id_y 0
		.amdhsa_system_sgpr_workgroup_id_z 0
		.amdhsa_system_sgpr_workgroup_info 0
		.amdhsa_system_vgpr_workitem_id 0
		.amdhsa_next_free_vgpr 22
		.amdhsa_next_free_sgpr 56
		.amdhsa_accum_offset 24
		.amdhsa_reserve_vcc 1
		.amdhsa_reserve_flat_scratch 0
		.amdhsa_float_round_mode_32 0
		.amdhsa_float_round_mode_16_64 0
		.amdhsa_float_denorm_mode_32 3
		.amdhsa_float_denorm_mode_16_64 3
		.amdhsa_dx10_clamp 1
		.amdhsa_ieee_mode 1
		.amdhsa_fp16_overflow 0
		.amdhsa_tg_split 0
		.amdhsa_exception_fp_ieee_invalid_op 0
		.amdhsa_exception_fp_denorm_src 0
		.amdhsa_exception_fp_ieee_div_zero 0
		.amdhsa_exception_fp_ieee_overflow 0
		.amdhsa_exception_fp_ieee_underflow 0
		.amdhsa_exception_fp_ieee_inexact 0
		.amdhsa_exception_int_div_zero 0
	.end_amdhsa_kernel
	.section	.text._ZN9rocsparseL26csrgemm_fill_block_per_rowILj256ELj32ELj512ELj137ELj64ElifEEvT5_PKS1_S3_NS_24const_host_device_scalarIT6_EEPKT4_S3_PKS5_S9_S3_SB_S6_S9_S3_SB_S9_PS1_PS5_21rocsparse_index_base_SE_SE_SE_bbb,"axG",@progbits,_ZN9rocsparseL26csrgemm_fill_block_per_rowILj256ELj32ELj512ELj137ELj64ElifEEvT5_PKS1_S3_NS_24const_host_device_scalarIT6_EEPKT4_S3_PKS5_S9_S3_SB_S6_S9_S3_SB_S9_PS1_PS5_21rocsparse_index_base_SE_SE_SE_bbb,comdat
.Lfunc_end181:
	.size	_ZN9rocsparseL26csrgemm_fill_block_per_rowILj256ELj32ELj512ELj137ELj64ElifEEvT5_PKS1_S3_NS_24const_host_device_scalarIT6_EEPKT4_S3_PKS5_S9_S3_SB_S6_S9_S3_SB_S9_PS1_PS5_21rocsparse_index_base_SE_SE_SE_bbb, .Lfunc_end181-_ZN9rocsparseL26csrgemm_fill_block_per_rowILj256ELj32ELj512ELj137ELj64ElifEEvT5_PKS1_S3_NS_24const_host_device_scalarIT6_EEPKT4_S3_PKS5_S9_S3_SB_S6_S9_S3_SB_S9_PS1_PS5_21rocsparse_index_base_SE_SE_SE_bbb
                                        ; -- End function
	.section	.AMDGPU.csdata,"",@progbits
; Kernel info:
; codeLenInByte = 2380
; NumSgprs: 60
; NumVgprs: 22
; NumAgprs: 0
; TotalNumVgprs: 22
; ScratchSize: 0
; MemoryBound: 0
; FloatMode: 240
; IeeeMode: 1
; LDSByteSize: 0 bytes/workgroup (compile time only)
; SGPRBlocks: 7
; VGPRBlocks: 2
; NumSGPRsForWavesPerEU: 60
; NumVGPRsForWavesPerEU: 22
; AccumOffset: 24
; Occupancy: 8
; WaveLimiterHint : 1
; COMPUTE_PGM_RSRC2:SCRATCH_EN: 0
; COMPUTE_PGM_RSRC2:USER_SGPR: 6
; COMPUTE_PGM_RSRC2:TRAP_HANDLER: 0
; COMPUTE_PGM_RSRC2:TGID_X_EN: 1
; COMPUTE_PGM_RSRC2:TGID_Y_EN: 0
; COMPUTE_PGM_RSRC2:TGID_Z_EN: 0
; COMPUTE_PGM_RSRC2:TIDIG_COMP_CNT: 0
; COMPUTE_PGM_RSRC3_GFX90A:ACCUM_OFFSET: 5
; COMPUTE_PGM_RSRC3_GFX90A:TG_SPLIT: 0
	.section	.text._ZN9rocsparseL26csrgemm_fill_block_per_rowILj512ELj32ELj1024ELj137ELj32ElifEEvT5_PKS1_S3_NS_24const_host_device_scalarIT6_EEPKT4_S3_PKS5_S9_S3_SB_S6_S9_S3_SB_S9_PS1_PS5_21rocsparse_index_base_SE_SE_SE_bbb,"axG",@progbits,_ZN9rocsparseL26csrgemm_fill_block_per_rowILj512ELj32ELj1024ELj137ELj32ElifEEvT5_PKS1_S3_NS_24const_host_device_scalarIT6_EEPKT4_S3_PKS5_S9_S3_SB_S6_S9_S3_SB_S9_PS1_PS5_21rocsparse_index_base_SE_SE_SE_bbb,comdat
	.globl	_ZN9rocsparseL26csrgemm_fill_block_per_rowILj512ELj32ELj1024ELj137ELj32ElifEEvT5_PKS1_S3_NS_24const_host_device_scalarIT6_EEPKT4_S3_PKS5_S9_S3_SB_S6_S9_S3_SB_S9_PS1_PS5_21rocsparse_index_base_SE_SE_SE_bbb ; -- Begin function _ZN9rocsparseL26csrgemm_fill_block_per_rowILj512ELj32ELj1024ELj137ELj32ElifEEvT5_PKS1_S3_NS_24const_host_device_scalarIT6_EEPKT4_S3_PKS5_S9_S3_SB_S6_S9_S3_SB_S9_PS1_PS5_21rocsparse_index_base_SE_SE_SE_bbb
	.p2align	8
	.type	_ZN9rocsparseL26csrgemm_fill_block_per_rowILj512ELj32ELj1024ELj137ELj32ElifEEvT5_PKS1_S3_NS_24const_host_device_scalarIT6_EEPKT4_S3_PKS5_S9_S3_SB_S6_S9_S3_SB_S9_PS1_PS5_21rocsparse_index_base_SE_SE_SE_bbb,@function
_ZN9rocsparseL26csrgemm_fill_block_per_rowILj512ELj32ELj1024ELj137ELj32ElifEEvT5_PKS1_S3_NS_24const_host_device_scalarIT6_EEPKT4_S3_PKS5_S9_S3_SB_S6_S9_S3_SB_S9_PS1_PS5_21rocsparse_index_base_SE_SE_SE_bbb: ; @_ZN9rocsparseL26csrgemm_fill_block_per_rowILj512ELj32ELj1024ELj137ELj32ElifEEvT5_PKS1_S3_NS_24const_host_device_scalarIT6_EEPKT4_S3_PKS5_S9_S3_SB_S6_S9_S3_SB_S9_PS1_PS5_21rocsparse_index_base_SE_SE_SE_bbb
; %bb.0:
	s_load_dword s7, s[4:5], 0x98
	s_load_dwordx4 s[44:47], s[4:5], 0x88
	s_load_dwordx2 s[0:1], s[4:5], 0x18
	s_load_dwordx2 s[24:25], s[4:5], 0x50
	s_waitcnt lgkmcnt(0)
	s_bitcmp1_b32 s7, 0
	s_cselect_b64 s[2:3], -1, 0
	s_bitcmp1_b32 s7, 16
	s_cselect_b64 s[26:27], -1, 0
	s_xor_b64 s[8:9], s[2:3], -1
	s_or_b64 s[8:9], s[8:9], s[26:27]
	s_and_b64 vcc, exec, s[8:9]
	s_cbranch_vccnz .LBB182_2
; %bb.1:
	s_load_dword s0, s[0:1], 0x0
	s_waitcnt lgkmcnt(0)
	v_mov_b32_e32 v13, s0
	s_branch .LBB182_3
.LBB182_2:
	v_mov_b32_e32 v1, s0
	v_cndmask_b32_e64 v13, 0, v1, s[2:3]
.LBB182_3:
	s_load_dwordx4 s[48:51], s[4:5], 0x78
	s_load_dwordx8 s[36:43], s[4:5], 0x58
	s_load_dwordx4 s[16:19], s[4:5], 0x40
	s_load_dwordx4 s[20:23], s[4:5], 0x8
	s_load_dwordx8 s[8:15], s[4:5], 0x20
	s_bitcmp1_b32 s7, 8
	s_cselect_b64 s[0:1], -1, 0
	s_xor_b64 s[28:29], s[0:1], -1
	s_or_b64 s[26:27], s[28:29], s[26:27]
	s_and_b64 vcc, exec, s[26:27]
	s_cbranch_vccnz .LBB182_5
; %bb.4:
	s_load_dword s7, s[24:25], 0x0
	s_waitcnt lgkmcnt(0)
	v_mov_b32_e32 v11, s7
	s_branch .LBB182_6
.LBB182_5:
	v_mov_b32_e32 v1, s24
	v_cndmask_b32_e64 v11, 0, v1, s[0:1]
.LBB182_6:
	s_load_dword s33, s[4:5], 0x0
	v_or_b32_e32 v1, 0xfffffe00, v0
	v_lshl_add_u32 v10, v0, 2, 0
	s_mov_b64 s[4:5], 0
	v_mov_b32_e32 v2, 0
	s_waitcnt lgkmcnt(0)
	v_mov_b32_e32 v3, s33
	v_mov_b32_e32 v4, v10
	;; [unrolled: 1-line block ×3, first 2 shown]
.LBB182_7:                              ; =>This Inner Loop Header: Depth=1
	v_add_co_u32_e32 v5, vcc, 0x200, v5
	s_xor_b64 s[24:25], vcc, -1
	s_and_b64 s[24:25], exec, s[24:25]
	ds_write2st64_b32 v4, v3, v2 offset1:16
	s_or_b64 s[4:5], s[24:25], s[4:5]
	v_add_u32_e32 v4, 0x800, v4
	s_andn2_b64 exec, exec, s[4:5]
	s_cbranch_execnz .LBB182_7
; %bb.8:
	s_or_b64 exec, exec, s[4:5]
	s_waitcnt lgkmcnt(0)
	s_barrier
	s_load_dword s4, s[20:21], 0x0
	s_mov_b32 s5, 0
	v_lshrrev_b32_e32 v12, 5, v0
	s_waitcnt lgkmcnt(0)
	s_add_i32 s4, s4, s6
	s_lshl_b64 s[4:5], s[4:5], 2
	s_add_u32 s4, s22, s4
	s_addc_u32 s5, s23, s5
	s_load_dword s34, s[4:5], 0x0
	s_and_b64 vcc, exec, s[2:3]
	s_cbranch_vccz .LBB182_28
; %bb.9:
	s_waitcnt lgkmcnt(0)
	s_ashr_i32 s35, s34, 31
	s_lshl_b64 s[2:3], s[34:35], 3
	s_add_u32 s2, s8, s2
	s_addc_u32 s3, s9, s3
	s_load_dwordx4 s[4:7], s[2:3], 0x0
	v_subrev_co_u32_e32 v2, vcc, s44, v12
	v_subb_co_u32_e64 v3, s[2:3], 0, 0, vcc
	s_waitcnt lgkmcnt(0)
	s_sub_u32 s2, s6, s44
	v_mov_b32_e32 v4, s5
	v_add_co_u32_e32 v2, vcc, s4, v2
	s_subb_u32 s3, s7, 0
	v_addc_co_u32_e32 v3, vcc, v4, v3, vcc
	v_cmp_gt_i64_e32 vcc, s[2:3], v[2:3]
	s_and_saveexec_b64 s[4:5], vcc
	s_cbranch_execz .LBB182_27
; %bb.10:
	v_and_b32_e32 v4, 31, v0
	v_subrev_co_u32_e32 v14, vcc, s45, v4
	s_mov_b32 s8, 0
	v_subb_co_u32_e64 v15, s[6:7], 0, 0, vcc
	s_mov_b32 s35, s45
	s_mov_b64 s[6:7], 0
	v_mov_b32_e32 v16, s11
	v_mov_b32_e32 v17, s15
	;; [unrolled: 1-line block ×3, first 2 shown]
	s_movk_i32 s11, 0x89
	s_branch .LBB182_12
.LBB182_11:                             ;   in Loop: Header=BB182_12 Depth=1
	s_or_b64 exec, exec, s[8:9]
	v_add_co_u32_e32 v2, vcc, 16, v2
	v_addc_co_u32_e32 v3, vcc, 0, v3, vcc
	v_cmp_le_i64_e32 vcc, s[2:3], v[2:3]
	s_or_b64 s[6:7], vcc, s[6:7]
	s_andn2_b64 exec, exec, s[6:7]
	s_cbranch_execz .LBB182_27
.LBB182_12:                             ; =>This Loop Header: Depth=1
                                        ;     Child Loop BB182_15 Depth 2
                                        ;       Child Loop BB182_17 Depth 3
	v_lshlrev_b64 v[8:9], 2, v[2:3]
	v_add_co_u32_e32 v4, vcc, s10, v8
	v_addc_co_u32_e32 v5, vcc, v16, v9, vcc
	global_load_dword v4, v[4:5], off
	s_waitcnt vmcnt(0)
	v_subrev_u32_e32 v4, s44, v4
	v_ashrrev_i32_e32 v5, 31, v4
	v_lshlrev_b64 v[4:5], 3, v[4:5]
	v_add_co_u32_e32 v4, vcc, s14, v4
	v_addc_co_u32_e32 v5, vcc, v17, v5, vcc
	global_load_dwordx4 v[20:23], v[4:5], off
	s_waitcnt vmcnt(0)
	v_subrev_co_u32_e32 v4, vcc, s35, v22
	v_subb_co_u32_e32 v5, vcc, v23, v18, vcc
	v_add_co_u32_e32 v6, vcc, v20, v14
	v_addc_co_u32_e32 v7, vcc, v21, v15, vcc
	v_cmp_lt_i64_e32 vcc, v[6:7], v[4:5]
	s_and_saveexec_b64 s[8:9], vcc
	s_cbranch_execz .LBB182_11
; %bb.13:                               ;   in Loop: Header=BB182_12 Depth=1
	v_mov_b32_e32 v19, s13
	v_add_co_u32_e32 v8, vcc, s12, v8
	v_addc_co_u32_e32 v9, vcc, v19, v9, vcc
	global_load_dword v8, v[8:9], off
	s_mov_b64 s[20:21], 0
	s_waitcnt vmcnt(0)
	v_mul_f32_e32 v8, v13, v8
	s_branch .LBB182_15
.LBB182_14:                             ;   in Loop: Header=BB182_15 Depth=2
	s_or_b64 exec, exec, s[22:23]
	v_add_co_u32_e32 v6, vcc, 32, v6
	v_addc_co_u32_e32 v7, vcc, 0, v7, vcc
	v_cmp_ge_i64_e32 vcc, v[6:7], v[4:5]
	s_or_b64 s[20:21], vcc, s[20:21]
	s_andn2_b64 exec, exec, s[20:21]
	s_cbranch_execz .LBB182_11
.LBB182_15:                             ;   Parent Loop BB182_12 Depth=1
                                        ; =>  This Loop Header: Depth=2
                                        ;       Child Loop BB182_17 Depth 3
	v_lshlrev_b64 v[20:21], 2, v[6:7]
	v_mov_b32_e32 v9, s17
	v_add_co_u32_e32 v22, vcc, s16, v20
	v_addc_co_u32_e32 v23, vcc, v9, v21, vcc
	global_load_dword v9, v[22:23], off
	v_mov_b32_e32 v19, s19
	v_add_co_u32_e32 v20, vcc, s18, v20
	v_addc_co_u32_e32 v21, vcc, v19, v21, vcc
	global_load_dword v19, v[20:21], off
	s_mov_b64 s[22:23], 0
	s_waitcnt vmcnt(1)
	v_subrev_u32_e32 v9, s45, v9
	v_mul_lo_u32 v20, v9, s11
	v_and_b32_e32 v20, 0x3ff, v20
	s_waitcnt vmcnt(0)
	v_mul_f32_e32 v19, v8, v19
	s_branch .LBB182_17
.LBB182_16:                             ;   in Loop: Header=BB182_17 Depth=3
	s_or_b64 exec, exec, s[24:25]
	s_xor_b64 s[24:25], s[26:27], -1
	s_and_b64 s[24:25], exec, s[24:25]
	s_or_b64 s[22:23], s[24:25], s[22:23]
	s_andn2_b64 exec, exec, s[22:23]
	s_cbranch_execz .LBB182_14
.LBB182_17:                             ;   Parent Loop BB182_12 Depth=1
                                        ;     Parent Loop BB182_15 Depth=2
                                        ; =>    This Inner Loop Header: Depth=3
	v_lshl_add_u32 v21, v20, 2, 0
	ds_read_b32 v22, v21
                                        ; implicit-def: $sgpr26_sgpr27
	s_waitcnt lgkmcnt(0)
	v_cmp_ne_u32_e32 vcc, v22, v9
	s_and_saveexec_b64 s[24:25], vcc
	s_xor_b64 s[24:25], exec, s[24:25]
	s_cbranch_execz .LBB182_25
; %bb.18:                               ;   in Loop: Header=BB182_17 Depth=3
	v_cmp_ne_u32_e32 vcc, s33, v22
                                        ; implicit-def: $sgpr26_sgpr27
	s_and_saveexec_b64 s[28:29], vcc
	s_xor_b64 s[28:29], exec, s[28:29]
; %bb.19:                               ;   in Loop: Header=BB182_17 Depth=3
	v_add_u32_e32 v20, 1, v20
	v_and_b32_e32 v20, 0x3ff, v20
	s_mov_b64 s[26:27], -1
                                        ; implicit-def: $vgpr21
; %bb.20:                               ;   in Loop: Header=BB182_17 Depth=3
	s_andn2_saveexec_b64 s[28:29], s[28:29]
	s_cbranch_execz .LBB182_24
; %bb.21:                               ;   in Loop: Header=BB182_17 Depth=3
	v_mov_b32_e32 v22, s33
	ds_cmpst_rtn_b32 v22, v21, v22, v9
	s_mov_b64 s[30:31], -1
	s_waitcnt lgkmcnt(0)
	v_cmp_eq_u32_e32 vcc, s33, v22
	s_and_saveexec_b64 s[52:53], vcc
	s_cbranch_execz .LBB182_23
; %bb.22:                               ;   in Loop: Header=BB182_17 Depth=3
	ds_add_f32 v21, v19 offset:4096
	s_xor_b64 s[30:31], exec, -1
.LBB182_23:                             ;   in Loop: Header=BB182_17 Depth=3
	s_or_b64 exec, exec, s[52:53]
	s_andn2_b64 s[26:27], s[26:27], exec
	s_and_b64 s[30:31], s[30:31], exec
	s_or_b64 s[26:27], s[26:27], s[30:31]
.LBB182_24:                             ;   in Loop: Header=BB182_17 Depth=3
	s_or_b64 exec, exec, s[28:29]
	s_and_b64 s[26:27], s[26:27], exec
                                        ; implicit-def: $vgpr21
.LBB182_25:                             ;   in Loop: Header=BB182_17 Depth=3
	s_andn2_saveexec_b64 s[24:25], s[24:25]
	s_cbranch_execz .LBB182_16
; %bb.26:                               ;   in Loop: Header=BB182_17 Depth=3
	ds_add_f32 v21, v19 offset:4096
	s_andn2_b64 s[26:27], s[26:27], exec
	s_branch .LBB182_16
.LBB182_27:
	s_or_b64 exec, exec, s[4:5]
.LBB182_28:
	s_andn2_b64 vcc, exec, s[0:1]
	s_cbranch_vccnz .LBB182_45
; %bb.29:
	s_waitcnt lgkmcnt(0)
	s_ashr_i32 s35, s34, 31
	s_lshl_b64 s[0:1], s[34:35], 3
	s_add_u32 s0, s36, s0
	s_addc_u32 s1, s37, s1
	s_load_dwordx4 s[4:7], s[0:1], 0x0
	v_subrev_co_u32_e32 v2, vcc, s47, v0
	v_subb_co_u32_e64 v3, s[0:1], 0, 0, vcc
	s_waitcnt lgkmcnt(0)
	s_sub_u32 s0, s6, s47
	v_mov_b32_e32 v4, s5
	v_add_co_u32_e32 v2, vcc, s4, v2
	s_subb_u32 s1, s7, 0
	v_addc_co_u32_e32 v3, vcc, v4, v3, vcc
	v_cmp_gt_i64_e32 vcc, s[0:1], v[2:3]
	s_and_saveexec_b64 s[2:3], vcc
	s_cbranch_execz .LBB182_44
; %bb.30:
	s_mov_b64 s[4:5], 0
	v_mov_b32_e32 v4, s39
	v_mov_b32_e32 v5, s41
	s_movk_i32 s18, 0x89
	s_branch .LBB182_32
.LBB182_31:                             ;   in Loop: Header=BB182_32 Depth=1
	s_or_b64 exec, exec, s[6:7]
	v_add_co_u32_e32 v2, vcc, 0x200, v2
	v_addc_co_u32_e32 v3, vcc, 0, v3, vcc
	v_cmp_le_i64_e32 vcc, s[0:1], v[2:3]
	s_or_b64 s[4:5], vcc, s[4:5]
	s_andn2_b64 exec, exec, s[4:5]
	s_cbranch_execz .LBB182_44
.LBB182_32:                             ; =>This Loop Header: Depth=1
                                        ;     Child Loop BB182_34 Depth 2
	v_lshlrev_b64 v[6:7], 2, v[2:3]
	v_add_co_u32_e32 v8, vcc, s38, v6
	v_addc_co_u32_e32 v9, vcc, v4, v7, vcc
	global_load_dword v8, v[8:9], off
	v_add_co_u32_e32 v6, vcc, s40, v6
	v_addc_co_u32_e32 v7, vcc, v5, v7, vcc
	global_load_dword v7, v[6:7], off
	s_mov_b64 s[6:7], 0
	s_waitcnt vmcnt(1)
	v_subrev_u32_e32 v6, s47, v8
	v_mul_lo_u32 v8, v6, s18
	v_and_b32_e32 v8, 0x3ff, v8
	s_waitcnt vmcnt(0)
	v_mul_f32_e32 v7, v11, v7
	s_branch .LBB182_34
.LBB182_33:                             ;   in Loop: Header=BB182_34 Depth=2
	s_or_b64 exec, exec, s[8:9]
	s_xor_b64 s[8:9], s[10:11], -1
	s_and_b64 s[8:9], exec, s[8:9]
	s_or_b64 s[6:7], s[8:9], s[6:7]
	s_andn2_b64 exec, exec, s[6:7]
	s_cbranch_execz .LBB182_31
.LBB182_34:                             ;   Parent Loop BB182_32 Depth=1
                                        ; =>  This Inner Loop Header: Depth=2
	v_lshl_add_u32 v9, v8, 2, 0
	ds_read_b32 v13, v9
                                        ; implicit-def: $sgpr10_sgpr11
	s_waitcnt lgkmcnt(0)
	v_cmp_ne_u32_e32 vcc, v13, v6
	s_and_saveexec_b64 s[8:9], vcc
	s_xor_b64 s[8:9], exec, s[8:9]
	s_cbranch_execz .LBB182_42
; %bb.35:                               ;   in Loop: Header=BB182_34 Depth=2
	v_cmp_ne_u32_e32 vcc, s33, v13
                                        ; implicit-def: $sgpr10_sgpr11
	s_and_saveexec_b64 s[12:13], vcc
	s_xor_b64 s[12:13], exec, s[12:13]
; %bb.36:                               ;   in Loop: Header=BB182_34 Depth=2
	v_add_u32_e32 v8, 1, v8
	v_and_b32_e32 v8, 0x3ff, v8
	s_mov_b64 s[10:11], -1
                                        ; implicit-def: $vgpr9
; %bb.37:                               ;   in Loop: Header=BB182_34 Depth=2
	s_andn2_saveexec_b64 s[12:13], s[12:13]
	s_cbranch_execz .LBB182_41
; %bb.38:                               ;   in Loop: Header=BB182_34 Depth=2
	v_mov_b32_e32 v13, s33
	ds_cmpst_rtn_b32 v13, v9, v13, v6
	s_mov_b64 s[14:15], -1
	s_waitcnt lgkmcnt(0)
	v_cmp_eq_u32_e32 vcc, s33, v13
	s_and_saveexec_b64 s[16:17], vcc
	s_cbranch_execz .LBB182_40
; %bb.39:                               ;   in Loop: Header=BB182_34 Depth=2
	ds_add_f32 v9, v7 offset:4096
	s_xor_b64 s[14:15], exec, -1
.LBB182_40:                             ;   in Loop: Header=BB182_34 Depth=2
	s_or_b64 exec, exec, s[16:17]
	s_andn2_b64 s[10:11], s[10:11], exec
	s_and_b64 s[14:15], s[14:15], exec
	s_or_b64 s[10:11], s[10:11], s[14:15]
.LBB182_41:                             ;   in Loop: Header=BB182_34 Depth=2
	s_or_b64 exec, exec, s[12:13]
	s_and_b64 s[10:11], s[10:11], exec
                                        ; implicit-def: $vgpr9
.LBB182_42:                             ;   in Loop: Header=BB182_34 Depth=2
	s_andn2_saveexec_b64 s[8:9], s[8:9]
	s_cbranch_execz .LBB182_33
; %bb.43:                               ;   in Loop: Header=BB182_34 Depth=2
	ds_add_f32 v9, v7 offset:4096
	s_andn2_b64 s[10:11], s[10:11], exec
	s_branch .LBB182_33
.LBB182_44:
	s_or_b64 exec, exec, s[2:3]
.LBB182_45:
	v_mbcnt_lo_u32_b32 v2, -1, 0
	v_mbcnt_hi_u32_b32 v2, -1, v2
	v_sub_u32_e32 v2, 63, v2
	s_movk_i32 s0, 0x1ff
	s_movk_i32 s6, 0x5f
	;; [unrolled: 1-line block ×14, first 2 shown]
	v_mov_b32_e32 v6, 0
	v_lshrrev_b64 v[2:3], v2, -1
	v_lshl_add_u32 v7, v12, 2, 0
	v_cmp_eq_u32_e64 s[0:1], s0, v0
	v_cmp_lt_u32_e64 s[2:3], 31, v0
	v_cmp_lt_u32_e64 s[4:5], 63, v0
	;; [unrolled: 1-line block ×15, first 2 shown]
	s_mov_b64 s[36:37], 0
	v_mov_b32_e32 v8, 0
	s_waitcnt lgkmcnt(0)
	s_barrier
	s_branch .LBB182_47
.LBB182_46:                             ;   in Loop: Header=BB182_47 Depth=1
	s_or_b64 exec, exec, s[38:39]
	s_waitcnt lgkmcnt(0)
	s_barrier
	ds_read_b32 v4, v6 offset:8252
	v_add_co_u32_e32 v1, vcc, 0x200, v1
	s_xor_b64 s[38:39], vcc, -1
	s_and_b64 s[38:39], exec, s[38:39]
	s_waitcnt lgkmcnt(0)
	v_add_u32_e32 v8, v4, v8
	s_or_b64 s[36:37], s[38:39], s[36:37]
	v_add_u32_e32 v10, 0x800, v10
	s_andn2_b64 exec, exec, s[36:37]
	s_cbranch_execz .LBB182_81
.LBB182_47:                             ; =>This Inner Loop Header: Depth=1
	ds_read2st64_b32 v[4:5], v10 offset1:16
	s_waitcnt lgkmcnt(0)
	s_barrier
	v_cmp_gt_i32_e32 vcc, s33, v4
	v_and_b32_e32 v11, vcc_lo, v2
	s_bcnt1_i32_b64 s35, vcc
	v_and_b32_e32 v9, vcc_hi, v3
	v_bcnt_u32_b32 v11, v11, 0
	v_bcnt_u32_b32 v9, v9, v11
	v_mov_b32_e32 v11, s35
	ds_write_b32 v7, v11 offset:8192
	s_waitcnt lgkmcnt(0)
	s_barrier
	s_and_saveexec_b64 s[38:39], s[2:3]
	s_cbranch_execnz .LBB182_64
; %bb.48:                               ;   in Loop: Header=BB182_47 Depth=1
	s_or_b64 exec, exec, s[38:39]
	s_and_saveexec_b64 s[38:39], s[4:5]
	s_cbranch_execnz .LBB182_65
.LBB182_49:                             ;   in Loop: Header=BB182_47 Depth=1
	s_or_b64 exec, exec, s[38:39]
	s_and_saveexec_b64 s[38:39], s[6:7]
	s_cbranch_execnz .LBB182_66
.LBB182_50:                             ;   in Loop: Header=BB182_47 Depth=1
	s_or_b64 exec, exec, s[38:39]
	s_and_saveexec_b64 s[38:39], s[8:9]
	s_cbranch_execnz .LBB182_67
.LBB182_51:                             ;   in Loop: Header=BB182_47 Depth=1
	s_or_b64 exec, exec, s[38:39]
	s_and_saveexec_b64 s[38:39], s[10:11]
	s_cbranch_execnz .LBB182_68
.LBB182_52:                             ;   in Loop: Header=BB182_47 Depth=1
	s_or_b64 exec, exec, s[38:39]
	s_and_saveexec_b64 s[38:39], s[12:13]
	s_cbranch_execnz .LBB182_69
.LBB182_53:                             ;   in Loop: Header=BB182_47 Depth=1
	s_or_b64 exec, exec, s[38:39]
	s_and_saveexec_b64 s[38:39], s[14:15]
	s_cbranch_execnz .LBB182_70
.LBB182_54:                             ;   in Loop: Header=BB182_47 Depth=1
	s_or_b64 exec, exec, s[38:39]
	s_and_saveexec_b64 s[38:39], s[16:17]
	s_cbranch_execnz .LBB182_71
.LBB182_55:                             ;   in Loop: Header=BB182_47 Depth=1
	s_or_b64 exec, exec, s[38:39]
	s_and_saveexec_b64 s[38:39], s[18:19]
	s_cbranch_execnz .LBB182_72
.LBB182_56:                             ;   in Loop: Header=BB182_47 Depth=1
	s_or_b64 exec, exec, s[38:39]
	s_and_saveexec_b64 s[38:39], s[20:21]
	s_cbranch_execnz .LBB182_73
.LBB182_57:                             ;   in Loop: Header=BB182_47 Depth=1
	s_or_b64 exec, exec, s[38:39]
	s_and_saveexec_b64 s[38:39], s[22:23]
	s_cbranch_execnz .LBB182_74
.LBB182_58:                             ;   in Loop: Header=BB182_47 Depth=1
	s_or_b64 exec, exec, s[38:39]
	s_and_saveexec_b64 s[38:39], s[24:25]
	s_cbranch_execnz .LBB182_75
.LBB182_59:                             ;   in Loop: Header=BB182_47 Depth=1
	s_or_b64 exec, exec, s[38:39]
	s_and_saveexec_b64 s[38:39], s[26:27]
	s_cbranch_execnz .LBB182_76
.LBB182_60:                             ;   in Loop: Header=BB182_47 Depth=1
	s_or_b64 exec, exec, s[38:39]
	s_and_saveexec_b64 s[38:39], s[28:29]
	s_cbranch_execnz .LBB182_77
.LBB182_61:                             ;   in Loop: Header=BB182_47 Depth=1
	s_or_b64 exec, exec, s[38:39]
	s_and_saveexec_b64 s[38:39], s[30:31]
	s_cbranch_execnz .LBB182_78
.LBB182_62:                             ;   in Loop: Header=BB182_47 Depth=1
	s_or_b64 exec, exec, s[38:39]
	s_and_saveexec_b64 s[38:39], vcc
	s_cbranch_execnz .LBB182_79
.LBB182_63:                             ;   in Loop: Header=BB182_47 Depth=1
	s_or_b64 exec, exec, s[38:39]
	s_and_saveexec_b64 s[38:39], s[0:1]
	s_cbranch_execz .LBB182_46
	s_branch .LBB182_80
.LBB182_64:                             ;   in Loop: Header=BB182_47 Depth=1
	ds_read_b32 v11, v6 offset:8192
	s_waitcnt lgkmcnt(0)
	v_add_u32_e32 v9, v11, v9
	s_or_b64 exec, exec, s[38:39]
	s_and_saveexec_b64 s[38:39], s[4:5]
	s_cbranch_execz .LBB182_49
.LBB182_65:                             ;   in Loop: Header=BB182_47 Depth=1
	ds_read_b32 v11, v6 offset:8196
	s_waitcnt lgkmcnt(0)
	v_add_u32_e32 v9, v11, v9
	s_or_b64 exec, exec, s[38:39]
	s_and_saveexec_b64 s[38:39], s[6:7]
	s_cbranch_execz .LBB182_50
.LBB182_66:                             ;   in Loop: Header=BB182_47 Depth=1
	ds_read_b32 v11, v6 offset:8200
	s_waitcnt lgkmcnt(0)
	v_add_u32_e32 v9, v11, v9
	s_or_b64 exec, exec, s[38:39]
	s_and_saveexec_b64 s[38:39], s[8:9]
	s_cbranch_execz .LBB182_51
.LBB182_67:                             ;   in Loop: Header=BB182_47 Depth=1
	ds_read_b32 v11, v6 offset:8204
	s_waitcnt lgkmcnt(0)
	v_add_u32_e32 v9, v11, v9
	s_or_b64 exec, exec, s[38:39]
	s_and_saveexec_b64 s[38:39], s[10:11]
	s_cbranch_execz .LBB182_52
.LBB182_68:                             ;   in Loop: Header=BB182_47 Depth=1
	ds_read_b32 v11, v6 offset:8208
	s_waitcnt lgkmcnt(0)
	v_add_u32_e32 v9, v11, v9
	s_or_b64 exec, exec, s[38:39]
	s_and_saveexec_b64 s[38:39], s[12:13]
	s_cbranch_execz .LBB182_53
.LBB182_69:                             ;   in Loop: Header=BB182_47 Depth=1
	ds_read_b32 v11, v6 offset:8212
	s_waitcnt lgkmcnt(0)
	v_add_u32_e32 v9, v11, v9
	s_or_b64 exec, exec, s[38:39]
	s_and_saveexec_b64 s[38:39], s[14:15]
	s_cbranch_execz .LBB182_54
.LBB182_70:                             ;   in Loop: Header=BB182_47 Depth=1
	ds_read_b32 v11, v6 offset:8216
	s_waitcnt lgkmcnt(0)
	v_add_u32_e32 v9, v11, v9
	s_or_b64 exec, exec, s[38:39]
	s_and_saveexec_b64 s[38:39], s[16:17]
	s_cbranch_execz .LBB182_55
.LBB182_71:                             ;   in Loop: Header=BB182_47 Depth=1
	ds_read_b32 v11, v6 offset:8220
	s_waitcnt lgkmcnt(0)
	v_add_u32_e32 v9, v11, v9
	s_or_b64 exec, exec, s[38:39]
	s_and_saveexec_b64 s[38:39], s[18:19]
	s_cbranch_execz .LBB182_56
.LBB182_72:                             ;   in Loop: Header=BB182_47 Depth=1
	ds_read_b32 v11, v6 offset:8224
	s_waitcnt lgkmcnt(0)
	v_add_u32_e32 v9, v11, v9
	s_or_b64 exec, exec, s[38:39]
	s_and_saveexec_b64 s[38:39], s[20:21]
	s_cbranch_execz .LBB182_57
.LBB182_73:                             ;   in Loop: Header=BB182_47 Depth=1
	ds_read_b32 v11, v6 offset:8228
	s_waitcnt lgkmcnt(0)
	v_add_u32_e32 v9, v11, v9
	s_or_b64 exec, exec, s[38:39]
	s_and_saveexec_b64 s[38:39], s[22:23]
	s_cbranch_execz .LBB182_58
.LBB182_74:                             ;   in Loop: Header=BB182_47 Depth=1
	ds_read_b32 v11, v6 offset:8232
	s_waitcnt lgkmcnt(0)
	v_add_u32_e32 v9, v11, v9
	s_or_b64 exec, exec, s[38:39]
	s_and_saveexec_b64 s[38:39], s[24:25]
	s_cbranch_execz .LBB182_59
.LBB182_75:                             ;   in Loop: Header=BB182_47 Depth=1
	ds_read_b32 v11, v6 offset:8236
	s_waitcnt lgkmcnt(0)
	v_add_u32_e32 v9, v11, v9
	s_or_b64 exec, exec, s[38:39]
	s_and_saveexec_b64 s[38:39], s[26:27]
	s_cbranch_execz .LBB182_60
.LBB182_76:                             ;   in Loop: Header=BB182_47 Depth=1
	ds_read_b32 v11, v6 offset:8240
	s_waitcnt lgkmcnt(0)
	v_add_u32_e32 v9, v11, v9
	s_or_b64 exec, exec, s[38:39]
	s_and_saveexec_b64 s[38:39], s[28:29]
	s_cbranch_execz .LBB182_61
.LBB182_77:                             ;   in Loop: Header=BB182_47 Depth=1
	ds_read_b32 v11, v6 offset:8244
	s_waitcnt lgkmcnt(0)
	v_add_u32_e32 v9, v11, v9
	s_or_b64 exec, exec, s[38:39]
	s_and_saveexec_b64 s[38:39], s[30:31]
	s_cbranch_execz .LBB182_62
.LBB182_78:                             ;   in Loop: Header=BB182_47 Depth=1
	ds_read_b32 v11, v6 offset:8248
	s_waitcnt lgkmcnt(0)
	v_add_u32_e32 v9, v11, v9
	s_or_b64 exec, exec, s[38:39]
	s_and_saveexec_b64 s[38:39], vcc
	s_cbranch_execz .LBB182_63
.LBB182_79:                             ;   in Loop: Header=BB182_47 Depth=1
	v_add3_u32 v11, v8, -1, v9
	v_lshl_add_u32 v11, v11, 2, 0
	ds_write2st64_b32 v11, v4, v5 offset1:16
	s_or_b64 exec, exec, s[38:39]
	s_and_saveexec_b64 s[38:39], s[0:1]
	s_cbranch_execz .LBB182_46
.LBB182_80:                             ;   in Loop: Header=BB182_47 Depth=1
	ds_write_b32 v6, v9 offset:8252
	s_branch .LBB182_46
.LBB182_81:
	s_or_b64 exec, exec, s[36:37]
	s_ashr_i32 s35, s34, 31
	s_lshl_b64 s[0:1], s[34:35], 3
	s_add_u32 s0, s42, s0
	s_addc_u32 s1, s43, s1
	s_load_dwordx4 s[0:3], s[0:1], 0x0
	s_waitcnt lgkmcnt(0)
	s_sub_i32 s8, s2, s0
	v_cmp_gt_i32_e32 vcc, s8, v0
	s_and_saveexec_b64 s[4:5], vcc
	s_cbranch_execz .LBB182_91
; %bb.82:
	s_sub_u32 s4, s0, s46
	s_subb_u32 s5, s1, 0
	s_and_b32 s9, s8, 7
	s_sub_i32 s0, s0, s2
	s_cmp_lt_u32 s0, -7
	s_cselect_b64 s[0:1], -1, 0
	s_and_b32 s10, s8, -8
	s_cmp_lg_u32 s9, 0
	v_cndmask_b32_e64 v1, 0, 1, s[0:1]
	s_cselect_b64 s[2:3], -1, 0
	v_cmp_ne_u32_e64 s[0:1], 1, v1
	v_cndmask_b32_e64 v1, 0, 1, s[2:3]
	s_mov_b64 s[6:7], 0
	v_cmp_ne_u32_e64 s[2:3], 1, v1
	v_mov_b32_e32 v1, s49
	s_branch .LBB182_84
.LBB182_83:                             ;   in Loop: Header=BB182_84 Depth=1
	v_lshlrev_b64 v[4:5], 2, v[4:5]
	v_add_co_u32_e32 v6, vcc, s48, v4
	s_waitcnt lgkmcnt(0)
	v_add_u32_e32 v2, s46, v2
	v_addc_co_u32_e32 v7, vcc, v1, v5, vcc
	global_store_dword v[6:7], v2, off
	v_mov_b32_e32 v2, s51
	v_add_co_u32_e32 v4, vcc, s50, v4
	v_addc_co_u32_e32 v5, vcc, v2, v5, vcc
	v_add_u32_e32 v0, 0x200, v0
	v_cmp_le_i32_e32 vcc, s8, v0
	s_or_b64 s[6:7], vcc, s[6:7]
	global_store_dword v[4:5], v3, off
	s_andn2_b64 exec, exec, s[6:7]
	s_cbranch_execz .LBB182_91
.LBB182_84:                             ; =>This Loop Header: Depth=1
                                        ;     Child Loop BB182_86 Depth 2
                                        ;     Child Loop BB182_90 Depth 2
	v_lshl_add_u32 v2, v0, 2, 0
	ds_read2st64_b32 v[2:3], v2 offset1:16
	s_and_b64 vcc, exec, s[0:1]
	v_pk_mov_b32 v[4:5], s[4:5], s[4:5] op_sel:[0,1]
	s_mov_b32 s11, 0
	s_cbranch_vccnz .LBB182_88
; %bb.85:                               ;   in Loop: Header=BB182_84 Depth=1
	s_mov_b32 s12, 0
	v_pk_mov_b32 v[4:5], s[4:5], s[4:5] op_sel:[0,1]
.LBB182_86:                             ;   Parent Loop BB182_84 Depth=1
                                        ; =>  This Inner Loop Header: Depth=2
	v_mov_b32_e32 v12, s12
	ds_read2_b32 v[6:7], v12 offset1:1
	ds_read2_b32 v[8:9], v12 offset0:2 offset1:3
	ds_read2_b32 v[10:11], v12 offset0:4 offset1:5
	ds_read2_b32 v[12:13], v12 offset0:6 offset1:7
	s_add_i32 s11, s11, 8
	s_waitcnt lgkmcnt(3)
	v_cmp_gt_i32_e32 vcc, v2, v6
	v_cndmask_b32_e64 v6, 0, 1, vcc
	v_cmp_gt_i32_e32 vcc, v2, v7
	v_cndmask_b32_e64 v7, 0, 1, vcc
	s_waitcnt lgkmcnt(2)
	v_cmp_gt_i32_e32 vcc, v2, v8
	v_cndmask_b32_e64 v8, 0, 1, vcc
	v_cmp_gt_i32_e32 vcc, v2, v9
	v_cndmask_b32_e64 v9, 0, 1, vcc
	;; [unrolled: 5-line block ×4, first 2 shown]
	v_add_co_u32_e32 v4, vcc, v4, v6
	v_addc_co_u32_e32 v5, vcc, 0, v5, vcc
	v_add_co_u32_e32 v4, vcc, v4, v7
	v_addc_co_u32_e32 v5, vcc, 0, v5, vcc
	;; [unrolled: 2-line block ×7, first 2 shown]
	s_add_i32 s12, s12, 32
	v_add_co_u32_e32 v4, vcc, v4, v13
	s_cmp_eq_u32 s10, s11
	v_addc_co_u32_e32 v5, vcc, 0, v5, vcc
	s_cbranch_scc0 .LBB182_86
; %bb.87:                               ;   in Loop: Header=BB182_84 Depth=1
	s_mov_b32 s11, s10
.LBB182_88:                             ;   in Loop: Header=BB182_84 Depth=1
	s_and_b64 vcc, exec, s[2:3]
	s_cbranch_vccnz .LBB182_83
; %bb.89:                               ;   in Loop: Header=BB182_84 Depth=1
	s_lshl_b32 s11, s11, 2
	s_add_i32 s11, s11, 0
	s_mov_b32 s12, s9
.LBB182_90:                             ;   Parent Loop BB182_84 Depth=1
                                        ; =>  This Inner Loop Header: Depth=2
	v_mov_b32_e32 v6, s11
	ds_read_b32 v6, v6
	s_add_i32 s11, s11, 4
	s_add_i32 s12, s12, -1
	s_cmp_lg_u32 s12, 0
	s_waitcnt lgkmcnt(0)
	v_cmp_gt_i32_e32 vcc, v2, v6
	v_cndmask_b32_e64 v6, 0, 1, vcc
	v_add_co_u32_e32 v4, vcc, v4, v6
	v_addc_co_u32_e32 v5, vcc, 0, v5, vcc
	s_cbranch_scc1 .LBB182_90
	s_branch .LBB182_83
.LBB182_91:
	s_endpgm
	.section	.rodata,"a",@progbits
	.p2align	6, 0x0
	.amdhsa_kernel _ZN9rocsparseL26csrgemm_fill_block_per_rowILj512ELj32ELj1024ELj137ELj32ElifEEvT5_PKS1_S3_NS_24const_host_device_scalarIT6_EEPKT4_S3_PKS5_S9_S3_SB_S6_S9_S3_SB_S9_PS1_PS5_21rocsparse_index_base_SE_SE_SE_bbb
		.amdhsa_group_segment_fixed_size 0
		.amdhsa_private_segment_fixed_size 0
		.amdhsa_kernarg_size 156
		.amdhsa_user_sgpr_count 6
		.amdhsa_user_sgpr_private_segment_buffer 1
		.amdhsa_user_sgpr_dispatch_ptr 0
		.amdhsa_user_sgpr_queue_ptr 0
		.amdhsa_user_sgpr_kernarg_segment_ptr 1
		.amdhsa_user_sgpr_dispatch_id 0
		.amdhsa_user_sgpr_flat_scratch_init 0
		.amdhsa_user_sgpr_kernarg_preload_length 0
		.amdhsa_user_sgpr_kernarg_preload_offset 0
		.amdhsa_user_sgpr_private_segment_size 0
		.amdhsa_uses_dynamic_stack 0
		.amdhsa_system_sgpr_private_segment_wavefront_offset 0
		.amdhsa_system_sgpr_workgroup_id_x 1
		.amdhsa_system_sgpr_workgroup_id_y 0
		.amdhsa_system_sgpr_workgroup_id_z 0
		.amdhsa_system_sgpr_workgroup_info 0
		.amdhsa_system_vgpr_workitem_id 0
		.amdhsa_next_free_vgpr 24
		.amdhsa_next_free_sgpr 54
		.amdhsa_accum_offset 24
		.amdhsa_reserve_vcc 1
		.amdhsa_reserve_flat_scratch 0
		.amdhsa_float_round_mode_32 0
		.amdhsa_float_round_mode_16_64 0
		.amdhsa_float_denorm_mode_32 3
		.amdhsa_float_denorm_mode_16_64 3
		.amdhsa_dx10_clamp 1
		.amdhsa_ieee_mode 1
		.amdhsa_fp16_overflow 0
		.amdhsa_tg_split 0
		.amdhsa_exception_fp_ieee_invalid_op 0
		.amdhsa_exception_fp_denorm_src 0
		.amdhsa_exception_fp_ieee_div_zero 0
		.amdhsa_exception_fp_ieee_overflow 0
		.amdhsa_exception_fp_ieee_underflow 0
		.amdhsa_exception_fp_ieee_inexact 0
		.amdhsa_exception_int_div_zero 0
	.end_amdhsa_kernel
	.section	.text._ZN9rocsparseL26csrgemm_fill_block_per_rowILj512ELj32ELj1024ELj137ELj32ElifEEvT5_PKS1_S3_NS_24const_host_device_scalarIT6_EEPKT4_S3_PKS5_S9_S3_SB_S6_S9_S3_SB_S9_PS1_PS5_21rocsparse_index_base_SE_SE_SE_bbb,"axG",@progbits,_ZN9rocsparseL26csrgemm_fill_block_per_rowILj512ELj32ELj1024ELj137ELj32ElifEEvT5_PKS1_S3_NS_24const_host_device_scalarIT6_EEPKT4_S3_PKS5_S9_S3_SB_S6_S9_S3_SB_S9_PS1_PS5_21rocsparse_index_base_SE_SE_SE_bbb,comdat
.Lfunc_end182:
	.size	_ZN9rocsparseL26csrgemm_fill_block_per_rowILj512ELj32ELj1024ELj137ELj32ElifEEvT5_PKS1_S3_NS_24const_host_device_scalarIT6_EEPKT4_S3_PKS5_S9_S3_SB_S6_S9_S3_SB_S9_PS1_PS5_21rocsparse_index_base_SE_SE_SE_bbb, .Lfunc_end182-_ZN9rocsparseL26csrgemm_fill_block_per_rowILj512ELj32ELj1024ELj137ELj32ElifEEvT5_PKS1_S3_NS_24const_host_device_scalarIT6_EEPKT4_S3_PKS5_S9_S3_SB_S6_S9_S3_SB_S9_PS1_PS5_21rocsparse_index_base_SE_SE_SE_bbb
                                        ; -- End function
	.section	.AMDGPU.csdata,"",@progbits
; Kernel info:
; codeLenInByte = 2960
; NumSgprs: 58
; NumVgprs: 24
; NumAgprs: 0
; TotalNumVgprs: 24
; ScratchSize: 0
; MemoryBound: 0
; FloatMode: 240
; IeeeMode: 1
; LDSByteSize: 0 bytes/workgroup (compile time only)
; SGPRBlocks: 7
; VGPRBlocks: 2
; NumSGPRsForWavesPerEU: 58
; NumVGPRsForWavesPerEU: 24
; AccumOffset: 24
; Occupancy: 8
; WaveLimiterHint : 1
; COMPUTE_PGM_RSRC2:SCRATCH_EN: 0
; COMPUTE_PGM_RSRC2:USER_SGPR: 6
; COMPUTE_PGM_RSRC2:TRAP_HANDLER: 0
; COMPUTE_PGM_RSRC2:TGID_X_EN: 1
; COMPUTE_PGM_RSRC2:TGID_Y_EN: 0
; COMPUTE_PGM_RSRC2:TGID_Z_EN: 0
; COMPUTE_PGM_RSRC2:TIDIG_COMP_CNT: 0
; COMPUTE_PGM_RSRC3_GFX90A:ACCUM_OFFSET: 5
; COMPUTE_PGM_RSRC3_GFX90A:TG_SPLIT: 0
	.section	.text._ZN9rocsparseL26csrgemm_fill_block_per_rowILj512ELj32ELj1024ELj137ELj64ElifEEvT5_PKS1_S3_NS_24const_host_device_scalarIT6_EEPKT4_S3_PKS5_S9_S3_SB_S6_S9_S3_SB_S9_PS1_PS5_21rocsparse_index_base_SE_SE_SE_bbb,"axG",@progbits,_ZN9rocsparseL26csrgemm_fill_block_per_rowILj512ELj32ELj1024ELj137ELj64ElifEEvT5_PKS1_S3_NS_24const_host_device_scalarIT6_EEPKT4_S3_PKS5_S9_S3_SB_S6_S9_S3_SB_S9_PS1_PS5_21rocsparse_index_base_SE_SE_SE_bbb,comdat
	.globl	_ZN9rocsparseL26csrgemm_fill_block_per_rowILj512ELj32ELj1024ELj137ELj64ElifEEvT5_PKS1_S3_NS_24const_host_device_scalarIT6_EEPKT4_S3_PKS5_S9_S3_SB_S6_S9_S3_SB_S9_PS1_PS5_21rocsparse_index_base_SE_SE_SE_bbb ; -- Begin function _ZN9rocsparseL26csrgemm_fill_block_per_rowILj512ELj32ELj1024ELj137ELj64ElifEEvT5_PKS1_S3_NS_24const_host_device_scalarIT6_EEPKT4_S3_PKS5_S9_S3_SB_S6_S9_S3_SB_S9_PS1_PS5_21rocsparse_index_base_SE_SE_SE_bbb
	.p2align	8
	.type	_ZN9rocsparseL26csrgemm_fill_block_per_rowILj512ELj32ELj1024ELj137ELj64ElifEEvT5_PKS1_S3_NS_24const_host_device_scalarIT6_EEPKT4_S3_PKS5_S9_S3_SB_S6_S9_S3_SB_S9_PS1_PS5_21rocsparse_index_base_SE_SE_SE_bbb,@function
_ZN9rocsparseL26csrgemm_fill_block_per_rowILj512ELj32ELj1024ELj137ELj64ElifEEvT5_PKS1_S3_NS_24const_host_device_scalarIT6_EEPKT4_S3_PKS5_S9_S3_SB_S6_S9_S3_SB_S9_PS1_PS5_21rocsparse_index_base_SE_SE_SE_bbb: ; @_ZN9rocsparseL26csrgemm_fill_block_per_rowILj512ELj32ELj1024ELj137ELj64ElifEEvT5_PKS1_S3_NS_24const_host_device_scalarIT6_EEPKT4_S3_PKS5_S9_S3_SB_S6_S9_S3_SB_S9_PS1_PS5_21rocsparse_index_base_SE_SE_SE_bbb
; %bb.0:
	s_load_dword s7, s[4:5], 0x98
	s_load_dwordx4 s[28:31], s[4:5], 0x88
	s_load_dwordx2 s[0:1], s[4:5], 0x18
	s_load_dwordx2 s[34:35], s[4:5], 0x50
	s_waitcnt lgkmcnt(0)
	s_bitcmp1_b32 s7, 0
	s_cselect_b64 s[2:3], -1, 0
	s_bitcmp1_b32 s7, 16
	s_cselect_b64 s[44:45], -1, 0
	s_xor_b64 s[8:9], s[2:3], -1
	s_or_b64 s[8:9], s[8:9], s[44:45]
	s_and_b64 vcc, exec, s[8:9]
	s_cbranch_vccnz .LBB183_2
; %bb.1:
	s_load_dword s0, s[0:1], 0x0
	s_waitcnt lgkmcnt(0)
	v_mov_b32_e32 v12, s0
	s_branch .LBB183_3
.LBB183_2:
	v_mov_b32_e32 v1, s0
	v_cndmask_b32_e64 v12, 0, v1, s[2:3]
.LBB183_3:
	s_load_dwordx4 s[36:39], s[4:5], 0x78
	s_load_dwordx8 s[12:19], s[4:5], 0x58
	s_load_dwordx4 s[8:11], s[4:5], 0x40
	s_load_dwordx4 s[40:43], s[4:5], 0x8
	s_load_dwordx8 s[20:27], s[4:5], 0x20
	s_bitcmp1_b32 s7, 8
	s_cselect_b64 s[0:1], -1, 0
	s_xor_b64 s[46:47], s[0:1], -1
	s_or_b64 s[44:45], s[46:47], s[44:45]
	s_and_b64 vcc, exec, s[44:45]
	s_cbranch_vccnz .LBB183_5
; %bb.4:
	s_load_dword s7, s[34:35], 0x0
	s_waitcnt lgkmcnt(0)
	v_mov_b32_e32 v11, s7
	s_branch .LBB183_6
.LBB183_5:
	v_mov_b32_e32 v1, s34
	v_cndmask_b32_e64 v11, 0, v1, s[0:1]
.LBB183_6:
	s_load_dword s33, s[4:5], 0x0
	v_or_b32_e32 v1, 0xfffffe00, v0
	v_lshl_add_u32 v10, v0, 2, 0
	s_mov_b64 s[4:5], 0
	v_mov_b32_e32 v2, 0
	s_waitcnt lgkmcnt(0)
	v_mov_b32_e32 v3, s33
	v_mov_b32_e32 v4, v10
	;; [unrolled: 1-line block ×3, first 2 shown]
.LBB183_7:                              ; =>This Inner Loop Header: Depth=1
	v_add_co_u32_e32 v5, vcc, 0x200, v5
	s_xor_b64 s[34:35], vcc, -1
	s_and_b64 s[34:35], exec, s[34:35]
	ds_write2st64_b32 v4, v3, v2 offset1:16
	s_or_b64 s[4:5], s[34:35], s[4:5]
	v_add_u32_e32 v4, 0x800, v4
	s_andn2_b64 exec, exec, s[4:5]
	s_cbranch_execnz .LBB183_7
; %bb.8:
	s_or_b64 exec, exec, s[4:5]
	s_waitcnt lgkmcnt(0)
	s_barrier
	s_load_dword s4, s[40:41], 0x0
	s_mov_b32 s5, 0
	s_waitcnt lgkmcnt(0)
	s_add_i32 s4, s4, s6
	s_lshl_b64 s[4:5], s[4:5], 2
	s_add_u32 s4, s42, s4
	s_addc_u32 s5, s43, s5
	s_load_dword s34, s[4:5], 0x0
	s_and_b64 vcc, exec, s[2:3]
	s_cbranch_vccz .LBB183_28
; %bb.9:
	s_waitcnt lgkmcnt(0)
	s_ashr_i32 s35, s34, 31
	s_lshl_b64 s[2:3], s[34:35], 3
	s_add_u32 s2, s20, s2
	s_addc_u32 s3, s21, s3
	s_load_dwordx4 s[4:7], s[2:3], 0x0
	v_lshrrev_b32_e32 v2, 5, v0
	v_subrev_co_u32_e32 v2, vcc, s28, v2
	s_waitcnt lgkmcnt(0)
	s_sub_u32 s2, s6, s28
	s_subb_u32 s3, s7, 0
	v_subb_co_u32_e64 v3, s[6:7], 0, 0, vcc
	v_mov_b32_e32 v4, s5
	v_add_co_u32_e32 v2, vcc, s4, v2
	v_addc_co_u32_e32 v3, vcc, v4, v3, vcc
	v_cmp_gt_i64_e32 vcc, s[2:3], v[2:3]
	s_and_saveexec_b64 s[4:5], vcc
	s_cbranch_execz .LBB183_27
; %bb.10:
	v_and_b32_e32 v4, 31, v0
	v_subrev_co_u32_e32 v13, vcc, s29, v4
	s_mov_b32 s20, 0
	v_subb_co_u32_e64 v14, s[6:7], 0, 0, vcc
	s_mov_b32 s35, s29
	s_mov_b64 s[6:7], 0
	v_mov_b32_e32 v15, s23
	v_mov_b32_e32 v16, s27
	;; [unrolled: 1-line block ×3, first 2 shown]
	s_movk_i32 s23, 0x89
	s_branch .LBB183_12
.LBB183_11:                             ;   in Loop: Header=BB183_12 Depth=1
	s_or_b64 exec, exec, s[20:21]
	v_add_co_u32_e32 v2, vcc, 16, v2
	v_addc_co_u32_e32 v3, vcc, 0, v3, vcc
	v_cmp_le_i64_e32 vcc, s[2:3], v[2:3]
	s_or_b64 s[6:7], vcc, s[6:7]
	s_andn2_b64 exec, exec, s[6:7]
	s_cbranch_execz .LBB183_27
.LBB183_12:                             ; =>This Loop Header: Depth=1
                                        ;     Child Loop BB183_15 Depth 2
                                        ;       Child Loop BB183_17 Depth 3
	v_lshlrev_b64 v[8:9], 2, v[2:3]
	v_add_co_u32_e32 v4, vcc, s22, v8
	v_addc_co_u32_e32 v5, vcc, v15, v9, vcc
	global_load_dword v4, v[4:5], off
	s_waitcnt vmcnt(0)
	v_subrev_u32_e32 v4, s28, v4
	v_ashrrev_i32_e32 v5, 31, v4
	v_lshlrev_b64 v[4:5], 3, v[4:5]
	v_add_co_u32_e32 v4, vcc, s26, v4
	v_addc_co_u32_e32 v5, vcc, v16, v5, vcc
	global_load_dwordx4 v[18:21], v[4:5], off
	s_waitcnt vmcnt(0)
	v_subrev_co_u32_e32 v4, vcc, s35, v20
	v_subb_co_u32_e32 v5, vcc, v21, v17, vcc
	v_add_co_u32_e32 v6, vcc, v18, v13
	v_addc_co_u32_e32 v7, vcc, v19, v14, vcc
	v_cmp_lt_i64_e32 vcc, v[6:7], v[4:5]
	s_and_saveexec_b64 s[20:21], vcc
	s_cbranch_execz .LBB183_11
; %bb.13:                               ;   in Loop: Header=BB183_12 Depth=1
	v_mov_b32_e32 v18, s25
	v_add_co_u32_e32 v8, vcc, s24, v8
	v_addc_co_u32_e32 v9, vcc, v18, v9, vcc
	global_load_dword v8, v[8:9], off
	s_mov_b64 s[40:41], 0
	s_waitcnt vmcnt(0)
	v_mul_f32_e32 v8, v12, v8
	s_branch .LBB183_15
.LBB183_14:                             ;   in Loop: Header=BB183_15 Depth=2
	s_or_b64 exec, exec, s[42:43]
	v_add_co_u32_e32 v6, vcc, 32, v6
	v_addc_co_u32_e32 v7, vcc, 0, v7, vcc
	v_cmp_ge_i64_e32 vcc, v[6:7], v[4:5]
	s_or_b64 s[40:41], vcc, s[40:41]
	s_andn2_b64 exec, exec, s[40:41]
	s_cbranch_execz .LBB183_11
.LBB183_15:                             ;   Parent Loop BB183_12 Depth=1
                                        ; =>  This Loop Header: Depth=2
                                        ;       Child Loop BB183_17 Depth 3
	v_lshlrev_b64 v[18:19], 2, v[6:7]
	v_mov_b32_e32 v9, s9
	v_add_co_u32_e32 v20, vcc, s8, v18
	v_addc_co_u32_e32 v21, vcc, v9, v19, vcc
	global_load_dword v9, v[20:21], off
	v_mov_b32_e32 v20, s11
	v_add_co_u32_e32 v18, vcc, s10, v18
	v_addc_co_u32_e32 v19, vcc, v20, v19, vcc
	global_load_dword v18, v[18:19], off
	s_mov_b64 s[42:43], 0
	s_waitcnt vmcnt(1)
	v_subrev_u32_e32 v9, s29, v9
	v_mul_lo_u32 v19, v9, s23
	v_and_b32_e32 v19, 0x3ff, v19
	s_waitcnt vmcnt(0)
	v_mul_f32_e32 v18, v8, v18
	s_branch .LBB183_17
.LBB183_16:                             ;   in Loop: Header=BB183_17 Depth=3
	s_or_b64 exec, exec, s[44:45]
	s_xor_b64 s[44:45], s[46:47], -1
	s_and_b64 s[44:45], exec, s[44:45]
	s_or_b64 s[42:43], s[44:45], s[42:43]
	s_andn2_b64 exec, exec, s[42:43]
	s_cbranch_execz .LBB183_14
.LBB183_17:                             ;   Parent Loop BB183_12 Depth=1
                                        ;     Parent Loop BB183_15 Depth=2
                                        ; =>    This Inner Loop Header: Depth=3
	v_lshl_add_u32 v20, v19, 2, 0
	ds_read_b32 v21, v20
                                        ; implicit-def: $sgpr46_sgpr47
	s_waitcnt lgkmcnt(0)
	v_cmp_ne_u32_e32 vcc, v21, v9
	s_and_saveexec_b64 s[44:45], vcc
	s_xor_b64 s[44:45], exec, s[44:45]
	s_cbranch_execz .LBB183_25
; %bb.18:                               ;   in Loop: Header=BB183_17 Depth=3
	v_cmp_ne_u32_e32 vcc, s33, v21
                                        ; implicit-def: $sgpr46_sgpr47
	s_and_saveexec_b64 s[48:49], vcc
	s_xor_b64 s[48:49], exec, s[48:49]
; %bb.19:                               ;   in Loop: Header=BB183_17 Depth=3
	v_add_u32_e32 v19, 1, v19
	v_and_b32_e32 v19, 0x3ff, v19
	s_mov_b64 s[46:47], -1
                                        ; implicit-def: $vgpr20
; %bb.20:                               ;   in Loop: Header=BB183_17 Depth=3
	s_andn2_saveexec_b64 s[48:49], s[48:49]
	s_cbranch_execz .LBB183_24
; %bb.21:                               ;   in Loop: Header=BB183_17 Depth=3
	v_mov_b32_e32 v21, s33
	ds_cmpst_rtn_b32 v21, v20, v21, v9
	s_mov_b64 s[50:51], -1
	s_waitcnt lgkmcnt(0)
	v_cmp_eq_u32_e32 vcc, s33, v21
	s_and_saveexec_b64 s[52:53], vcc
	s_cbranch_execz .LBB183_23
; %bb.22:                               ;   in Loop: Header=BB183_17 Depth=3
	ds_add_f32 v20, v18 offset:4096
	s_xor_b64 s[50:51], exec, -1
.LBB183_23:                             ;   in Loop: Header=BB183_17 Depth=3
	s_or_b64 exec, exec, s[52:53]
	s_andn2_b64 s[46:47], s[46:47], exec
	s_and_b64 s[50:51], s[50:51], exec
	s_or_b64 s[46:47], s[46:47], s[50:51]
.LBB183_24:                             ;   in Loop: Header=BB183_17 Depth=3
	s_or_b64 exec, exec, s[48:49]
	s_and_b64 s[46:47], s[46:47], exec
                                        ; implicit-def: $vgpr20
.LBB183_25:                             ;   in Loop: Header=BB183_17 Depth=3
	s_andn2_saveexec_b64 s[44:45], s[44:45]
	s_cbranch_execz .LBB183_16
; %bb.26:                               ;   in Loop: Header=BB183_17 Depth=3
	ds_add_f32 v20, v18 offset:4096
	s_andn2_b64 s[46:47], s[46:47], exec
	s_branch .LBB183_16
.LBB183_27:
	s_or_b64 exec, exec, s[4:5]
.LBB183_28:
	s_andn2_b64 vcc, exec, s[0:1]
	s_cbranch_vccnz .LBB183_45
; %bb.29:
	s_waitcnt lgkmcnt(0)
	s_ashr_i32 s35, s34, 31
	s_lshl_b64 s[0:1], s[34:35], 3
	s_add_u32 s0, s12, s0
	s_addc_u32 s1, s13, s1
	s_load_dwordx4 s[4:7], s[0:1], 0x0
	v_subrev_co_u32_e32 v2, vcc, s31, v0
	v_subb_co_u32_e64 v3, s[0:1], 0, 0, vcc
	s_waitcnt lgkmcnt(0)
	s_sub_u32 s0, s6, s31
	v_mov_b32_e32 v4, s5
	v_add_co_u32_e32 v2, vcc, s4, v2
	s_subb_u32 s1, s7, 0
	v_addc_co_u32_e32 v3, vcc, v4, v3, vcc
	v_cmp_gt_i64_e32 vcc, s[0:1], v[2:3]
	s_and_saveexec_b64 s[2:3], vcc
	s_cbranch_execz .LBB183_44
; %bb.30:
	s_mov_b64 s[4:5], 0
	v_mov_b32_e32 v4, s15
	v_mov_b32_e32 v5, s17
	s_movk_i32 s15, 0x89
	s_branch .LBB183_32
.LBB183_31:                             ;   in Loop: Header=BB183_32 Depth=1
	s_or_b64 exec, exec, s[6:7]
	v_add_co_u32_e32 v2, vcc, 0x200, v2
	v_addc_co_u32_e32 v3, vcc, 0, v3, vcc
	v_cmp_le_i64_e32 vcc, s[0:1], v[2:3]
	s_or_b64 s[4:5], vcc, s[4:5]
	s_andn2_b64 exec, exec, s[4:5]
	s_cbranch_execz .LBB183_44
.LBB183_32:                             ; =>This Loop Header: Depth=1
                                        ;     Child Loop BB183_34 Depth 2
	v_lshlrev_b64 v[6:7], 2, v[2:3]
	v_add_co_u32_e32 v8, vcc, s14, v6
	v_addc_co_u32_e32 v9, vcc, v4, v7, vcc
	global_load_dword v8, v[8:9], off
	v_add_co_u32_e32 v6, vcc, s16, v6
	v_addc_co_u32_e32 v7, vcc, v5, v7, vcc
	global_load_dword v7, v[6:7], off
	s_mov_b64 s[6:7], 0
	s_waitcnt vmcnt(1)
	v_subrev_u32_e32 v6, s31, v8
	v_mul_lo_u32 v8, v6, s15
	v_and_b32_e32 v8, 0x3ff, v8
	s_waitcnt vmcnt(0)
	v_mul_f32_e32 v7, v11, v7
	s_branch .LBB183_34
.LBB183_33:                             ;   in Loop: Header=BB183_34 Depth=2
	s_or_b64 exec, exec, s[8:9]
	s_xor_b64 s[8:9], s[10:11], -1
	s_and_b64 s[8:9], exec, s[8:9]
	s_or_b64 s[6:7], s[8:9], s[6:7]
	s_andn2_b64 exec, exec, s[6:7]
	s_cbranch_execz .LBB183_31
.LBB183_34:                             ;   Parent Loop BB183_32 Depth=1
                                        ; =>  This Inner Loop Header: Depth=2
	v_lshl_add_u32 v9, v8, 2, 0
	ds_read_b32 v12, v9
                                        ; implicit-def: $sgpr10_sgpr11
	s_waitcnt lgkmcnt(0)
	v_cmp_ne_u32_e32 vcc, v12, v6
	s_and_saveexec_b64 s[8:9], vcc
	s_xor_b64 s[8:9], exec, s[8:9]
	s_cbranch_execz .LBB183_42
; %bb.35:                               ;   in Loop: Header=BB183_34 Depth=2
	v_cmp_ne_u32_e32 vcc, s33, v12
                                        ; implicit-def: $sgpr10_sgpr11
	s_and_saveexec_b64 s[12:13], vcc
	s_xor_b64 s[12:13], exec, s[12:13]
; %bb.36:                               ;   in Loop: Header=BB183_34 Depth=2
	v_add_u32_e32 v8, 1, v8
	v_and_b32_e32 v8, 0x3ff, v8
	s_mov_b64 s[10:11], -1
                                        ; implicit-def: $vgpr9
; %bb.37:                               ;   in Loop: Header=BB183_34 Depth=2
	s_andn2_saveexec_b64 s[12:13], s[12:13]
	s_cbranch_execz .LBB183_41
; %bb.38:                               ;   in Loop: Header=BB183_34 Depth=2
	v_mov_b32_e32 v12, s33
	ds_cmpst_rtn_b32 v12, v9, v12, v6
	s_mov_b64 s[20:21], -1
	s_waitcnt lgkmcnt(0)
	v_cmp_eq_u32_e32 vcc, s33, v12
	s_and_saveexec_b64 s[22:23], vcc
	s_cbranch_execz .LBB183_40
; %bb.39:                               ;   in Loop: Header=BB183_34 Depth=2
	ds_add_f32 v9, v7 offset:4096
	s_xor_b64 s[20:21], exec, -1
.LBB183_40:                             ;   in Loop: Header=BB183_34 Depth=2
	s_or_b64 exec, exec, s[22:23]
	s_andn2_b64 s[10:11], s[10:11], exec
	s_and_b64 s[20:21], s[20:21], exec
	s_or_b64 s[10:11], s[10:11], s[20:21]
.LBB183_41:                             ;   in Loop: Header=BB183_34 Depth=2
	s_or_b64 exec, exec, s[12:13]
	s_and_b64 s[10:11], s[10:11], exec
                                        ; implicit-def: $vgpr9
.LBB183_42:                             ;   in Loop: Header=BB183_34 Depth=2
	s_andn2_saveexec_b64 s[8:9], s[8:9]
	s_cbranch_execz .LBB183_33
; %bb.43:                               ;   in Loop: Header=BB183_34 Depth=2
	ds_add_f32 v9, v7 offset:4096
	s_andn2_b64 s[10:11], s[10:11], exec
	s_branch .LBB183_33
.LBB183_44:
	s_or_b64 exec, exec, s[2:3]
.LBB183_45:
	v_mbcnt_lo_u32_b32 v2, -1, 0
	v_mbcnt_hi_u32_b32 v2, -1, v2
	v_lshrrev_b32_e32 v4, 4, v0
	v_sub_u32_e32 v2, 63, v2
	v_and_b32_e32 v4, 28, v4
	s_movk_i32 s0, 0x1ff
	s_movk_i32 s4, 0x7f
	;; [unrolled: 1-line block ×7, first 2 shown]
	v_mov_b32_e32 v6, 0
	v_lshrrev_b64 v[2:3], v2, -1
	v_add_u32_e32 v7, 0, v4
	v_cmp_eq_u32_e64 s[0:1], s0, v0
	v_cmp_lt_u32_e64 s[2:3], 63, v0
	v_cmp_lt_u32_e64 s[4:5], s4, v0
	;; [unrolled: 1-line block ×7, first 2 shown]
	s_mov_b64 s[16:17], 0
	v_mov_b32_e32 v8, 0
	s_waitcnt lgkmcnt(0)
	s_barrier
	s_branch .LBB183_47
.LBB183_46:                             ;   in Loop: Header=BB183_47 Depth=1
	s_or_b64 exec, exec, s[20:21]
	s_waitcnt lgkmcnt(0)
	s_barrier
	ds_read_b32 v4, v6 offset:8220
	v_add_co_u32_e32 v1, vcc, 0x200, v1
	s_xor_b64 s[20:21], vcc, -1
	s_and_b64 s[20:21], exec, s[20:21]
	s_waitcnt lgkmcnt(0)
	v_add_u32_e32 v8, v4, v8
	s_or_b64 s[16:17], s[20:21], s[16:17]
	v_add_u32_e32 v10, 0x800, v10
	s_andn2_b64 exec, exec, s[16:17]
	s_cbranch_execz .LBB183_65
.LBB183_47:                             ; =>This Inner Loop Header: Depth=1
	ds_read2st64_b32 v[4:5], v10 offset1:16
	s_waitcnt lgkmcnt(0)
	s_barrier
	v_cmp_gt_i32_e32 vcc, s33, v4
	v_and_b32_e32 v11, vcc_lo, v2
	s_bcnt1_i32_b64 s20, vcc
	v_and_b32_e32 v9, vcc_hi, v3
	v_bcnt_u32_b32 v11, v11, 0
	v_bcnt_u32_b32 v9, v9, v11
	v_mov_b32_e32 v11, s20
	ds_write_b32 v7, v11 offset:8192
	s_waitcnt lgkmcnt(0)
	s_barrier
	s_and_saveexec_b64 s[20:21], s[2:3]
	s_cbranch_execnz .LBB183_56
; %bb.48:                               ;   in Loop: Header=BB183_47 Depth=1
	s_or_b64 exec, exec, s[20:21]
	s_and_saveexec_b64 s[20:21], s[4:5]
	s_cbranch_execnz .LBB183_57
.LBB183_49:                             ;   in Loop: Header=BB183_47 Depth=1
	s_or_b64 exec, exec, s[20:21]
	s_and_saveexec_b64 s[20:21], s[6:7]
	s_cbranch_execnz .LBB183_58
.LBB183_50:                             ;   in Loop: Header=BB183_47 Depth=1
	s_or_b64 exec, exec, s[20:21]
	s_and_saveexec_b64 s[20:21], s[8:9]
	s_cbranch_execnz .LBB183_59
.LBB183_51:                             ;   in Loop: Header=BB183_47 Depth=1
	s_or_b64 exec, exec, s[20:21]
	s_and_saveexec_b64 s[20:21], s[10:11]
	s_cbranch_execnz .LBB183_60
.LBB183_52:                             ;   in Loop: Header=BB183_47 Depth=1
	s_or_b64 exec, exec, s[20:21]
	s_and_saveexec_b64 s[20:21], s[12:13]
	s_cbranch_execnz .LBB183_61
.LBB183_53:                             ;   in Loop: Header=BB183_47 Depth=1
	s_or_b64 exec, exec, s[20:21]
	s_and_saveexec_b64 s[20:21], s[14:15]
	s_cbranch_execnz .LBB183_62
.LBB183_54:                             ;   in Loop: Header=BB183_47 Depth=1
	s_or_b64 exec, exec, s[20:21]
	s_and_saveexec_b64 s[20:21], vcc
	s_cbranch_execnz .LBB183_63
.LBB183_55:                             ;   in Loop: Header=BB183_47 Depth=1
	s_or_b64 exec, exec, s[20:21]
	s_and_saveexec_b64 s[20:21], s[0:1]
	s_cbranch_execz .LBB183_46
	s_branch .LBB183_64
.LBB183_56:                             ;   in Loop: Header=BB183_47 Depth=1
	ds_read_b32 v11, v6 offset:8192
	s_waitcnt lgkmcnt(0)
	v_add_u32_e32 v9, v11, v9
	s_or_b64 exec, exec, s[20:21]
	s_and_saveexec_b64 s[20:21], s[4:5]
	s_cbranch_execz .LBB183_49
.LBB183_57:                             ;   in Loop: Header=BB183_47 Depth=1
	ds_read_b32 v11, v6 offset:8196
	s_waitcnt lgkmcnt(0)
	v_add_u32_e32 v9, v11, v9
	s_or_b64 exec, exec, s[20:21]
	s_and_saveexec_b64 s[20:21], s[6:7]
	s_cbranch_execz .LBB183_50
.LBB183_58:                             ;   in Loop: Header=BB183_47 Depth=1
	ds_read_b32 v11, v6 offset:8200
	s_waitcnt lgkmcnt(0)
	v_add_u32_e32 v9, v11, v9
	s_or_b64 exec, exec, s[20:21]
	s_and_saveexec_b64 s[20:21], s[8:9]
	s_cbranch_execz .LBB183_51
.LBB183_59:                             ;   in Loop: Header=BB183_47 Depth=1
	ds_read_b32 v11, v6 offset:8204
	s_waitcnt lgkmcnt(0)
	v_add_u32_e32 v9, v11, v9
	s_or_b64 exec, exec, s[20:21]
	s_and_saveexec_b64 s[20:21], s[10:11]
	s_cbranch_execz .LBB183_52
.LBB183_60:                             ;   in Loop: Header=BB183_47 Depth=1
	ds_read_b32 v11, v6 offset:8208
	s_waitcnt lgkmcnt(0)
	v_add_u32_e32 v9, v11, v9
	s_or_b64 exec, exec, s[20:21]
	s_and_saveexec_b64 s[20:21], s[12:13]
	s_cbranch_execz .LBB183_53
.LBB183_61:                             ;   in Loop: Header=BB183_47 Depth=1
	ds_read_b32 v11, v6 offset:8212
	s_waitcnt lgkmcnt(0)
	v_add_u32_e32 v9, v11, v9
	s_or_b64 exec, exec, s[20:21]
	s_and_saveexec_b64 s[20:21], s[14:15]
	s_cbranch_execz .LBB183_54
.LBB183_62:                             ;   in Loop: Header=BB183_47 Depth=1
	ds_read_b32 v11, v6 offset:8216
	s_waitcnt lgkmcnt(0)
	v_add_u32_e32 v9, v11, v9
	s_or_b64 exec, exec, s[20:21]
	s_and_saveexec_b64 s[20:21], vcc
	s_cbranch_execz .LBB183_55
.LBB183_63:                             ;   in Loop: Header=BB183_47 Depth=1
	v_add3_u32 v11, v8, -1, v9
	v_lshl_add_u32 v11, v11, 2, 0
	ds_write2st64_b32 v11, v4, v5 offset1:16
	s_or_b64 exec, exec, s[20:21]
	s_and_saveexec_b64 s[20:21], s[0:1]
	s_cbranch_execz .LBB183_46
.LBB183_64:                             ;   in Loop: Header=BB183_47 Depth=1
	ds_write_b32 v6, v9 offset:8220
	s_branch .LBB183_46
.LBB183_65:
	s_or_b64 exec, exec, s[16:17]
	s_ashr_i32 s35, s34, 31
	s_lshl_b64 s[0:1], s[34:35], 3
	s_add_u32 s0, s18, s0
	s_addc_u32 s1, s19, s1
	s_load_dwordx4 s[0:3], s[0:1], 0x0
	s_waitcnt lgkmcnt(0)
	s_sub_i32 s8, s2, s0
	v_cmp_gt_i32_e32 vcc, s8, v0
	s_and_saveexec_b64 s[4:5], vcc
	s_cbranch_execz .LBB183_75
; %bb.66:
	s_sub_u32 s4, s0, s30
	s_subb_u32 s5, s1, 0
	s_and_b32 s9, s8, 7
	s_sub_i32 s0, s0, s2
	s_cmp_lt_u32 s0, -7
	s_cselect_b64 s[0:1], -1, 0
	s_and_b32 s10, s8, -8
	s_cmp_lg_u32 s9, 0
	v_cndmask_b32_e64 v1, 0, 1, s[0:1]
	s_cselect_b64 s[2:3], -1, 0
	v_cmp_ne_u32_e64 s[0:1], 1, v1
	v_cndmask_b32_e64 v1, 0, 1, s[2:3]
	s_mov_b64 s[6:7], 0
	v_cmp_ne_u32_e64 s[2:3], 1, v1
	v_mov_b32_e32 v1, s37
	s_branch .LBB183_68
.LBB183_67:                             ;   in Loop: Header=BB183_68 Depth=1
	v_lshlrev_b64 v[4:5], 2, v[4:5]
	v_add_co_u32_e32 v6, vcc, s36, v4
	s_waitcnt lgkmcnt(0)
	v_add_u32_e32 v2, s30, v2
	v_addc_co_u32_e32 v7, vcc, v1, v5, vcc
	global_store_dword v[6:7], v2, off
	v_mov_b32_e32 v2, s39
	v_add_co_u32_e32 v4, vcc, s38, v4
	v_addc_co_u32_e32 v5, vcc, v2, v5, vcc
	v_add_u32_e32 v0, 0x200, v0
	v_cmp_le_i32_e32 vcc, s8, v0
	s_or_b64 s[6:7], vcc, s[6:7]
	global_store_dword v[4:5], v3, off
	s_andn2_b64 exec, exec, s[6:7]
	s_cbranch_execz .LBB183_75
.LBB183_68:                             ; =>This Loop Header: Depth=1
                                        ;     Child Loop BB183_70 Depth 2
                                        ;     Child Loop BB183_74 Depth 2
	v_lshl_add_u32 v2, v0, 2, 0
	ds_read2st64_b32 v[2:3], v2 offset1:16
	s_and_b64 vcc, exec, s[0:1]
	v_pk_mov_b32 v[4:5], s[4:5], s[4:5] op_sel:[0,1]
	s_mov_b32 s11, 0
	s_cbranch_vccnz .LBB183_72
; %bb.69:                               ;   in Loop: Header=BB183_68 Depth=1
	s_mov_b32 s12, 0
	v_pk_mov_b32 v[4:5], s[4:5], s[4:5] op_sel:[0,1]
.LBB183_70:                             ;   Parent Loop BB183_68 Depth=1
                                        ; =>  This Inner Loop Header: Depth=2
	v_mov_b32_e32 v12, s12
	ds_read2_b32 v[6:7], v12 offset1:1
	ds_read2_b32 v[8:9], v12 offset0:2 offset1:3
	ds_read2_b32 v[10:11], v12 offset0:4 offset1:5
	;; [unrolled: 1-line block ×3, first 2 shown]
	s_add_i32 s11, s11, 8
	s_waitcnt lgkmcnt(3)
	v_cmp_gt_i32_e32 vcc, v2, v6
	v_cndmask_b32_e64 v6, 0, 1, vcc
	v_cmp_gt_i32_e32 vcc, v2, v7
	v_cndmask_b32_e64 v7, 0, 1, vcc
	s_waitcnt lgkmcnt(2)
	v_cmp_gt_i32_e32 vcc, v2, v8
	v_cndmask_b32_e64 v8, 0, 1, vcc
	v_cmp_gt_i32_e32 vcc, v2, v9
	v_cndmask_b32_e64 v9, 0, 1, vcc
	;; [unrolled: 5-line block ×4, first 2 shown]
	v_add_co_u32_e32 v4, vcc, v4, v6
	v_addc_co_u32_e32 v5, vcc, 0, v5, vcc
	v_add_co_u32_e32 v4, vcc, v4, v7
	v_addc_co_u32_e32 v5, vcc, 0, v5, vcc
	;; [unrolled: 2-line block ×7, first 2 shown]
	s_add_i32 s12, s12, 32
	v_add_co_u32_e32 v4, vcc, v4, v13
	s_cmp_eq_u32 s10, s11
	v_addc_co_u32_e32 v5, vcc, 0, v5, vcc
	s_cbranch_scc0 .LBB183_70
; %bb.71:                               ;   in Loop: Header=BB183_68 Depth=1
	s_mov_b32 s11, s10
.LBB183_72:                             ;   in Loop: Header=BB183_68 Depth=1
	s_and_b64 vcc, exec, s[2:3]
	s_cbranch_vccnz .LBB183_67
; %bb.73:                               ;   in Loop: Header=BB183_68 Depth=1
	s_lshl_b32 s11, s11, 2
	s_add_i32 s11, s11, 0
	s_mov_b32 s12, s9
.LBB183_74:                             ;   Parent Loop BB183_68 Depth=1
                                        ; =>  This Inner Loop Header: Depth=2
	v_mov_b32_e32 v6, s11
	ds_read_b32 v6, v6
	s_add_i32 s11, s11, 4
	s_add_i32 s12, s12, -1
	s_cmp_lg_u32 s12, 0
	s_waitcnt lgkmcnt(0)
	v_cmp_gt_i32_e32 vcc, v2, v6
	v_cndmask_b32_e64 v6, 0, 1, vcc
	v_add_co_u32_e32 v4, vcc, v4, v6
	v_addc_co_u32_e32 v5, vcc, 0, v5, vcc
	s_cbranch_scc1 .LBB183_74
	s_branch .LBB183_67
.LBB183_75:
	s_endpgm
	.section	.rodata,"a",@progbits
	.p2align	6, 0x0
	.amdhsa_kernel _ZN9rocsparseL26csrgemm_fill_block_per_rowILj512ELj32ELj1024ELj137ELj64ElifEEvT5_PKS1_S3_NS_24const_host_device_scalarIT6_EEPKT4_S3_PKS5_S9_S3_SB_S6_S9_S3_SB_S9_PS1_PS5_21rocsparse_index_base_SE_SE_SE_bbb
		.amdhsa_group_segment_fixed_size 0
		.amdhsa_private_segment_fixed_size 0
		.amdhsa_kernarg_size 156
		.amdhsa_user_sgpr_count 6
		.amdhsa_user_sgpr_private_segment_buffer 1
		.amdhsa_user_sgpr_dispatch_ptr 0
		.amdhsa_user_sgpr_queue_ptr 0
		.amdhsa_user_sgpr_kernarg_segment_ptr 1
		.amdhsa_user_sgpr_dispatch_id 0
		.amdhsa_user_sgpr_flat_scratch_init 0
		.amdhsa_user_sgpr_kernarg_preload_length 0
		.amdhsa_user_sgpr_kernarg_preload_offset 0
		.amdhsa_user_sgpr_private_segment_size 0
		.amdhsa_uses_dynamic_stack 0
		.amdhsa_system_sgpr_private_segment_wavefront_offset 0
		.amdhsa_system_sgpr_workgroup_id_x 1
		.amdhsa_system_sgpr_workgroup_id_y 0
		.amdhsa_system_sgpr_workgroup_id_z 0
		.amdhsa_system_sgpr_workgroup_info 0
		.amdhsa_system_vgpr_workitem_id 0
		.amdhsa_next_free_vgpr 22
		.amdhsa_next_free_sgpr 54
		.amdhsa_accum_offset 24
		.amdhsa_reserve_vcc 1
		.amdhsa_reserve_flat_scratch 0
		.amdhsa_float_round_mode_32 0
		.amdhsa_float_round_mode_16_64 0
		.amdhsa_float_denorm_mode_32 3
		.amdhsa_float_denorm_mode_16_64 3
		.amdhsa_dx10_clamp 1
		.amdhsa_ieee_mode 1
		.amdhsa_fp16_overflow 0
		.amdhsa_tg_split 0
		.amdhsa_exception_fp_ieee_invalid_op 0
		.amdhsa_exception_fp_denorm_src 0
		.amdhsa_exception_fp_ieee_div_zero 0
		.amdhsa_exception_fp_ieee_overflow 0
		.amdhsa_exception_fp_ieee_underflow 0
		.amdhsa_exception_fp_ieee_inexact 0
		.amdhsa_exception_int_div_zero 0
	.end_amdhsa_kernel
	.section	.text._ZN9rocsparseL26csrgemm_fill_block_per_rowILj512ELj32ELj1024ELj137ELj64ElifEEvT5_PKS1_S3_NS_24const_host_device_scalarIT6_EEPKT4_S3_PKS5_S9_S3_SB_S6_S9_S3_SB_S9_PS1_PS5_21rocsparse_index_base_SE_SE_SE_bbb,"axG",@progbits,_ZN9rocsparseL26csrgemm_fill_block_per_rowILj512ELj32ELj1024ELj137ELj64ElifEEvT5_PKS1_S3_NS_24const_host_device_scalarIT6_EEPKT4_S3_PKS5_S9_S3_SB_S6_S9_S3_SB_S9_PS1_PS5_21rocsparse_index_base_SE_SE_SE_bbb,comdat
.Lfunc_end183:
	.size	_ZN9rocsparseL26csrgemm_fill_block_per_rowILj512ELj32ELj1024ELj137ELj64ElifEEvT5_PKS1_S3_NS_24const_host_device_scalarIT6_EEPKT4_S3_PKS5_S9_S3_SB_S6_S9_S3_SB_S9_PS1_PS5_21rocsparse_index_base_SE_SE_SE_bbb, .Lfunc_end183-_ZN9rocsparseL26csrgemm_fill_block_per_rowILj512ELj32ELj1024ELj137ELj64ElifEEvT5_PKS1_S3_NS_24const_host_device_scalarIT6_EEPKT4_S3_PKS5_S9_S3_SB_S6_S9_S3_SB_S9_PS1_PS5_21rocsparse_index_base_SE_SE_SE_bbb
                                        ; -- End function
	.section	.AMDGPU.csdata,"",@progbits
; Kernel info:
; codeLenInByte = 2552
; NumSgprs: 58
; NumVgprs: 22
; NumAgprs: 0
; TotalNumVgprs: 22
; ScratchSize: 0
; MemoryBound: 0
; FloatMode: 240
; IeeeMode: 1
; LDSByteSize: 0 bytes/workgroup (compile time only)
; SGPRBlocks: 7
; VGPRBlocks: 2
; NumSGPRsForWavesPerEU: 58
; NumVGPRsForWavesPerEU: 22
; AccumOffset: 24
; Occupancy: 8
; WaveLimiterHint : 1
; COMPUTE_PGM_RSRC2:SCRATCH_EN: 0
; COMPUTE_PGM_RSRC2:USER_SGPR: 6
; COMPUTE_PGM_RSRC2:TRAP_HANDLER: 0
; COMPUTE_PGM_RSRC2:TGID_X_EN: 1
; COMPUTE_PGM_RSRC2:TGID_Y_EN: 0
; COMPUTE_PGM_RSRC2:TGID_Z_EN: 0
; COMPUTE_PGM_RSRC2:TIDIG_COMP_CNT: 0
; COMPUTE_PGM_RSRC3_GFX90A:ACCUM_OFFSET: 5
; COMPUTE_PGM_RSRC3_GFX90A:TG_SPLIT: 0
	.section	.text._ZN9rocsparseL26csrgemm_fill_block_per_rowILj1024ELj32ELj2048ELj137ELj32ElifEEvT5_PKS1_S3_NS_24const_host_device_scalarIT6_EEPKT4_S3_PKS5_S9_S3_SB_S6_S9_S3_SB_S9_PS1_PS5_21rocsparse_index_base_SE_SE_SE_bbb,"axG",@progbits,_ZN9rocsparseL26csrgemm_fill_block_per_rowILj1024ELj32ELj2048ELj137ELj32ElifEEvT5_PKS1_S3_NS_24const_host_device_scalarIT6_EEPKT4_S3_PKS5_S9_S3_SB_S6_S9_S3_SB_S9_PS1_PS5_21rocsparse_index_base_SE_SE_SE_bbb,comdat
	.globl	_ZN9rocsparseL26csrgemm_fill_block_per_rowILj1024ELj32ELj2048ELj137ELj32ElifEEvT5_PKS1_S3_NS_24const_host_device_scalarIT6_EEPKT4_S3_PKS5_S9_S3_SB_S6_S9_S3_SB_S9_PS1_PS5_21rocsparse_index_base_SE_SE_SE_bbb ; -- Begin function _ZN9rocsparseL26csrgemm_fill_block_per_rowILj1024ELj32ELj2048ELj137ELj32ElifEEvT5_PKS1_S3_NS_24const_host_device_scalarIT6_EEPKT4_S3_PKS5_S9_S3_SB_S6_S9_S3_SB_S9_PS1_PS5_21rocsparse_index_base_SE_SE_SE_bbb
	.p2align	8
	.type	_ZN9rocsparseL26csrgemm_fill_block_per_rowILj1024ELj32ELj2048ELj137ELj32ElifEEvT5_PKS1_S3_NS_24const_host_device_scalarIT6_EEPKT4_S3_PKS5_S9_S3_SB_S6_S9_S3_SB_S9_PS1_PS5_21rocsparse_index_base_SE_SE_SE_bbb,@function
_ZN9rocsparseL26csrgemm_fill_block_per_rowILj1024ELj32ELj2048ELj137ELj32ElifEEvT5_PKS1_S3_NS_24const_host_device_scalarIT6_EEPKT4_S3_PKS5_S9_S3_SB_S6_S9_S3_SB_S9_PS1_PS5_21rocsparse_index_base_SE_SE_SE_bbb: ; @_ZN9rocsparseL26csrgemm_fill_block_per_rowILj1024ELj32ELj2048ELj137ELj32ElifEEvT5_PKS1_S3_NS_24const_host_device_scalarIT6_EEPKT4_S3_PKS5_S9_S3_SB_S6_S9_S3_SB_S9_PS1_PS5_21rocsparse_index_base_SE_SE_SE_bbb
; %bb.0:
	s_load_dword s7, s[4:5], 0x98
	s_load_dwordx4 s[68:71], s[4:5], 0x88
	s_load_dwordx2 s[0:1], s[4:5], 0x18
	s_load_dwordx2 s[24:25], s[4:5], 0x50
	s_waitcnt lgkmcnt(0)
	s_bitcmp1_b32 s7, 0
	s_cselect_b64 s[2:3], -1, 0
	s_bitcmp1_b32 s7, 16
	s_cselect_b64 s[26:27], -1, 0
	s_xor_b64 s[8:9], s[2:3], -1
	s_or_b64 s[8:9], s[8:9], s[26:27]
	s_and_b64 vcc, exec, s[8:9]
	s_cbranch_vccnz .LBB184_2
; %bb.1:
	s_load_dword s0, s[0:1], 0x0
	s_waitcnt lgkmcnt(0)
	v_mov_b32_e32 v13, s0
	s_branch .LBB184_3
.LBB184_2:
	v_mov_b32_e32 v1, s0
	v_cndmask_b32_e64 v13, 0, v1, s[2:3]
.LBB184_3:
	s_load_dwordx4 s[72:75], s[4:5], 0x78
	s_load_dwordx8 s[60:67], s[4:5], 0x58
	s_load_dwordx4 s[16:19], s[4:5], 0x40
	s_load_dwordx4 s[20:23], s[4:5], 0x8
	s_load_dwordx8 s[8:15], s[4:5], 0x20
	s_bitcmp1_b32 s7, 8
	s_cselect_b64 s[0:1], -1, 0
	s_xor_b64 s[28:29], s[0:1], -1
	s_or_b64 s[26:27], s[28:29], s[26:27]
	s_and_b64 vcc, exec, s[26:27]
	s_cbranch_vccnz .LBB184_5
; %bb.4:
	s_load_dword s7, s[24:25], 0x0
	s_waitcnt lgkmcnt(0)
	v_mov_b32_e32 v11, s7
	s_branch .LBB184_6
.LBB184_5:
	v_mov_b32_e32 v1, s24
	v_cndmask_b32_e64 v11, 0, v1, s[0:1]
.LBB184_6:
	s_load_dword s33, s[4:5], 0x0
	v_or_b32_e32 v1, 0xfffffc00, v0
	v_lshl_add_u32 v10, v0, 2, 0
	s_mov_b64 s[4:5], 0
	v_mov_b32_e32 v2, 0
	s_waitcnt lgkmcnt(0)
	v_mov_b32_e32 v3, s33
	v_mov_b32_e32 v4, v10
	;; [unrolled: 1-line block ×3, first 2 shown]
.LBB184_7:                              ; =>This Inner Loop Header: Depth=1
	v_add_co_u32_e32 v5, vcc, 0x400, v5
	s_xor_b64 s[24:25], vcc, -1
	s_and_b64 s[24:25], exec, s[24:25]
	ds_write2st64_b32 v4, v3, v2 offset1:32
	s_or_b64 s[4:5], s[24:25], s[4:5]
	v_add_u32_e32 v4, 0x1000, v4
	s_andn2_b64 exec, exec, s[4:5]
	s_cbranch_execnz .LBB184_7
; %bb.8:
	s_or_b64 exec, exec, s[4:5]
	s_waitcnt lgkmcnt(0)
	s_barrier
	s_load_dword s4, s[20:21], 0x0
	s_mov_b32 s5, 0
	v_lshrrev_b32_e32 v12, 5, v0
	s_waitcnt lgkmcnt(0)
	s_add_i32 s4, s4, s6
	s_lshl_b64 s[4:5], s[4:5], 2
	s_add_u32 s4, s22, s4
	s_addc_u32 s5, s23, s5
	s_load_dword s76, s[4:5], 0x0
	s_and_b64 vcc, exec, s[2:3]
	s_cbranch_vccz .LBB184_28
; %bb.9:
	s_waitcnt lgkmcnt(0)
	s_ashr_i32 s77, s76, 31
	s_lshl_b64 s[2:3], s[76:77], 3
	s_add_u32 s2, s8, s2
	s_addc_u32 s3, s9, s3
	s_load_dwordx4 s[4:7], s[2:3], 0x0
	v_subrev_co_u32_e32 v2, vcc, s68, v12
	v_subb_co_u32_e64 v3, s[2:3], 0, 0, vcc
	s_waitcnt lgkmcnt(0)
	s_sub_u32 s2, s6, s68
	v_mov_b32_e32 v4, s5
	v_add_co_u32_e32 v2, vcc, s4, v2
	s_subb_u32 s3, s7, 0
	v_addc_co_u32_e32 v3, vcc, v4, v3, vcc
	v_cmp_gt_i64_e32 vcc, s[2:3], v[2:3]
	s_and_saveexec_b64 s[4:5], vcc
	s_cbranch_execz .LBB184_27
; %bb.10:
	v_and_b32_e32 v4, 31, v0
	v_subrev_co_u32_e32 v14, vcc, s69, v4
	s_mov_b32 s8, 0
	v_subb_co_u32_e64 v15, s[6:7], 0, 0, vcc
	s_mov_b32 s36, s69
	s_mov_b64 s[6:7], 0
	v_mov_b32_e32 v16, s11
	v_mov_b32_e32 v17, s15
	v_mov_b32_e32 v18, s8
	s_movk_i32 s11, 0x89
	s_branch .LBB184_12
.LBB184_11:                             ;   in Loop: Header=BB184_12 Depth=1
	s_or_b64 exec, exec, s[8:9]
	v_add_co_u32_e32 v2, vcc, 32, v2
	v_addc_co_u32_e32 v3, vcc, 0, v3, vcc
	v_cmp_le_i64_e32 vcc, s[2:3], v[2:3]
	s_or_b64 s[6:7], vcc, s[6:7]
	s_andn2_b64 exec, exec, s[6:7]
	s_cbranch_execz .LBB184_27
.LBB184_12:                             ; =>This Loop Header: Depth=1
                                        ;     Child Loop BB184_15 Depth 2
                                        ;       Child Loop BB184_17 Depth 3
	v_lshlrev_b64 v[8:9], 2, v[2:3]
	v_add_co_u32_e32 v4, vcc, s10, v8
	v_addc_co_u32_e32 v5, vcc, v16, v9, vcc
	global_load_dword v4, v[4:5], off
	s_waitcnt vmcnt(0)
	v_subrev_u32_e32 v4, s68, v4
	v_ashrrev_i32_e32 v5, 31, v4
	v_lshlrev_b64 v[4:5], 3, v[4:5]
	v_add_co_u32_e32 v4, vcc, s14, v4
	v_addc_co_u32_e32 v5, vcc, v17, v5, vcc
	global_load_dwordx4 v[20:23], v[4:5], off
	s_waitcnt vmcnt(0)
	v_subrev_co_u32_e32 v4, vcc, s36, v22
	v_subb_co_u32_e32 v5, vcc, v23, v18, vcc
	v_add_co_u32_e32 v6, vcc, v20, v14
	v_addc_co_u32_e32 v7, vcc, v21, v15, vcc
	v_cmp_lt_i64_e32 vcc, v[6:7], v[4:5]
	s_and_saveexec_b64 s[8:9], vcc
	s_cbranch_execz .LBB184_11
; %bb.13:                               ;   in Loop: Header=BB184_12 Depth=1
	v_mov_b32_e32 v19, s13
	v_add_co_u32_e32 v8, vcc, s12, v8
	v_addc_co_u32_e32 v9, vcc, v19, v9, vcc
	global_load_dword v8, v[8:9], off
	s_mov_b64 s[20:21], 0
	s_waitcnt vmcnt(0)
	v_mul_f32_e32 v8, v13, v8
	s_branch .LBB184_15
.LBB184_14:                             ;   in Loop: Header=BB184_15 Depth=2
	s_or_b64 exec, exec, s[22:23]
	v_add_co_u32_e32 v6, vcc, 32, v6
	v_addc_co_u32_e32 v7, vcc, 0, v7, vcc
	v_cmp_ge_i64_e32 vcc, v[6:7], v[4:5]
	s_or_b64 s[20:21], vcc, s[20:21]
	s_andn2_b64 exec, exec, s[20:21]
	s_cbranch_execz .LBB184_11
.LBB184_15:                             ;   Parent Loop BB184_12 Depth=1
                                        ; =>  This Loop Header: Depth=2
                                        ;       Child Loop BB184_17 Depth 3
	v_lshlrev_b64 v[20:21], 2, v[6:7]
	v_mov_b32_e32 v9, s17
	v_add_co_u32_e32 v22, vcc, s16, v20
	v_addc_co_u32_e32 v23, vcc, v9, v21, vcc
	global_load_dword v9, v[22:23], off
	v_mov_b32_e32 v19, s19
	v_add_co_u32_e32 v20, vcc, s18, v20
	v_addc_co_u32_e32 v21, vcc, v19, v21, vcc
	global_load_dword v19, v[20:21], off
	s_mov_b64 s[22:23], 0
	s_waitcnt vmcnt(1)
	v_subrev_u32_e32 v9, s69, v9
	v_mul_lo_u32 v20, v9, s11
	v_and_b32_e32 v20, 0x7ff, v20
	s_waitcnt vmcnt(0)
	v_mul_f32_e32 v19, v8, v19
	s_branch .LBB184_17
.LBB184_16:                             ;   in Loop: Header=BB184_17 Depth=3
	s_or_b64 exec, exec, s[24:25]
	s_xor_b64 s[24:25], s[26:27], -1
	s_and_b64 s[24:25], exec, s[24:25]
	s_or_b64 s[22:23], s[24:25], s[22:23]
	s_andn2_b64 exec, exec, s[22:23]
	s_cbranch_execz .LBB184_14
.LBB184_17:                             ;   Parent Loop BB184_12 Depth=1
                                        ;     Parent Loop BB184_15 Depth=2
                                        ; =>    This Inner Loop Header: Depth=3
	v_lshl_add_u32 v21, v20, 2, 0
	ds_read_b32 v22, v21
                                        ; implicit-def: $sgpr26_sgpr27
	s_waitcnt lgkmcnt(0)
	v_cmp_ne_u32_e32 vcc, v22, v9
	s_and_saveexec_b64 s[24:25], vcc
	s_xor_b64 s[24:25], exec, s[24:25]
	s_cbranch_execz .LBB184_25
; %bb.18:                               ;   in Loop: Header=BB184_17 Depth=3
	v_cmp_ne_u32_e32 vcc, s33, v22
                                        ; implicit-def: $sgpr26_sgpr27
	s_and_saveexec_b64 s[28:29], vcc
	s_xor_b64 s[28:29], exec, s[28:29]
; %bb.19:                               ;   in Loop: Header=BB184_17 Depth=3
	v_add_u32_e32 v20, 1, v20
	v_and_b32_e32 v20, 0x7ff, v20
	s_mov_b64 s[26:27], -1
                                        ; implicit-def: $vgpr21
; %bb.20:                               ;   in Loop: Header=BB184_17 Depth=3
	s_andn2_saveexec_b64 s[28:29], s[28:29]
	s_cbranch_execz .LBB184_24
; %bb.21:                               ;   in Loop: Header=BB184_17 Depth=3
	v_mov_b32_e32 v22, s33
	ds_cmpst_rtn_b32 v22, v21, v22, v9
	s_mov_b64 s[30:31], -1
	s_waitcnt lgkmcnt(0)
	v_cmp_eq_u32_e32 vcc, s33, v22
	s_and_saveexec_b64 s[34:35], vcc
	s_cbranch_execz .LBB184_23
; %bb.22:                               ;   in Loop: Header=BB184_17 Depth=3
	ds_add_f32 v21, v19 offset:8192
	s_xor_b64 s[30:31], exec, -1
.LBB184_23:                             ;   in Loop: Header=BB184_17 Depth=3
	s_or_b64 exec, exec, s[34:35]
	s_andn2_b64 s[26:27], s[26:27], exec
	s_and_b64 s[30:31], s[30:31], exec
	s_or_b64 s[26:27], s[26:27], s[30:31]
.LBB184_24:                             ;   in Loop: Header=BB184_17 Depth=3
	s_or_b64 exec, exec, s[28:29]
	s_and_b64 s[26:27], s[26:27], exec
                                        ; implicit-def: $vgpr21
.LBB184_25:                             ;   in Loop: Header=BB184_17 Depth=3
	s_andn2_saveexec_b64 s[24:25], s[24:25]
	s_cbranch_execz .LBB184_16
; %bb.26:                               ;   in Loop: Header=BB184_17 Depth=3
	ds_add_f32 v21, v19 offset:8192
	s_andn2_b64 s[26:27], s[26:27], exec
	s_branch .LBB184_16
.LBB184_27:
	s_or_b64 exec, exec, s[4:5]
.LBB184_28:
	s_andn2_b64 vcc, exec, s[0:1]
	s_cbranch_vccnz .LBB184_45
; %bb.29:
	s_waitcnt lgkmcnt(0)
	s_ashr_i32 s77, s76, 31
	s_lshl_b64 s[0:1], s[76:77], 3
	s_add_u32 s0, s60, s0
	s_addc_u32 s1, s61, s1
	s_load_dwordx4 s[4:7], s[0:1], 0x0
	v_subrev_co_u32_e32 v2, vcc, s71, v0
	v_subb_co_u32_e64 v3, s[0:1], 0, 0, vcc
	s_waitcnt lgkmcnt(0)
	s_sub_u32 s0, s6, s71
	v_mov_b32_e32 v4, s5
	v_add_co_u32_e32 v2, vcc, s4, v2
	s_subb_u32 s1, s7, 0
	v_addc_co_u32_e32 v3, vcc, v4, v3, vcc
	v_cmp_gt_i64_e32 vcc, s[0:1], v[2:3]
	s_and_saveexec_b64 s[2:3], vcc
	s_cbranch_execz .LBB184_44
; %bb.30:
	s_mov_b64 s[4:5], 0
	v_mov_b32_e32 v4, s63
	v_mov_b32_e32 v5, s65
	s_movk_i32 s18, 0x89
	s_branch .LBB184_32
.LBB184_31:                             ;   in Loop: Header=BB184_32 Depth=1
	s_or_b64 exec, exec, s[6:7]
	v_add_co_u32_e32 v2, vcc, 0x400, v2
	v_addc_co_u32_e32 v3, vcc, 0, v3, vcc
	v_cmp_le_i64_e32 vcc, s[0:1], v[2:3]
	s_or_b64 s[4:5], vcc, s[4:5]
	s_andn2_b64 exec, exec, s[4:5]
	s_cbranch_execz .LBB184_44
.LBB184_32:                             ; =>This Loop Header: Depth=1
                                        ;     Child Loop BB184_34 Depth 2
	v_lshlrev_b64 v[6:7], 2, v[2:3]
	v_add_co_u32_e32 v8, vcc, s62, v6
	v_addc_co_u32_e32 v9, vcc, v4, v7, vcc
	global_load_dword v8, v[8:9], off
	v_add_co_u32_e32 v6, vcc, s64, v6
	v_addc_co_u32_e32 v7, vcc, v5, v7, vcc
	global_load_dword v7, v[6:7], off
	s_mov_b64 s[6:7], 0
	s_waitcnt vmcnt(1)
	v_subrev_u32_e32 v6, s71, v8
	v_mul_lo_u32 v8, v6, s18
	v_and_b32_e32 v8, 0x7ff, v8
	s_waitcnt vmcnt(0)
	v_mul_f32_e32 v7, v11, v7
	s_branch .LBB184_34
.LBB184_33:                             ;   in Loop: Header=BB184_34 Depth=2
	s_or_b64 exec, exec, s[8:9]
	s_xor_b64 s[8:9], s[10:11], -1
	s_and_b64 s[8:9], exec, s[8:9]
	s_or_b64 s[6:7], s[8:9], s[6:7]
	s_andn2_b64 exec, exec, s[6:7]
	s_cbranch_execz .LBB184_31
.LBB184_34:                             ;   Parent Loop BB184_32 Depth=1
                                        ; =>  This Inner Loop Header: Depth=2
	v_lshl_add_u32 v9, v8, 2, 0
	ds_read_b32 v13, v9
                                        ; implicit-def: $sgpr10_sgpr11
	s_waitcnt lgkmcnt(0)
	v_cmp_ne_u32_e32 vcc, v13, v6
	s_and_saveexec_b64 s[8:9], vcc
	s_xor_b64 s[8:9], exec, s[8:9]
	s_cbranch_execz .LBB184_42
; %bb.35:                               ;   in Loop: Header=BB184_34 Depth=2
	v_cmp_ne_u32_e32 vcc, s33, v13
                                        ; implicit-def: $sgpr10_sgpr11
	s_and_saveexec_b64 s[12:13], vcc
	s_xor_b64 s[12:13], exec, s[12:13]
; %bb.36:                               ;   in Loop: Header=BB184_34 Depth=2
	v_add_u32_e32 v8, 1, v8
	v_and_b32_e32 v8, 0x7ff, v8
	s_mov_b64 s[10:11], -1
                                        ; implicit-def: $vgpr9
; %bb.37:                               ;   in Loop: Header=BB184_34 Depth=2
	s_andn2_saveexec_b64 s[12:13], s[12:13]
	s_cbranch_execz .LBB184_41
; %bb.38:                               ;   in Loop: Header=BB184_34 Depth=2
	v_mov_b32_e32 v13, s33
	ds_cmpst_rtn_b32 v13, v9, v13, v6
	s_mov_b64 s[14:15], -1
	s_waitcnt lgkmcnt(0)
	v_cmp_eq_u32_e32 vcc, s33, v13
	s_and_saveexec_b64 s[16:17], vcc
	s_cbranch_execz .LBB184_40
; %bb.39:                               ;   in Loop: Header=BB184_34 Depth=2
	ds_add_f32 v9, v7 offset:8192
	s_xor_b64 s[14:15], exec, -1
.LBB184_40:                             ;   in Loop: Header=BB184_34 Depth=2
	s_or_b64 exec, exec, s[16:17]
	s_andn2_b64 s[10:11], s[10:11], exec
	s_and_b64 s[14:15], s[14:15], exec
	s_or_b64 s[10:11], s[10:11], s[14:15]
.LBB184_41:                             ;   in Loop: Header=BB184_34 Depth=2
	s_or_b64 exec, exec, s[12:13]
	s_and_b64 s[10:11], s[10:11], exec
                                        ; implicit-def: $vgpr9
.LBB184_42:                             ;   in Loop: Header=BB184_34 Depth=2
	s_andn2_saveexec_b64 s[8:9], s[8:9]
	s_cbranch_execz .LBB184_33
; %bb.43:                               ;   in Loop: Header=BB184_34 Depth=2
	ds_add_f32 v9, v7 offset:8192
	s_andn2_b64 s[10:11], s[10:11], exec
	s_branch .LBB184_33
.LBB184_44:
	s_or_b64 exec, exec, s[2:3]
.LBB184_45:
	v_mbcnt_lo_u32_b32 v2, -1, 0
	v_mbcnt_hi_u32_b32 v2, -1, v2
	v_sub_u32_e32 v2, 63, v2
	s_movk_i32 s0, 0x3ff
	s_movk_i32 s6, 0x5f
	;; [unrolled: 1-line block ×30, first 2 shown]
	v_mov_b32_e32 v6, 0
	v_lshrrev_b64 v[2:3], v2, -1
	v_lshl_add_u32 v7, v12, 2, 0
	v_cmp_eq_u32_e64 s[0:1], s0, v0
	v_cmp_lt_u32_e64 s[2:3], 31, v0
	v_cmp_lt_u32_e64 s[4:5], 63, v0
	;; [unrolled: 1-line block ×31, first 2 shown]
	s_mov_b64 s[68:69], 0
	v_mov_b32_e32 v8, 0
	s_waitcnt lgkmcnt(0)
	s_barrier
	s_branch .LBB184_47
.LBB184_46:                             ;   in Loop: Header=BB184_47 Depth=1
	s_or_b64 exec, exec, s[78:79]
	s_waitcnt lgkmcnt(0)
	s_barrier
	ds_read_b32 v4, v6 offset:16508
	v_add_co_u32_e32 v1, vcc, 0x400, v1
	s_xor_b64 s[78:79], vcc, -1
	s_and_b64 s[78:79], exec, s[78:79]
	s_waitcnt lgkmcnt(0)
	v_add_u32_e32 v8, v4, v8
	s_or_b64 s[68:69], s[78:79], s[68:69]
	v_add_u32_e32 v10, 0x1000, v10
	s_andn2_b64 exec, exec, s[68:69]
	s_cbranch_execz .LBB184_113
.LBB184_47:                             ; =>This Inner Loop Header: Depth=1
	ds_read2st64_b32 v[4:5], v10 offset1:32
	s_waitcnt lgkmcnt(0)
	s_barrier
	v_cmp_gt_i32_e32 vcc, s33, v4
	v_and_b32_e32 v11, vcc_lo, v2
	s_bcnt1_i32_b64 s71, vcc
	v_and_b32_e32 v9, vcc_hi, v3
	v_bcnt_u32_b32 v11, v11, 0
	v_bcnt_u32_b32 v9, v9, v11
	v_mov_b32_e32 v11, s71
	ds_write_b32 v7, v11 offset:16384
	s_waitcnt lgkmcnt(0)
	s_barrier
	s_and_saveexec_b64 s[78:79], s[2:3]
	s_cbranch_execnz .LBB184_80
; %bb.48:                               ;   in Loop: Header=BB184_47 Depth=1
	s_or_b64 exec, exec, s[78:79]
	s_and_saveexec_b64 s[78:79], s[4:5]
	s_cbranch_execnz .LBB184_81
.LBB184_49:                             ;   in Loop: Header=BB184_47 Depth=1
	s_or_b64 exec, exec, s[78:79]
	s_and_saveexec_b64 s[78:79], s[6:7]
	s_cbranch_execnz .LBB184_82
.LBB184_50:                             ;   in Loop: Header=BB184_47 Depth=1
	s_or_b64 exec, exec, s[78:79]
	s_and_saveexec_b64 s[78:79], s[8:9]
	s_cbranch_execnz .LBB184_83
.LBB184_51:                             ;   in Loop: Header=BB184_47 Depth=1
	s_or_b64 exec, exec, s[78:79]
	s_and_saveexec_b64 s[78:79], s[10:11]
	s_cbranch_execnz .LBB184_84
.LBB184_52:                             ;   in Loop: Header=BB184_47 Depth=1
	s_or_b64 exec, exec, s[78:79]
	s_and_saveexec_b64 s[78:79], s[12:13]
	s_cbranch_execnz .LBB184_85
.LBB184_53:                             ;   in Loop: Header=BB184_47 Depth=1
	s_or_b64 exec, exec, s[78:79]
	s_and_saveexec_b64 s[78:79], s[14:15]
	s_cbranch_execnz .LBB184_86
.LBB184_54:                             ;   in Loop: Header=BB184_47 Depth=1
	s_or_b64 exec, exec, s[78:79]
	s_and_saveexec_b64 s[78:79], s[16:17]
	s_cbranch_execnz .LBB184_87
.LBB184_55:                             ;   in Loop: Header=BB184_47 Depth=1
	s_or_b64 exec, exec, s[78:79]
	s_and_saveexec_b64 s[78:79], s[18:19]
	s_cbranch_execnz .LBB184_88
.LBB184_56:                             ;   in Loop: Header=BB184_47 Depth=1
	s_or_b64 exec, exec, s[78:79]
	s_and_saveexec_b64 s[78:79], s[20:21]
	s_cbranch_execnz .LBB184_89
.LBB184_57:                             ;   in Loop: Header=BB184_47 Depth=1
	s_or_b64 exec, exec, s[78:79]
	s_and_saveexec_b64 s[78:79], s[22:23]
	s_cbranch_execnz .LBB184_90
.LBB184_58:                             ;   in Loop: Header=BB184_47 Depth=1
	s_or_b64 exec, exec, s[78:79]
	s_and_saveexec_b64 s[78:79], s[24:25]
	s_cbranch_execnz .LBB184_91
.LBB184_59:                             ;   in Loop: Header=BB184_47 Depth=1
	s_or_b64 exec, exec, s[78:79]
	s_and_saveexec_b64 s[78:79], s[26:27]
	s_cbranch_execnz .LBB184_92
.LBB184_60:                             ;   in Loop: Header=BB184_47 Depth=1
	s_or_b64 exec, exec, s[78:79]
	s_and_saveexec_b64 s[78:79], s[28:29]
	s_cbranch_execnz .LBB184_93
.LBB184_61:                             ;   in Loop: Header=BB184_47 Depth=1
	s_or_b64 exec, exec, s[78:79]
	s_and_saveexec_b64 s[78:79], s[30:31]
	s_cbranch_execnz .LBB184_94
.LBB184_62:                             ;   in Loop: Header=BB184_47 Depth=1
	s_or_b64 exec, exec, s[78:79]
	s_and_saveexec_b64 s[78:79], s[34:35]
	s_cbranch_execnz .LBB184_95
.LBB184_63:                             ;   in Loop: Header=BB184_47 Depth=1
	s_or_b64 exec, exec, s[78:79]
	s_and_saveexec_b64 s[78:79], s[36:37]
	s_cbranch_execnz .LBB184_96
.LBB184_64:                             ;   in Loop: Header=BB184_47 Depth=1
	s_or_b64 exec, exec, s[78:79]
	s_and_saveexec_b64 s[78:79], s[38:39]
	s_cbranch_execnz .LBB184_97
.LBB184_65:                             ;   in Loop: Header=BB184_47 Depth=1
	s_or_b64 exec, exec, s[78:79]
	s_and_saveexec_b64 s[78:79], s[40:41]
	s_cbranch_execnz .LBB184_98
.LBB184_66:                             ;   in Loop: Header=BB184_47 Depth=1
	s_or_b64 exec, exec, s[78:79]
	s_and_saveexec_b64 s[78:79], s[42:43]
	s_cbranch_execnz .LBB184_99
.LBB184_67:                             ;   in Loop: Header=BB184_47 Depth=1
	s_or_b64 exec, exec, s[78:79]
	s_and_saveexec_b64 s[78:79], s[44:45]
	s_cbranch_execnz .LBB184_100
.LBB184_68:                             ;   in Loop: Header=BB184_47 Depth=1
	s_or_b64 exec, exec, s[78:79]
	s_and_saveexec_b64 s[78:79], s[46:47]
	s_cbranch_execnz .LBB184_101
.LBB184_69:                             ;   in Loop: Header=BB184_47 Depth=1
	s_or_b64 exec, exec, s[78:79]
	s_and_saveexec_b64 s[78:79], s[48:49]
	s_cbranch_execnz .LBB184_102
.LBB184_70:                             ;   in Loop: Header=BB184_47 Depth=1
	s_or_b64 exec, exec, s[78:79]
	s_and_saveexec_b64 s[78:79], s[50:51]
	s_cbranch_execnz .LBB184_103
.LBB184_71:                             ;   in Loop: Header=BB184_47 Depth=1
	s_or_b64 exec, exec, s[78:79]
	s_and_saveexec_b64 s[78:79], s[52:53]
	s_cbranch_execnz .LBB184_104
.LBB184_72:                             ;   in Loop: Header=BB184_47 Depth=1
	s_or_b64 exec, exec, s[78:79]
	s_and_saveexec_b64 s[78:79], s[54:55]
	s_cbranch_execnz .LBB184_105
.LBB184_73:                             ;   in Loop: Header=BB184_47 Depth=1
	s_or_b64 exec, exec, s[78:79]
	s_and_saveexec_b64 s[78:79], s[56:57]
	s_cbranch_execnz .LBB184_106
.LBB184_74:                             ;   in Loop: Header=BB184_47 Depth=1
	s_or_b64 exec, exec, s[78:79]
	s_and_saveexec_b64 s[78:79], s[58:59]
	s_cbranch_execnz .LBB184_107
.LBB184_75:                             ;   in Loop: Header=BB184_47 Depth=1
	s_or_b64 exec, exec, s[78:79]
	s_and_saveexec_b64 s[78:79], s[60:61]
	s_cbranch_execnz .LBB184_108
.LBB184_76:                             ;   in Loop: Header=BB184_47 Depth=1
	s_or_b64 exec, exec, s[78:79]
	s_and_saveexec_b64 s[78:79], s[62:63]
	s_cbranch_execnz .LBB184_109
.LBB184_77:                             ;   in Loop: Header=BB184_47 Depth=1
	s_or_b64 exec, exec, s[78:79]
	s_and_saveexec_b64 s[78:79], s[64:65]
	s_cbranch_execnz .LBB184_110
.LBB184_78:                             ;   in Loop: Header=BB184_47 Depth=1
	s_or_b64 exec, exec, s[78:79]
	s_and_saveexec_b64 s[78:79], vcc
	s_cbranch_execnz .LBB184_111
.LBB184_79:                             ;   in Loop: Header=BB184_47 Depth=1
	s_or_b64 exec, exec, s[78:79]
	s_and_saveexec_b64 s[78:79], s[0:1]
	s_cbranch_execz .LBB184_46
	s_branch .LBB184_112
.LBB184_80:                             ;   in Loop: Header=BB184_47 Depth=1
	ds_read_b32 v11, v6 offset:16384
	s_waitcnt lgkmcnt(0)
	v_add_u32_e32 v9, v11, v9
	s_or_b64 exec, exec, s[78:79]
	s_and_saveexec_b64 s[78:79], s[4:5]
	s_cbranch_execz .LBB184_49
.LBB184_81:                             ;   in Loop: Header=BB184_47 Depth=1
	ds_read_b32 v11, v6 offset:16388
	s_waitcnt lgkmcnt(0)
	v_add_u32_e32 v9, v11, v9
	s_or_b64 exec, exec, s[78:79]
	s_and_saveexec_b64 s[78:79], s[6:7]
	s_cbranch_execz .LBB184_50
.LBB184_82:                             ;   in Loop: Header=BB184_47 Depth=1
	ds_read_b32 v11, v6 offset:16392
	s_waitcnt lgkmcnt(0)
	v_add_u32_e32 v9, v11, v9
	s_or_b64 exec, exec, s[78:79]
	s_and_saveexec_b64 s[78:79], s[8:9]
	s_cbranch_execz .LBB184_51
.LBB184_83:                             ;   in Loop: Header=BB184_47 Depth=1
	ds_read_b32 v11, v6 offset:16396
	s_waitcnt lgkmcnt(0)
	v_add_u32_e32 v9, v11, v9
	s_or_b64 exec, exec, s[78:79]
	s_and_saveexec_b64 s[78:79], s[10:11]
	s_cbranch_execz .LBB184_52
.LBB184_84:                             ;   in Loop: Header=BB184_47 Depth=1
	ds_read_b32 v11, v6 offset:16400
	s_waitcnt lgkmcnt(0)
	v_add_u32_e32 v9, v11, v9
	s_or_b64 exec, exec, s[78:79]
	s_and_saveexec_b64 s[78:79], s[12:13]
	s_cbranch_execz .LBB184_53
.LBB184_85:                             ;   in Loop: Header=BB184_47 Depth=1
	ds_read_b32 v11, v6 offset:16404
	s_waitcnt lgkmcnt(0)
	v_add_u32_e32 v9, v11, v9
	s_or_b64 exec, exec, s[78:79]
	s_and_saveexec_b64 s[78:79], s[14:15]
	s_cbranch_execz .LBB184_54
.LBB184_86:                             ;   in Loop: Header=BB184_47 Depth=1
	ds_read_b32 v11, v6 offset:16408
	s_waitcnt lgkmcnt(0)
	v_add_u32_e32 v9, v11, v9
	s_or_b64 exec, exec, s[78:79]
	s_and_saveexec_b64 s[78:79], s[16:17]
	s_cbranch_execz .LBB184_55
.LBB184_87:                             ;   in Loop: Header=BB184_47 Depth=1
	ds_read_b32 v11, v6 offset:16412
	s_waitcnt lgkmcnt(0)
	v_add_u32_e32 v9, v11, v9
	s_or_b64 exec, exec, s[78:79]
	s_and_saveexec_b64 s[78:79], s[18:19]
	s_cbranch_execz .LBB184_56
.LBB184_88:                             ;   in Loop: Header=BB184_47 Depth=1
	ds_read_b32 v11, v6 offset:16416
	s_waitcnt lgkmcnt(0)
	v_add_u32_e32 v9, v11, v9
	s_or_b64 exec, exec, s[78:79]
	s_and_saveexec_b64 s[78:79], s[20:21]
	s_cbranch_execz .LBB184_57
.LBB184_89:                             ;   in Loop: Header=BB184_47 Depth=1
	ds_read_b32 v11, v6 offset:16420
	s_waitcnt lgkmcnt(0)
	v_add_u32_e32 v9, v11, v9
	s_or_b64 exec, exec, s[78:79]
	s_and_saveexec_b64 s[78:79], s[22:23]
	s_cbranch_execz .LBB184_58
.LBB184_90:                             ;   in Loop: Header=BB184_47 Depth=1
	ds_read_b32 v11, v6 offset:16424
	s_waitcnt lgkmcnt(0)
	v_add_u32_e32 v9, v11, v9
	s_or_b64 exec, exec, s[78:79]
	s_and_saveexec_b64 s[78:79], s[24:25]
	s_cbranch_execz .LBB184_59
.LBB184_91:                             ;   in Loop: Header=BB184_47 Depth=1
	ds_read_b32 v11, v6 offset:16428
	s_waitcnt lgkmcnt(0)
	v_add_u32_e32 v9, v11, v9
	s_or_b64 exec, exec, s[78:79]
	s_and_saveexec_b64 s[78:79], s[26:27]
	s_cbranch_execz .LBB184_60
.LBB184_92:                             ;   in Loop: Header=BB184_47 Depth=1
	ds_read_b32 v11, v6 offset:16432
	s_waitcnt lgkmcnt(0)
	v_add_u32_e32 v9, v11, v9
	s_or_b64 exec, exec, s[78:79]
	s_and_saveexec_b64 s[78:79], s[28:29]
	s_cbranch_execz .LBB184_61
.LBB184_93:                             ;   in Loop: Header=BB184_47 Depth=1
	ds_read_b32 v11, v6 offset:16436
	s_waitcnt lgkmcnt(0)
	v_add_u32_e32 v9, v11, v9
	s_or_b64 exec, exec, s[78:79]
	s_and_saveexec_b64 s[78:79], s[30:31]
	s_cbranch_execz .LBB184_62
.LBB184_94:                             ;   in Loop: Header=BB184_47 Depth=1
	ds_read_b32 v11, v6 offset:16440
	s_waitcnt lgkmcnt(0)
	v_add_u32_e32 v9, v11, v9
	s_or_b64 exec, exec, s[78:79]
	s_and_saveexec_b64 s[78:79], s[34:35]
	s_cbranch_execz .LBB184_63
.LBB184_95:                             ;   in Loop: Header=BB184_47 Depth=1
	ds_read_b32 v11, v6 offset:16444
	s_waitcnt lgkmcnt(0)
	v_add_u32_e32 v9, v11, v9
	s_or_b64 exec, exec, s[78:79]
	s_and_saveexec_b64 s[78:79], s[36:37]
	s_cbranch_execz .LBB184_64
.LBB184_96:                             ;   in Loop: Header=BB184_47 Depth=1
	ds_read_b32 v11, v6 offset:16448
	s_waitcnt lgkmcnt(0)
	v_add_u32_e32 v9, v11, v9
	s_or_b64 exec, exec, s[78:79]
	s_and_saveexec_b64 s[78:79], s[38:39]
	s_cbranch_execz .LBB184_65
.LBB184_97:                             ;   in Loop: Header=BB184_47 Depth=1
	ds_read_b32 v11, v6 offset:16452
	s_waitcnt lgkmcnt(0)
	v_add_u32_e32 v9, v11, v9
	s_or_b64 exec, exec, s[78:79]
	s_and_saveexec_b64 s[78:79], s[40:41]
	s_cbranch_execz .LBB184_66
.LBB184_98:                             ;   in Loop: Header=BB184_47 Depth=1
	ds_read_b32 v11, v6 offset:16456
	s_waitcnt lgkmcnt(0)
	v_add_u32_e32 v9, v11, v9
	s_or_b64 exec, exec, s[78:79]
	s_and_saveexec_b64 s[78:79], s[42:43]
	s_cbranch_execz .LBB184_67
.LBB184_99:                             ;   in Loop: Header=BB184_47 Depth=1
	ds_read_b32 v11, v6 offset:16460
	s_waitcnt lgkmcnt(0)
	v_add_u32_e32 v9, v11, v9
	s_or_b64 exec, exec, s[78:79]
	s_and_saveexec_b64 s[78:79], s[44:45]
	s_cbranch_execz .LBB184_68
.LBB184_100:                            ;   in Loop: Header=BB184_47 Depth=1
	ds_read_b32 v11, v6 offset:16464
	s_waitcnt lgkmcnt(0)
	v_add_u32_e32 v9, v11, v9
	s_or_b64 exec, exec, s[78:79]
	s_and_saveexec_b64 s[78:79], s[46:47]
	s_cbranch_execz .LBB184_69
.LBB184_101:                            ;   in Loop: Header=BB184_47 Depth=1
	ds_read_b32 v11, v6 offset:16468
	s_waitcnt lgkmcnt(0)
	v_add_u32_e32 v9, v11, v9
	s_or_b64 exec, exec, s[78:79]
	s_and_saveexec_b64 s[78:79], s[48:49]
	s_cbranch_execz .LBB184_70
.LBB184_102:                            ;   in Loop: Header=BB184_47 Depth=1
	ds_read_b32 v11, v6 offset:16472
	s_waitcnt lgkmcnt(0)
	v_add_u32_e32 v9, v11, v9
	s_or_b64 exec, exec, s[78:79]
	s_and_saveexec_b64 s[78:79], s[50:51]
	s_cbranch_execz .LBB184_71
.LBB184_103:                            ;   in Loop: Header=BB184_47 Depth=1
	ds_read_b32 v11, v6 offset:16476
	s_waitcnt lgkmcnt(0)
	v_add_u32_e32 v9, v11, v9
	s_or_b64 exec, exec, s[78:79]
	s_and_saveexec_b64 s[78:79], s[52:53]
	s_cbranch_execz .LBB184_72
.LBB184_104:                            ;   in Loop: Header=BB184_47 Depth=1
	ds_read_b32 v11, v6 offset:16480
	s_waitcnt lgkmcnt(0)
	v_add_u32_e32 v9, v11, v9
	s_or_b64 exec, exec, s[78:79]
	s_and_saveexec_b64 s[78:79], s[54:55]
	s_cbranch_execz .LBB184_73
.LBB184_105:                            ;   in Loop: Header=BB184_47 Depth=1
	ds_read_b32 v11, v6 offset:16484
	s_waitcnt lgkmcnt(0)
	v_add_u32_e32 v9, v11, v9
	s_or_b64 exec, exec, s[78:79]
	s_and_saveexec_b64 s[78:79], s[56:57]
	s_cbranch_execz .LBB184_74
.LBB184_106:                            ;   in Loop: Header=BB184_47 Depth=1
	ds_read_b32 v11, v6 offset:16488
	s_waitcnt lgkmcnt(0)
	v_add_u32_e32 v9, v11, v9
	s_or_b64 exec, exec, s[78:79]
	s_and_saveexec_b64 s[78:79], s[58:59]
	s_cbranch_execz .LBB184_75
.LBB184_107:                            ;   in Loop: Header=BB184_47 Depth=1
	ds_read_b32 v11, v6 offset:16492
	s_waitcnt lgkmcnt(0)
	v_add_u32_e32 v9, v11, v9
	s_or_b64 exec, exec, s[78:79]
	s_and_saveexec_b64 s[78:79], s[60:61]
	s_cbranch_execz .LBB184_76
.LBB184_108:                            ;   in Loop: Header=BB184_47 Depth=1
	ds_read_b32 v11, v6 offset:16496
	s_waitcnt lgkmcnt(0)
	v_add_u32_e32 v9, v11, v9
	s_or_b64 exec, exec, s[78:79]
	s_and_saveexec_b64 s[78:79], s[62:63]
	s_cbranch_execz .LBB184_77
.LBB184_109:                            ;   in Loop: Header=BB184_47 Depth=1
	ds_read_b32 v11, v6 offset:16500
	s_waitcnt lgkmcnt(0)
	v_add_u32_e32 v9, v11, v9
	s_or_b64 exec, exec, s[78:79]
	s_and_saveexec_b64 s[78:79], s[64:65]
	s_cbranch_execz .LBB184_78
.LBB184_110:                            ;   in Loop: Header=BB184_47 Depth=1
	ds_read_b32 v11, v6 offset:16504
	s_waitcnt lgkmcnt(0)
	v_add_u32_e32 v9, v11, v9
	s_or_b64 exec, exec, s[78:79]
	s_and_saveexec_b64 s[78:79], vcc
	s_cbranch_execz .LBB184_79
.LBB184_111:                            ;   in Loop: Header=BB184_47 Depth=1
	v_add3_u32 v11, v8, -1, v9
	v_lshl_add_u32 v11, v11, 2, 0
	ds_write2st64_b32 v11, v4, v5 offset1:32
	s_or_b64 exec, exec, s[78:79]
	s_and_saveexec_b64 s[78:79], s[0:1]
	s_cbranch_execz .LBB184_46
.LBB184_112:                            ;   in Loop: Header=BB184_47 Depth=1
	ds_write_b32 v6, v9 offset:16508
	s_branch .LBB184_46
.LBB184_113:
	s_or_b64 exec, exec, s[68:69]
	s_ashr_i32 s77, s76, 31
	s_lshl_b64 s[0:1], s[76:77], 3
	s_add_u32 s0, s66, s0
	s_addc_u32 s1, s67, s1
	s_load_dwordx4 s[0:3], s[0:1], 0x0
	s_waitcnt lgkmcnt(0)
	s_sub_i32 s8, s2, s0
	v_cmp_gt_i32_e32 vcc, s8, v0
	s_and_saveexec_b64 s[4:5], vcc
	s_cbranch_execz .LBB184_123
; %bb.114:
	s_sub_u32 s4, s0, s70
	s_subb_u32 s5, s1, 0
	s_and_b32 s9, s8, 7
	s_sub_i32 s0, s0, s2
	s_cmp_lt_u32 s0, -7
	s_cselect_b64 s[0:1], -1, 0
	s_and_b32 s10, s8, -8
	s_cmp_lg_u32 s9, 0
	v_cndmask_b32_e64 v1, 0, 1, s[0:1]
	s_cselect_b64 s[2:3], -1, 0
	v_cmp_ne_u32_e64 s[0:1], 1, v1
	v_cndmask_b32_e64 v1, 0, 1, s[2:3]
	s_mov_b64 s[6:7], 0
	v_cmp_ne_u32_e64 s[2:3], 1, v1
	v_mov_b32_e32 v1, s73
	s_branch .LBB184_116
.LBB184_115:                            ;   in Loop: Header=BB184_116 Depth=1
	v_lshlrev_b64 v[4:5], 2, v[4:5]
	v_add_co_u32_e32 v6, vcc, s72, v4
	s_waitcnt lgkmcnt(0)
	v_add_u32_e32 v2, s70, v2
	v_addc_co_u32_e32 v7, vcc, v1, v5, vcc
	global_store_dword v[6:7], v2, off
	v_mov_b32_e32 v2, s75
	v_add_co_u32_e32 v4, vcc, s74, v4
	v_addc_co_u32_e32 v5, vcc, v2, v5, vcc
	v_add_u32_e32 v0, 0x400, v0
	v_cmp_le_i32_e32 vcc, s8, v0
	s_or_b64 s[6:7], vcc, s[6:7]
	global_store_dword v[4:5], v3, off
	s_andn2_b64 exec, exec, s[6:7]
	s_cbranch_execz .LBB184_123
.LBB184_116:                            ; =>This Loop Header: Depth=1
                                        ;     Child Loop BB184_118 Depth 2
                                        ;     Child Loop BB184_122 Depth 2
	v_lshl_add_u32 v2, v0, 2, 0
	ds_read2st64_b32 v[2:3], v2 offset1:32
	s_and_b64 vcc, exec, s[0:1]
	v_pk_mov_b32 v[4:5], s[4:5], s[4:5] op_sel:[0,1]
	s_mov_b32 s11, 0
	s_cbranch_vccnz .LBB184_120
; %bb.117:                              ;   in Loop: Header=BB184_116 Depth=1
	s_mov_b32 s12, 0
	v_pk_mov_b32 v[4:5], s[4:5], s[4:5] op_sel:[0,1]
.LBB184_118:                            ;   Parent Loop BB184_116 Depth=1
                                        ; =>  This Inner Loop Header: Depth=2
	v_mov_b32_e32 v12, s12
	ds_read2_b32 v[6:7], v12 offset1:1
	ds_read2_b32 v[8:9], v12 offset0:2 offset1:3
	ds_read2_b32 v[10:11], v12 offset0:4 offset1:5
	;; [unrolled: 1-line block ×3, first 2 shown]
	s_add_i32 s11, s11, 8
	s_waitcnt lgkmcnt(3)
	v_cmp_gt_i32_e32 vcc, v2, v6
	v_cndmask_b32_e64 v6, 0, 1, vcc
	v_cmp_gt_i32_e32 vcc, v2, v7
	v_cndmask_b32_e64 v7, 0, 1, vcc
	s_waitcnt lgkmcnt(2)
	v_cmp_gt_i32_e32 vcc, v2, v8
	v_cndmask_b32_e64 v8, 0, 1, vcc
	v_cmp_gt_i32_e32 vcc, v2, v9
	v_cndmask_b32_e64 v9, 0, 1, vcc
	;; [unrolled: 5-line block ×4, first 2 shown]
	v_add_co_u32_e32 v4, vcc, v4, v6
	v_addc_co_u32_e32 v5, vcc, 0, v5, vcc
	v_add_co_u32_e32 v4, vcc, v4, v7
	v_addc_co_u32_e32 v5, vcc, 0, v5, vcc
	v_add_co_u32_e32 v4, vcc, v4, v8
	v_addc_co_u32_e32 v5, vcc, 0, v5, vcc
	v_add_co_u32_e32 v4, vcc, v4, v9
	v_addc_co_u32_e32 v5, vcc, 0, v5, vcc
	v_add_co_u32_e32 v4, vcc, v4, v10
	v_addc_co_u32_e32 v5, vcc, 0, v5, vcc
	v_add_co_u32_e32 v4, vcc, v4, v11
	v_addc_co_u32_e32 v5, vcc, 0, v5, vcc
	v_add_co_u32_e32 v4, vcc, v4, v12
	v_addc_co_u32_e32 v5, vcc, 0, v5, vcc
	s_add_i32 s12, s12, 32
	v_add_co_u32_e32 v4, vcc, v4, v13
	s_cmp_eq_u32 s10, s11
	v_addc_co_u32_e32 v5, vcc, 0, v5, vcc
	s_cbranch_scc0 .LBB184_118
; %bb.119:                              ;   in Loop: Header=BB184_116 Depth=1
	s_mov_b32 s11, s10
.LBB184_120:                            ;   in Loop: Header=BB184_116 Depth=1
	s_and_b64 vcc, exec, s[2:3]
	s_cbranch_vccnz .LBB184_115
; %bb.121:                              ;   in Loop: Header=BB184_116 Depth=1
	s_lshl_b32 s11, s11, 2
	s_add_i32 s11, s11, 0
	s_mov_b32 s12, s9
.LBB184_122:                            ;   Parent Loop BB184_116 Depth=1
                                        ; =>  This Inner Loop Header: Depth=2
	v_mov_b32_e32 v6, s11
	ds_read_b32 v6, v6
	s_add_i32 s11, s11, 4
	s_add_i32 s12, s12, -1
	s_cmp_lg_u32 s12, 0
	s_waitcnt lgkmcnt(0)
	v_cmp_gt_i32_e32 vcc, v2, v6
	v_cndmask_b32_e64 v6, 0, 1, vcc
	v_add_co_u32_e32 v4, vcc, v4, v6
	v_addc_co_u32_e32 v5, vcc, 0, v5, vcc
	s_cbranch_scc1 .LBB184_122
	s_branch .LBB184_115
.LBB184_123:
	s_endpgm
	.section	.rodata,"a",@progbits
	.p2align	6, 0x0
	.amdhsa_kernel _ZN9rocsparseL26csrgemm_fill_block_per_rowILj1024ELj32ELj2048ELj137ELj32ElifEEvT5_PKS1_S3_NS_24const_host_device_scalarIT6_EEPKT4_S3_PKS5_S9_S3_SB_S6_S9_S3_SB_S9_PS1_PS5_21rocsparse_index_base_SE_SE_SE_bbb
		.amdhsa_group_segment_fixed_size 0
		.amdhsa_private_segment_fixed_size 0
		.amdhsa_kernarg_size 156
		.amdhsa_user_sgpr_count 6
		.amdhsa_user_sgpr_private_segment_buffer 1
		.amdhsa_user_sgpr_dispatch_ptr 0
		.amdhsa_user_sgpr_queue_ptr 0
		.amdhsa_user_sgpr_kernarg_segment_ptr 1
		.amdhsa_user_sgpr_dispatch_id 0
		.amdhsa_user_sgpr_flat_scratch_init 0
		.amdhsa_user_sgpr_kernarg_preload_length 0
		.amdhsa_user_sgpr_kernarg_preload_offset 0
		.amdhsa_user_sgpr_private_segment_size 0
		.amdhsa_uses_dynamic_stack 0
		.amdhsa_system_sgpr_private_segment_wavefront_offset 0
		.amdhsa_system_sgpr_workgroup_id_x 1
		.amdhsa_system_sgpr_workgroup_id_y 0
		.amdhsa_system_sgpr_workgroup_id_z 0
		.amdhsa_system_sgpr_workgroup_info 0
		.amdhsa_system_vgpr_workitem_id 0
		.amdhsa_next_free_vgpr 24
		.amdhsa_next_free_sgpr 80
		.amdhsa_accum_offset 24
		.amdhsa_reserve_vcc 1
		.amdhsa_reserve_flat_scratch 0
		.amdhsa_float_round_mode_32 0
		.amdhsa_float_round_mode_16_64 0
		.amdhsa_float_denorm_mode_32 3
		.amdhsa_float_denorm_mode_16_64 3
		.amdhsa_dx10_clamp 1
		.amdhsa_ieee_mode 1
		.amdhsa_fp16_overflow 0
		.amdhsa_tg_split 0
		.amdhsa_exception_fp_ieee_invalid_op 0
		.amdhsa_exception_fp_denorm_src 0
		.amdhsa_exception_fp_ieee_div_zero 0
		.amdhsa_exception_fp_ieee_overflow 0
		.amdhsa_exception_fp_ieee_underflow 0
		.amdhsa_exception_fp_ieee_inexact 0
		.amdhsa_exception_int_div_zero 0
	.end_amdhsa_kernel
	.section	.text._ZN9rocsparseL26csrgemm_fill_block_per_rowILj1024ELj32ELj2048ELj137ELj32ElifEEvT5_PKS1_S3_NS_24const_host_device_scalarIT6_EEPKT4_S3_PKS5_S9_S3_SB_S6_S9_S3_SB_S9_PS1_PS5_21rocsparse_index_base_SE_SE_SE_bbb,"axG",@progbits,_ZN9rocsparseL26csrgemm_fill_block_per_rowILj1024ELj32ELj2048ELj137ELj32ElifEEvT5_PKS1_S3_NS_24const_host_device_scalarIT6_EEPKT4_S3_PKS5_S9_S3_SB_S6_S9_S3_SB_S9_PS1_PS5_21rocsparse_index_base_SE_SE_SE_bbb,comdat
.Lfunc_end184:
	.size	_ZN9rocsparseL26csrgemm_fill_block_per_rowILj1024ELj32ELj2048ELj137ELj32ElifEEvT5_PKS1_S3_NS_24const_host_device_scalarIT6_EEPKT4_S3_PKS5_S9_S3_SB_S6_S9_S3_SB_S9_PS1_PS5_21rocsparse_index_base_SE_SE_SE_bbb, .Lfunc_end184-_ZN9rocsparseL26csrgemm_fill_block_per_rowILj1024ELj32ELj2048ELj137ELj32ElifEEvT5_PKS1_S3_NS_24const_host_device_scalarIT6_EEPKT4_S3_PKS5_S9_S3_SB_S6_S9_S3_SB_S9_PS1_PS5_21rocsparse_index_base_SE_SE_SE_bbb
                                        ; -- End function
	.section	.AMDGPU.csdata,"",@progbits
; Kernel info:
; codeLenInByte = 3792
; NumSgprs: 84
; NumVgprs: 24
; NumAgprs: 0
; TotalNumVgprs: 24
; ScratchSize: 0
; MemoryBound: 0
; FloatMode: 240
; IeeeMode: 1
; LDSByteSize: 0 bytes/workgroup (compile time only)
; SGPRBlocks: 10
; VGPRBlocks: 2
; NumSGPRsForWavesPerEU: 84
; NumVGPRsForWavesPerEU: 24
; AccumOffset: 24
; Occupancy: 8
; WaveLimiterHint : 1
; COMPUTE_PGM_RSRC2:SCRATCH_EN: 0
; COMPUTE_PGM_RSRC2:USER_SGPR: 6
; COMPUTE_PGM_RSRC2:TRAP_HANDLER: 0
; COMPUTE_PGM_RSRC2:TGID_X_EN: 1
; COMPUTE_PGM_RSRC2:TGID_Y_EN: 0
; COMPUTE_PGM_RSRC2:TGID_Z_EN: 0
; COMPUTE_PGM_RSRC2:TIDIG_COMP_CNT: 0
; COMPUTE_PGM_RSRC3_GFX90A:ACCUM_OFFSET: 5
; COMPUTE_PGM_RSRC3_GFX90A:TG_SPLIT: 0
	.section	.text._ZN9rocsparseL26csrgemm_fill_block_per_rowILj1024ELj32ELj2048ELj137ELj64ElifEEvT5_PKS1_S3_NS_24const_host_device_scalarIT6_EEPKT4_S3_PKS5_S9_S3_SB_S6_S9_S3_SB_S9_PS1_PS5_21rocsparse_index_base_SE_SE_SE_bbb,"axG",@progbits,_ZN9rocsparseL26csrgemm_fill_block_per_rowILj1024ELj32ELj2048ELj137ELj64ElifEEvT5_PKS1_S3_NS_24const_host_device_scalarIT6_EEPKT4_S3_PKS5_S9_S3_SB_S6_S9_S3_SB_S9_PS1_PS5_21rocsparse_index_base_SE_SE_SE_bbb,comdat
	.globl	_ZN9rocsparseL26csrgemm_fill_block_per_rowILj1024ELj32ELj2048ELj137ELj64ElifEEvT5_PKS1_S3_NS_24const_host_device_scalarIT6_EEPKT4_S3_PKS5_S9_S3_SB_S6_S9_S3_SB_S9_PS1_PS5_21rocsparse_index_base_SE_SE_SE_bbb ; -- Begin function _ZN9rocsparseL26csrgemm_fill_block_per_rowILj1024ELj32ELj2048ELj137ELj64ElifEEvT5_PKS1_S3_NS_24const_host_device_scalarIT6_EEPKT4_S3_PKS5_S9_S3_SB_S6_S9_S3_SB_S9_PS1_PS5_21rocsparse_index_base_SE_SE_SE_bbb
	.p2align	8
	.type	_ZN9rocsparseL26csrgemm_fill_block_per_rowILj1024ELj32ELj2048ELj137ELj64ElifEEvT5_PKS1_S3_NS_24const_host_device_scalarIT6_EEPKT4_S3_PKS5_S9_S3_SB_S6_S9_S3_SB_S9_PS1_PS5_21rocsparse_index_base_SE_SE_SE_bbb,@function
_ZN9rocsparseL26csrgemm_fill_block_per_rowILj1024ELj32ELj2048ELj137ELj64ElifEEvT5_PKS1_S3_NS_24const_host_device_scalarIT6_EEPKT4_S3_PKS5_S9_S3_SB_S6_S9_S3_SB_S9_PS1_PS5_21rocsparse_index_base_SE_SE_SE_bbb: ; @_ZN9rocsparseL26csrgemm_fill_block_per_rowILj1024ELj32ELj2048ELj137ELj64ElifEEvT5_PKS1_S3_NS_24const_host_device_scalarIT6_EEPKT4_S3_PKS5_S9_S3_SB_S6_S9_S3_SB_S9_PS1_PS5_21rocsparse_index_base_SE_SE_SE_bbb
; %bb.0:
	s_load_dword s7, s[4:5], 0x98
	s_load_dwordx4 s[44:47], s[4:5], 0x88
	s_load_dwordx2 s[0:1], s[4:5], 0x18
	s_load_dwordx2 s[24:25], s[4:5], 0x50
	s_waitcnt lgkmcnt(0)
	s_bitcmp1_b32 s7, 0
	s_cselect_b64 s[2:3], -1, 0
	s_bitcmp1_b32 s7, 16
	s_cselect_b64 s[26:27], -1, 0
	s_xor_b64 s[8:9], s[2:3], -1
	s_or_b64 s[8:9], s[8:9], s[26:27]
	s_and_b64 vcc, exec, s[8:9]
	s_cbranch_vccnz .LBB185_2
; %bb.1:
	s_load_dword s0, s[0:1], 0x0
	s_waitcnt lgkmcnt(0)
	v_mov_b32_e32 v12, s0
	s_branch .LBB185_3
.LBB185_2:
	v_mov_b32_e32 v1, s0
	v_cndmask_b32_e64 v12, 0, v1, s[2:3]
.LBB185_3:
	s_load_dwordx4 s[48:51], s[4:5], 0x78
	s_load_dwordx8 s[36:43], s[4:5], 0x58
	s_load_dwordx4 s[16:19], s[4:5], 0x40
	s_load_dwordx4 s[20:23], s[4:5], 0x8
	s_load_dwordx8 s[8:15], s[4:5], 0x20
	s_bitcmp1_b32 s7, 8
	s_cselect_b64 s[0:1], -1, 0
	s_xor_b64 s[28:29], s[0:1], -1
	s_or_b64 s[26:27], s[28:29], s[26:27]
	s_and_b64 vcc, exec, s[26:27]
	s_cbranch_vccnz .LBB185_5
; %bb.4:
	s_load_dword s7, s[24:25], 0x0
	s_waitcnt lgkmcnt(0)
	v_mov_b32_e32 v11, s7
	s_branch .LBB185_6
.LBB185_5:
	v_mov_b32_e32 v1, s24
	v_cndmask_b32_e64 v11, 0, v1, s[0:1]
.LBB185_6:
	s_load_dword s33, s[4:5], 0x0
	v_or_b32_e32 v1, 0xfffffc00, v0
	v_lshl_add_u32 v10, v0, 2, 0
	s_mov_b64 s[4:5], 0
	v_mov_b32_e32 v2, 0
	s_waitcnt lgkmcnt(0)
	v_mov_b32_e32 v3, s33
	v_mov_b32_e32 v4, v10
	;; [unrolled: 1-line block ×3, first 2 shown]
.LBB185_7:                              ; =>This Inner Loop Header: Depth=1
	v_add_co_u32_e32 v5, vcc, 0x400, v5
	s_xor_b64 s[24:25], vcc, -1
	s_and_b64 s[24:25], exec, s[24:25]
	ds_write2st64_b32 v4, v3, v2 offset1:32
	s_or_b64 s[4:5], s[24:25], s[4:5]
	v_add_u32_e32 v4, 0x1000, v4
	s_andn2_b64 exec, exec, s[4:5]
	s_cbranch_execnz .LBB185_7
; %bb.8:
	s_or_b64 exec, exec, s[4:5]
	s_waitcnt lgkmcnt(0)
	s_barrier
	s_load_dword s4, s[20:21], 0x0
	s_mov_b32 s5, 0
	s_waitcnt lgkmcnt(0)
	s_add_i32 s4, s4, s6
	s_lshl_b64 s[4:5], s[4:5], 2
	s_add_u32 s4, s22, s4
	s_addc_u32 s5, s23, s5
	s_load_dword s34, s[4:5], 0x0
	s_and_b64 vcc, exec, s[2:3]
	s_cbranch_vccz .LBB185_28
; %bb.9:
	s_waitcnt lgkmcnt(0)
	s_ashr_i32 s35, s34, 31
	s_lshl_b64 s[2:3], s[34:35], 3
	s_add_u32 s2, s8, s2
	s_addc_u32 s3, s9, s3
	s_load_dwordx4 s[4:7], s[2:3], 0x0
	v_lshrrev_b32_e32 v2, 5, v0
	v_subrev_co_u32_e32 v2, vcc, s44, v2
	s_waitcnt lgkmcnt(0)
	s_sub_u32 s2, s6, s44
	s_subb_u32 s3, s7, 0
	v_subb_co_u32_e64 v3, s[6:7], 0, 0, vcc
	v_mov_b32_e32 v4, s5
	v_add_co_u32_e32 v2, vcc, s4, v2
	v_addc_co_u32_e32 v3, vcc, v4, v3, vcc
	v_cmp_gt_i64_e32 vcc, s[2:3], v[2:3]
	s_and_saveexec_b64 s[4:5], vcc
	s_cbranch_execz .LBB185_27
; %bb.10:
	v_and_b32_e32 v4, 31, v0
	v_subrev_co_u32_e32 v13, vcc, s45, v4
	s_mov_b32 s8, 0
	v_subb_co_u32_e64 v14, s[6:7], 0, 0, vcc
	s_mov_b32 s35, s45
	s_mov_b64 s[6:7], 0
	v_mov_b32_e32 v15, s11
	v_mov_b32_e32 v16, s15
	;; [unrolled: 1-line block ×3, first 2 shown]
	s_movk_i32 s11, 0x89
	s_branch .LBB185_12
.LBB185_11:                             ;   in Loop: Header=BB185_12 Depth=1
	s_or_b64 exec, exec, s[8:9]
	v_add_co_u32_e32 v2, vcc, 32, v2
	v_addc_co_u32_e32 v3, vcc, 0, v3, vcc
	v_cmp_le_i64_e32 vcc, s[2:3], v[2:3]
	s_or_b64 s[6:7], vcc, s[6:7]
	s_andn2_b64 exec, exec, s[6:7]
	s_cbranch_execz .LBB185_27
.LBB185_12:                             ; =>This Loop Header: Depth=1
                                        ;     Child Loop BB185_15 Depth 2
                                        ;       Child Loop BB185_17 Depth 3
	v_lshlrev_b64 v[8:9], 2, v[2:3]
	v_add_co_u32_e32 v4, vcc, s10, v8
	v_addc_co_u32_e32 v5, vcc, v15, v9, vcc
	global_load_dword v4, v[4:5], off
	s_waitcnt vmcnt(0)
	v_subrev_u32_e32 v4, s44, v4
	v_ashrrev_i32_e32 v5, 31, v4
	v_lshlrev_b64 v[4:5], 3, v[4:5]
	v_add_co_u32_e32 v4, vcc, s14, v4
	v_addc_co_u32_e32 v5, vcc, v16, v5, vcc
	global_load_dwordx4 v[18:21], v[4:5], off
	s_waitcnt vmcnt(0)
	v_subrev_co_u32_e32 v4, vcc, s35, v20
	v_subb_co_u32_e32 v5, vcc, v21, v17, vcc
	v_add_co_u32_e32 v6, vcc, v18, v13
	v_addc_co_u32_e32 v7, vcc, v19, v14, vcc
	v_cmp_lt_i64_e32 vcc, v[6:7], v[4:5]
	s_and_saveexec_b64 s[8:9], vcc
	s_cbranch_execz .LBB185_11
; %bb.13:                               ;   in Loop: Header=BB185_12 Depth=1
	v_mov_b32_e32 v18, s13
	v_add_co_u32_e32 v8, vcc, s12, v8
	v_addc_co_u32_e32 v9, vcc, v18, v9, vcc
	global_load_dword v8, v[8:9], off
	s_mov_b64 s[20:21], 0
	s_waitcnt vmcnt(0)
	v_mul_f32_e32 v8, v12, v8
	s_branch .LBB185_15
.LBB185_14:                             ;   in Loop: Header=BB185_15 Depth=2
	s_or_b64 exec, exec, s[22:23]
	v_add_co_u32_e32 v6, vcc, 32, v6
	v_addc_co_u32_e32 v7, vcc, 0, v7, vcc
	v_cmp_ge_i64_e32 vcc, v[6:7], v[4:5]
	s_or_b64 s[20:21], vcc, s[20:21]
	s_andn2_b64 exec, exec, s[20:21]
	s_cbranch_execz .LBB185_11
.LBB185_15:                             ;   Parent Loop BB185_12 Depth=1
                                        ; =>  This Loop Header: Depth=2
                                        ;       Child Loop BB185_17 Depth 3
	v_lshlrev_b64 v[18:19], 2, v[6:7]
	v_mov_b32_e32 v9, s17
	v_add_co_u32_e32 v20, vcc, s16, v18
	v_addc_co_u32_e32 v21, vcc, v9, v19, vcc
	global_load_dword v9, v[20:21], off
	v_mov_b32_e32 v20, s19
	v_add_co_u32_e32 v18, vcc, s18, v18
	v_addc_co_u32_e32 v19, vcc, v20, v19, vcc
	global_load_dword v18, v[18:19], off
	s_mov_b64 s[22:23], 0
	s_waitcnt vmcnt(1)
	v_subrev_u32_e32 v9, s45, v9
	v_mul_lo_u32 v19, v9, s11
	v_and_b32_e32 v19, 0x7ff, v19
	s_waitcnt vmcnt(0)
	v_mul_f32_e32 v18, v8, v18
	s_branch .LBB185_17
.LBB185_16:                             ;   in Loop: Header=BB185_17 Depth=3
	s_or_b64 exec, exec, s[24:25]
	s_xor_b64 s[24:25], s[26:27], -1
	s_and_b64 s[24:25], exec, s[24:25]
	s_or_b64 s[22:23], s[24:25], s[22:23]
	s_andn2_b64 exec, exec, s[22:23]
	s_cbranch_execz .LBB185_14
.LBB185_17:                             ;   Parent Loop BB185_12 Depth=1
                                        ;     Parent Loop BB185_15 Depth=2
                                        ; =>    This Inner Loop Header: Depth=3
	v_lshl_add_u32 v20, v19, 2, 0
	ds_read_b32 v21, v20
                                        ; implicit-def: $sgpr26_sgpr27
	s_waitcnt lgkmcnt(0)
	v_cmp_ne_u32_e32 vcc, v21, v9
	s_and_saveexec_b64 s[24:25], vcc
	s_xor_b64 s[24:25], exec, s[24:25]
	s_cbranch_execz .LBB185_25
; %bb.18:                               ;   in Loop: Header=BB185_17 Depth=3
	v_cmp_ne_u32_e32 vcc, s33, v21
                                        ; implicit-def: $sgpr26_sgpr27
	s_and_saveexec_b64 s[28:29], vcc
	s_xor_b64 s[28:29], exec, s[28:29]
; %bb.19:                               ;   in Loop: Header=BB185_17 Depth=3
	v_add_u32_e32 v19, 1, v19
	v_and_b32_e32 v19, 0x7ff, v19
	s_mov_b64 s[26:27], -1
                                        ; implicit-def: $vgpr20
; %bb.20:                               ;   in Loop: Header=BB185_17 Depth=3
	s_andn2_saveexec_b64 s[28:29], s[28:29]
	s_cbranch_execz .LBB185_24
; %bb.21:                               ;   in Loop: Header=BB185_17 Depth=3
	v_mov_b32_e32 v21, s33
	ds_cmpst_rtn_b32 v21, v20, v21, v9
	s_mov_b64 s[30:31], -1
	s_waitcnt lgkmcnt(0)
	v_cmp_eq_u32_e32 vcc, s33, v21
	s_and_saveexec_b64 s[52:53], vcc
	s_cbranch_execz .LBB185_23
; %bb.22:                               ;   in Loop: Header=BB185_17 Depth=3
	ds_add_f32 v20, v18 offset:8192
	s_xor_b64 s[30:31], exec, -1
.LBB185_23:                             ;   in Loop: Header=BB185_17 Depth=3
	s_or_b64 exec, exec, s[52:53]
	s_andn2_b64 s[26:27], s[26:27], exec
	s_and_b64 s[30:31], s[30:31], exec
	s_or_b64 s[26:27], s[26:27], s[30:31]
.LBB185_24:                             ;   in Loop: Header=BB185_17 Depth=3
	s_or_b64 exec, exec, s[28:29]
	s_and_b64 s[26:27], s[26:27], exec
                                        ; implicit-def: $vgpr20
.LBB185_25:                             ;   in Loop: Header=BB185_17 Depth=3
	s_andn2_saveexec_b64 s[24:25], s[24:25]
	s_cbranch_execz .LBB185_16
; %bb.26:                               ;   in Loop: Header=BB185_17 Depth=3
	ds_add_f32 v20, v18 offset:8192
	s_andn2_b64 s[26:27], s[26:27], exec
	s_branch .LBB185_16
.LBB185_27:
	s_or_b64 exec, exec, s[4:5]
.LBB185_28:
	s_andn2_b64 vcc, exec, s[0:1]
	s_cbranch_vccnz .LBB185_45
; %bb.29:
	s_waitcnt lgkmcnt(0)
	s_ashr_i32 s35, s34, 31
	s_lshl_b64 s[0:1], s[34:35], 3
	s_add_u32 s0, s36, s0
	s_addc_u32 s1, s37, s1
	s_load_dwordx4 s[4:7], s[0:1], 0x0
	v_subrev_co_u32_e32 v2, vcc, s47, v0
	v_subb_co_u32_e64 v3, s[0:1], 0, 0, vcc
	s_waitcnt lgkmcnt(0)
	s_sub_u32 s0, s6, s47
	v_mov_b32_e32 v4, s5
	v_add_co_u32_e32 v2, vcc, s4, v2
	s_subb_u32 s1, s7, 0
	v_addc_co_u32_e32 v3, vcc, v4, v3, vcc
	v_cmp_gt_i64_e32 vcc, s[0:1], v[2:3]
	s_and_saveexec_b64 s[2:3], vcc
	s_cbranch_execz .LBB185_44
; %bb.30:
	s_mov_b64 s[4:5], 0
	v_mov_b32_e32 v4, s39
	v_mov_b32_e32 v5, s41
	s_movk_i32 s18, 0x89
	s_branch .LBB185_32
.LBB185_31:                             ;   in Loop: Header=BB185_32 Depth=1
	s_or_b64 exec, exec, s[6:7]
	v_add_co_u32_e32 v2, vcc, 0x400, v2
	v_addc_co_u32_e32 v3, vcc, 0, v3, vcc
	v_cmp_le_i64_e32 vcc, s[0:1], v[2:3]
	s_or_b64 s[4:5], vcc, s[4:5]
	s_andn2_b64 exec, exec, s[4:5]
	s_cbranch_execz .LBB185_44
.LBB185_32:                             ; =>This Loop Header: Depth=1
                                        ;     Child Loop BB185_34 Depth 2
	v_lshlrev_b64 v[6:7], 2, v[2:3]
	v_add_co_u32_e32 v8, vcc, s38, v6
	v_addc_co_u32_e32 v9, vcc, v4, v7, vcc
	global_load_dword v8, v[8:9], off
	v_add_co_u32_e32 v6, vcc, s40, v6
	v_addc_co_u32_e32 v7, vcc, v5, v7, vcc
	global_load_dword v7, v[6:7], off
	s_mov_b64 s[6:7], 0
	s_waitcnt vmcnt(1)
	v_subrev_u32_e32 v6, s47, v8
	v_mul_lo_u32 v8, v6, s18
	v_and_b32_e32 v8, 0x7ff, v8
	s_waitcnt vmcnt(0)
	v_mul_f32_e32 v7, v11, v7
	s_branch .LBB185_34
.LBB185_33:                             ;   in Loop: Header=BB185_34 Depth=2
	s_or_b64 exec, exec, s[8:9]
	s_xor_b64 s[8:9], s[10:11], -1
	s_and_b64 s[8:9], exec, s[8:9]
	s_or_b64 s[6:7], s[8:9], s[6:7]
	s_andn2_b64 exec, exec, s[6:7]
	s_cbranch_execz .LBB185_31
.LBB185_34:                             ;   Parent Loop BB185_32 Depth=1
                                        ; =>  This Inner Loop Header: Depth=2
	v_lshl_add_u32 v9, v8, 2, 0
	ds_read_b32 v12, v9
                                        ; implicit-def: $sgpr10_sgpr11
	s_waitcnt lgkmcnt(0)
	v_cmp_ne_u32_e32 vcc, v12, v6
	s_and_saveexec_b64 s[8:9], vcc
	s_xor_b64 s[8:9], exec, s[8:9]
	s_cbranch_execz .LBB185_42
; %bb.35:                               ;   in Loop: Header=BB185_34 Depth=2
	v_cmp_ne_u32_e32 vcc, s33, v12
                                        ; implicit-def: $sgpr10_sgpr11
	s_and_saveexec_b64 s[12:13], vcc
	s_xor_b64 s[12:13], exec, s[12:13]
; %bb.36:                               ;   in Loop: Header=BB185_34 Depth=2
	v_add_u32_e32 v8, 1, v8
	v_and_b32_e32 v8, 0x7ff, v8
	s_mov_b64 s[10:11], -1
                                        ; implicit-def: $vgpr9
; %bb.37:                               ;   in Loop: Header=BB185_34 Depth=2
	s_andn2_saveexec_b64 s[12:13], s[12:13]
	s_cbranch_execz .LBB185_41
; %bb.38:                               ;   in Loop: Header=BB185_34 Depth=2
	v_mov_b32_e32 v12, s33
	ds_cmpst_rtn_b32 v12, v9, v12, v6
	s_mov_b64 s[14:15], -1
	s_waitcnt lgkmcnt(0)
	v_cmp_eq_u32_e32 vcc, s33, v12
	s_and_saveexec_b64 s[16:17], vcc
	s_cbranch_execz .LBB185_40
; %bb.39:                               ;   in Loop: Header=BB185_34 Depth=2
	ds_add_f32 v9, v7 offset:8192
	s_xor_b64 s[14:15], exec, -1
.LBB185_40:                             ;   in Loop: Header=BB185_34 Depth=2
	s_or_b64 exec, exec, s[16:17]
	s_andn2_b64 s[10:11], s[10:11], exec
	s_and_b64 s[14:15], s[14:15], exec
	s_or_b64 s[10:11], s[10:11], s[14:15]
.LBB185_41:                             ;   in Loop: Header=BB185_34 Depth=2
	s_or_b64 exec, exec, s[12:13]
	s_and_b64 s[10:11], s[10:11], exec
                                        ; implicit-def: $vgpr9
.LBB185_42:                             ;   in Loop: Header=BB185_34 Depth=2
	s_andn2_saveexec_b64 s[8:9], s[8:9]
	s_cbranch_execz .LBB185_33
; %bb.43:                               ;   in Loop: Header=BB185_34 Depth=2
	ds_add_f32 v9, v7 offset:8192
	s_andn2_b64 s[10:11], s[10:11], exec
	s_branch .LBB185_33
.LBB185_44:
	s_or_b64 exec, exec, s[2:3]
.LBB185_45:
	v_mbcnt_lo_u32_b32 v2, -1, 0
	v_mbcnt_hi_u32_b32 v2, -1, v2
	v_lshrrev_b32_e32 v4, 4, v0
	v_sub_u32_e32 v2, 63, v2
	v_and_b32_e32 v4, 60, v4
	s_movk_i32 s0, 0x3ff
	s_movk_i32 s4, 0x7f
	;; [unrolled: 1-line block ×15, first 2 shown]
	v_mov_b32_e32 v6, 0
	v_lshrrev_b64 v[2:3], v2, -1
	v_add_u32_e32 v7, 0, v4
	v_cmp_eq_u32_e64 s[0:1], s0, v0
	v_cmp_lt_u32_e64 s[2:3], 63, v0
	v_cmp_lt_u32_e64 s[4:5], s4, v0
	;; [unrolled: 1-line block ×15, first 2 shown]
	s_mov_b64 s[36:37], 0
	v_mov_b32_e32 v8, 0
	s_waitcnt lgkmcnt(0)
	s_barrier
	s_branch .LBB185_47
.LBB185_46:                             ;   in Loop: Header=BB185_47 Depth=1
	s_or_b64 exec, exec, s[38:39]
	s_waitcnt lgkmcnt(0)
	s_barrier
	ds_read_b32 v4, v6 offset:16444
	v_add_co_u32_e32 v1, vcc, 0x400, v1
	s_xor_b64 s[38:39], vcc, -1
	s_and_b64 s[38:39], exec, s[38:39]
	s_waitcnt lgkmcnt(0)
	v_add_u32_e32 v8, v4, v8
	s_or_b64 s[36:37], s[38:39], s[36:37]
	v_add_u32_e32 v10, 0x1000, v10
	s_andn2_b64 exec, exec, s[36:37]
	s_cbranch_execz .LBB185_81
.LBB185_47:                             ; =>This Inner Loop Header: Depth=1
	ds_read2st64_b32 v[4:5], v10 offset1:32
	s_waitcnt lgkmcnt(0)
	s_barrier
	v_cmp_gt_i32_e32 vcc, s33, v4
	v_and_b32_e32 v11, vcc_lo, v2
	s_bcnt1_i32_b64 s35, vcc
	v_and_b32_e32 v9, vcc_hi, v3
	v_bcnt_u32_b32 v11, v11, 0
	v_bcnt_u32_b32 v9, v9, v11
	v_mov_b32_e32 v11, s35
	ds_write_b32 v7, v11 offset:16384
	s_waitcnt lgkmcnt(0)
	s_barrier
	s_and_saveexec_b64 s[38:39], s[2:3]
	s_cbranch_execnz .LBB185_64
; %bb.48:                               ;   in Loop: Header=BB185_47 Depth=1
	s_or_b64 exec, exec, s[38:39]
	s_and_saveexec_b64 s[38:39], s[4:5]
	s_cbranch_execnz .LBB185_65
.LBB185_49:                             ;   in Loop: Header=BB185_47 Depth=1
	s_or_b64 exec, exec, s[38:39]
	s_and_saveexec_b64 s[38:39], s[6:7]
	s_cbranch_execnz .LBB185_66
.LBB185_50:                             ;   in Loop: Header=BB185_47 Depth=1
	s_or_b64 exec, exec, s[38:39]
	s_and_saveexec_b64 s[38:39], s[8:9]
	s_cbranch_execnz .LBB185_67
.LBB185_51:                             ;   in Loop: Header=BB185_47 Depth=1
	s_or_b64 exec, exec, s[38:39]
	s_and_saveexec_b64 s[38:39], s[10:11]
	s_cbranch_execnz .LBB185_68
.LBB185_52:                             ;   in Loop: Header=BB185_47 Depth=1
	s_or_b64 exec, exec, s[38:39]
	s_and_saveexec_b64 s[38:39], s[12:13]
	s_cbranch_execnz .LBB185_69
.LBB185_53:                             ;   in Loop: Header=BB185_47 Depth=1
	s_or_b64 exec, exec, s[38:39]
	s_and_saveexec_b64 s[38:39], s[14:15]
	s_cbranch_execnz .LBB185_70
.LBB185_54:                             ;   in Loop: Header=BB185_47 Depth=1
	s_or_b64 exec, exec, s[38:39]
	s_and_saveexec_b64 s[38:39], s[16:17]
	s_cbranch_execnz .LBB185_71
.LBB185_55:                             ;   in Loop: Header=BB185_47 Depth=1
	s_or_b64 exec, exec, s[38:39]
	s_and_saveexec_b64 s[38:39], s[18:19]
	s_cbranch_execnz .LBB185_72
.LBB185_56:                             ;   in Loop: Header=BB185_47 Depth=1
	s_or_b64 exec, exec, s[38:39]
	s_and_saveexec_b64 s[38:39], s[20:21]
	s_cbranch_execnz .LBB185_73
.LBB185_57:                             ;   in Loop: Header=BB185_47 Depth=1
	s_or_b64 exec, exec, s[38:39]
	s_and_saveexec_b64 s[38:39], s[22:23]
	s_cbranch_execnz .LBB185_74
.LBB185_58:                             ;   in Loop: Header=BB185_47 Depth=1
	s_or_b64 exec, exec, s[38:39]
	s_and_saveexec_b64 s[38:39], s[24:25]
	s_cbranch_execnz .LBB185_75
.LBB185_59:                             ;   in Loop: Header=BB185_47 Depth=1
	s_or_b64 exec, exec, s[38:39]
	s_and_saveexec_b64 s[38:39], s[26:27]
	s_cbranch_execnz .LBB185_76
.LBB185_60:                             ;   in Loop: Header=BB185_47 Depth=1
	s_or_b64 exec, exec, s[38:39]
	s_and_saveexec_b64 s[38:39], s[28:29]
	s_cbranch_execnz .LBB185_77
.LBB185_61:                             ;   in Loop: Header=BB185_47 Depth=1
	s_or_b64 exec, exec, s[38:39]
	s_and_saveexec_b64 s[38:39], s[30:31]
	s_cbranch_execnz .LBB185_78
.LBB185_62:                             ;   in Loop: Header=BB185_47 Depth=1
	s_or_b64 exec, exec, s[38:39]
	s_and_saveexec_b64 s[38:39], vcc
	s_cbranch_execnz .LBB185_79
.LBB185_63:                             ;   in Loop: Header=BB185_47 Depth=1
	s_or_b64 exec, exec, s[38:39]
	s_and_saveexec_b64 s[38:39], s[0:1]
	s_cbranch_execz .LBB185_46
	s_branch .LBB185_80
.LBB185_64:                             ;   in Loop: Header=BB185_47 Depth=1
	ds_read_b32 v11, v6 offset:16384
	s_waitcnt lgkmcnt(0)
	v_add_u32_e32 v9, v11, v9
	s_or_b64 exec, exec, s[38:39]
	s_and_saveexec_b64 s[38:39], s[4:5]
	s_cbranch_execz .LBB185_49
.LBB185_65:                             ;   in Loop: Header=BB185_47 Depth=1
	ds_read_b32 v11, v6 offset:16388
	s_waitcnt lgkmcnt(0)
	v_add_u32_e32 v9, v11, v9
	s_or_b64 exec, exec, s[38:39]
	s_and_saveexec_b64 s[38:39], s[6:7]
	s_cbranch_execz .LBB185_50
.LBB185_66:                             ;   in Loop: Header=BB185_47 Depth=1
	ds_read_b32 v11, v6 offset:16392
	s_waitcnt lgkmcnt(0)
	v_add_u32_e32 v9, v11, v9
	s_or_b64 exec, exec, s[38:39]
	s_and_saveexec_b64 s[38:39], s[8:9]
	s_cbranch_execz .LBB185_51
.LBB185_67:                             ;   in Loop: Header=BB185_47 Depth=1
	ds_read_b32 v11, v6 offset:16396
	s_waitcnt lgkmcnt(0)
	v_add_u32_e32 v9, v11, v9
	s_or_b64 exec, exec, s[38:39]
	s_and_saveexec_b64 s[38:39], s[10:11]
	s_cbranch_execz .LBB185_52
.LBB185_68:                             ;   in Loop: Header=BB185_47 Depth=1
	ds_read_b32 v11, v6 offset:16400
	s_waitcnt lgkmcnt(0)
	v_add_u32_e32 v9, v11, v9
	s_or_b64 exec, exec, s[38:39]
	s_and_saveexec_b64 s[38:39], s[12:13]
	s_cbranch_execz .LBB185_53
.LBB185_69:                             ;   in Loop: Header=BB185_47 Depth=1
	ds_read_b32 v11, v6 offset:16404
	s_waitcnt lgkmcnt(0)
	v_add_u32_e32 v9, v11, v9
	s_or_b64 exec, exec, s[38:39]
	s_and_saveexec_b64 s[38:39], s[14:15]
	s_cbranch_execz .LBB185_54
.LBB185_70:                             ;   in Loop: Header=BB185_47 Depth=1
	ds_read_b32 v11, v6 offset:16408
	s_waitcnt lgkmcnt(0)
	v_add_u32_e32 v9, v11, v9
	s_or_b64 exec, exec, s[38:39]
	s_and_saveexec_b64 s[38:39], s[16:17]
	s_cbranch_execz .LBB185_55
.LBB185_71:                             ;   in Loop: Header=BB185_47 Depth=1
	ds_read_b32 v11, v6 offset:16412
	s_waitcnt lgkmcnt(0)
	v_add_u32_e32 v9, v11, v9
	s_or_b64 exec, exec, s[38:39]
	s_and_saveexec_b64 s[38:39], s[18:19]
	s_cbranch_execz .LBB185_56
.LBB185_72:                             ;   in Loop: Header=BB185_47 Depth=1
	ds_read_b32 v11, v6 offset:16416
	s_waitcnt lgkmcnt(0)
	v_add_u32_e32 v9, v11, v9
	s_or_b64 exec, exec, s[38:39]
	s_and_saveexec_b64 s[38:39], s[20:21]
	s_cbranch_execz .LBB185_57
.LBB185_73:                             ;   in Loop: Header=BB185_47 Depth=1
	ds_read_b32 v11, v6 offset:16420
	s_waitcnt lgkmcnt(0)
	v_add_u32_e32 v9, v11, v9
	s_or_b64 exec, exec, s[38:39]
	s_and_saveexec_b64 s[38:39], s[22:23]
	s_cbranch_execz .LBB185_58
.LBB185_74:                             ;   in Loop: Header=BB185_47 Depth=1
	ds_read_b32 v11, v6 offset:16424
	s_waitcnt lgkmcnt(0)
	v_add_u32_e32 v9, v11, v9
	s_or_b64 exec, exec, s[38:39]
	s_and_saveexec_b64 s[38:39], s[24:25]
	s_cbranch_execz .LBB185_59
.LBB185_75:                             ;   in Loop: Header=BB185_47 Depth=1
	ds_read_b32 v11, v6 offset:16428
	s_waitcnt lgkmcnt(0)
	v_add_u32_e32 v9, v11, v9
	s_or_b64 exec, exec, s[38:39]
	s_and_saveexec_b64 s[38:39], s[26:27]
	s_cbranch_execz .LBB185_60
.LBB185_76:                             ;   in Loop: Header=BB185_47 Depth=1
	ds_read_b32 v11, v6 offset:16432
	s_waitcnt lgkmcnt(0)
	v_add_u32_e32 v9, v11, v9
	s_or_b64 exec, exec, s[38:39]
	s_and_saveexec_b64 s[38:39], s[28:29]
	s_cbranch_execz .LBB185_61
.LBB185_77:                             ;   in Loop: Header=BB185_47 Depth=1
	ds_read_b32 v11, v6 offset:16436
	s_waitcnt lgkmcnt(0)
	v_add_u32_e32 v9, v11, v9
	s_or_b64 exec, exec, s[38:39]
	s_and_saveexec_b64 s[38:39], s[30:31]
	s_cbranch_execz .LBB185_62
.LBB185_78:                             ;   in Loop: Header=BB185_47 Depth=1
	ds_read_b32 v11, v6 offset:16440
	s_waitcnt lgkmcnt(0)
	v_add_u32_e32 v9, v11, v9
	s_or_b64 exec, exec, s[38:39]
	s_and_saveexec_b64 s[38:39], vcc
	s_cbranch_execz .LBB185_63
.LBB185_79:                             ;   in Loop: Header=BB185_47 Depth=1
	v_add3_u32 v11, v8, -1, v9
	v_lshl_add_u32 v11, v11, 2, 0
	ds_write2st64_b32 v11, v4, v5 offset1:32
	s_or_b64 exec, exec, s[38:39]
	s_and_saveexec_b64 s[38:39], s[0:1]
	s_cbranch_execz .LBB185_46
.LBB185_80:                             ;   in Loop: Header=BB185_47 Depth=1
	ds_write_b32 v6, v9 offset:16444
	s_branch .LBB185_46
.LBB185_81:
	s_or_b64 exec, exec, s[36:37]
	s_ashr_i32 s35, s34, 31
	s_lshl_b64 s[0:1], s[34:35], 3
	s_add_u32 s0, s42, s0
	s_addc_u32 s1, s43, s1
	s_load_dwordx4 s[0:3], s[0:1], 0x0
	s_waitcnt lgkmcnt(0)
	s_sub_i32 s8, s2, s0
	v_cmp_gt_i32_e32 vcc, s8, v0
	s_and_saveexec_b64 s[4:5], vcc
	s_cbranch_execz .LBB185_91
; %bb.82:
	s_sub_u32 s4, s0, s46
	s_subb_u32 s5, s1, 0
	s_and_b32 s9, s8, 7
	s_sub_i32 s0, s0, s2
	s_cmp_lt_u32 s0, -7
	s_cselect_b64 s[0:1], -1, 0
	s_and_b32 s10, s8, -8
	s_cmp_lg_u32 s9, 0
	v_cndmask_b32_e64 v1, 0, 1, s[0:1]
	s_cselect_b64 s[2:3], -1, 0
	v_cmp_ne_u32_e64 s[0:1], 1, v1
	v_cndmask_b32_e64 v1, 0, 1, s[2:3]
	s_mov_b64 s[6:7], 0
	v_cmp_ne_u32_e64 s[2:3], 1, v1
	v_mov_b32_e32 v1, s49
	s_branch .LBB185_84
.LBB185_83:                             ;   in Loop: Header=BB185_84 Depth=1
	v_lshlrev_b64 v[4:5], 2, v[4:5]
	v_add_co_u32_e32 v6, vcc, s48, v4
	s_waitcnt lgkmcnt(0)
	v_add_u32_e32 v2, s46, v2
	v_addc_co_u32_e32 v7, vcc, v1, v5, vcc
	global_store_dword v[6:7], v2, off
	v_mov_b32_e32 v2, s51
	v_add_co_u32_e32 v4, vcc, s50, v4
	v_addc_co_u32_e32 v5, vcc, v2, v5, vcc
	v_add_u32_e32 v0, 0x400, v0
	v_cmp_le_i32_e32 vcc, s8, v0
	s_or_b64 s[6:7], vcc, s[6:7]
	global_store_dword v[4:5], v3, off
	s_andn2_b64 exec, exec, s[6:7]
	s_cbranch_execz .LBB185_91
.LBB185_84:                             ; =>This Loop Header: Depth=1
                                        ;     Child Loop BB185_86 Depth 2
                                        ;     Child Loop BB185_90 Depth 2
	v_lshl_add_u32 v2, v0, 2, 0
	ds_read2st64_b32 v[2:3], v2 offset1:32
	s_and_b64 vcc, exec, s[0:1]
	v_pk_mov_b32 v[4:5], s[4:5], s[4:5] op_sel:[0,1]
	s_mov_b32 s11, 0
	s_cbranch_vccnz .LBB185_88
; %bb.85:                               ;   in Loop: Header=BB185_84 Depth=1
	s_mov_b32 s12, 0
	v_pk_mov_b32 v[4:5], s[4:5], s[4:5] op_sel:[0,1]
.LBB185_86:                             ;   Parent Loop BB185_84 Depth=1
                                        ; =>  This Inner Loop Header: Depth=2
	v_mov_b32_e32 v12, s12
	ds_read2_b32 v[6:7], v12 offset1:1
	ds_read2_b32 v[8:9], v12 offset0:2 offset1:3
	ds_read2_b32 v[10:11], v12 offset0:4 offset1:5
	;; [unrolled: 1-line block ×3, first 2 shown]
	s_add_i32 s11, s11, 8
	s_waitcnt lgkmcnt(3)
	v_cmp_gt_i32_e32 vcc, v2, v6
	v_cndmask_b32_e64 v6, 0, 1, vcc
	v_cmp_gt_i32_e32 vcc, v2, v7
	v_cndmask_b32_e64 v7, 0, 1, vcc
	s_waitcnt lgkmcnt(2)
	v_cmp_gt_i32_e32 vcc, v2, v8
	v_cndmask_b32_e64 v8, 0, 1, vcc
	v_cmp_gt_i32_e32 vcc, v2, v9
	v_cndmask_b32_e64 v9, 0, 1, vcc
	;; [unrolled: 5-line block ×4, first 2 shown]
	v_add_co_u32_e32 v4, vcc, v4, v6
	v_addc_co_u32_e32 v5, vcc, 0, v5, vcc
	v_add_co_u32_e32 v4, vcc, v4, v7
	v_addc_co_u32_e32 v5, vcc, 0, v5, vcc
	;; [unrolled: 2-line block ×7, first 2 shown]
	s_add_i32 s12, s12, 32
	v_add_co_u32_e32 v4, vcc, v4, v13
	s_cmp_eq_u32 s10, s11
	v_addc_co_u32_e32 v5, vcc, 0, v5, vcc
	s_cbranch_scc0 .LBB185_86
; %bb.87:                               ;   in Loop: Header=BB185_84 Depth=1
	s_mov_b32 s11, s10
.LBB185_88:                             ;   in Loop: Header=BB185_84 Depth=1
	s_and_b64 vcc, exec, s[2:3]
	s_cbranch_vccnz .LBB185_83
; %bb.89:                               ;   in Loop: Header=BB185_84 Depth=1
	s_lshl_b32 s11, s11, 2
	s_add_i32 s11, s11, 0
	s_mov_b32 s12, s9
.LBB185_90:                             ;   Parent Loop BB185_84 Depth=1
                                        ; =>  This Inner Loop Header: Depth=2
	v_mov_b32_e32 v6, s11
	ds_read_b32 v6, v6
	s_add_i32 s11, s11, 4
	s_add_i32 s12, s12, -1
	s_cmp_lg_u32 s12, 0
	s_waitcnt lgkmcnt(0)
	v_cmp_gt_i32_e32 vcc, v2, v6
	v_cndmask_b32_e64 v6, 0, 1, vcc
	v_add_co_u32_e32 v4, vcc, v4, v6
	v_addc_co_u32_e32 v5, vcc, 0, v5, vcc
	s_cbranch_scc1 .LBB185_90
	s_branch .LBB185_83
.LBB185_91:
	s_endpgm
	.section	.rodata,"a",@progbits
	.p2align	6, 0x0
	.amdhsa_kernel _ZN9rocsparseL26csrgemm_fill_block_per_rowILj1024ELj32ELj2048ELj137ELj64ElifEEvT5_PKS1_S3_NS_24const_host_device_scalarIT6_EEPKT4_S3_PKS5_S9_S3_SB_S6_S9_S3_SB_S9_PS1_PS5_21rocsparse_index_base_SE_SE_SE_bbb
		.amdhsa_group_segment_fixed_size 0
		.amdhsa_private_segment_fixed_size 0
		.amdhsa_kernarg_size 156
		.amdhsa_user_sgpr_count 6
		.amdhsa_user_sgpr_private_segment_buffer 1
		.amdhsa_user_sgpr_dispatch_ptr 0
		.amdhsa_user_sgpr_queue_ptr 0
		.amdhsa_user_sgpr_kernarg_segment_ptr 1
		.amdhsa_user_sgpr_dispatch_id 0
		.amdhsa_user_sgpr_flat_scratch_init 0
		.amdhsa_user_sgpr_kernarg_preload_length 0
		.amdhsa_user_sgpr_kernarg_preload_offset 0
		.amdhsa_user_sgpr_private_segment_size 0
		.amdhsa_uses_dynamic_stack 0
		.amdhsa_system_sgpr_private_segment_wavefront_offset 0
		.amdhsa_system_sgpr_workgroup_id_x 1
		.amdhsa_system_sgpr_workgroup_id_y 0
		.amdhsa_system_sgpr_workgroup_id_z 0
		.amdhsa_system_sgpr_workgroup_info 0
		.amdhsa_system_vgpr_workitem_id 0
		.amdhsa_next_free_vgpr 22
		.amdhsa_next_free_sgpr 54
		.amdhsa_accum_offset 24
		.amdhsa_reserve_vcc 1
		.amdhsa_reserve_flat_scratch 0
		.amdhsa_float_round_mode_32 0
		.amdhsa_float_round_mode_16_64 0
		.amdhsa_float_denorm_mode_32 3
		.amdhsa_float_denorm_mode_16_64 3
		.amdhsa_dx10_clamp 1
		.amdhsa_ieee_mode 1
		.amdhsa_fp16_overflow 0
		.amdhsa_tg_split 0
		.amdhsa_exception_fp_ieee_invalid_op 0
		.amdhsa_exception_fp_denorm_src 0
		.amdhsa_exception_fp_ieee_div_zero 0
		.amdhsa_exception_fp_ieee_overflow 0
		.amdhsa_exception_fp_ieee_underflow 0
		.amdhsa_exception_fp_ieee_inexact 0
		.amdhsa_exception_int_div_zero 0
	.end_amdhsa_kernel
	.section	.text._ZN9rocsparseL26csrgemm_fill_block_per_rowILj1024ELj32ELj2048ELj137ELj64ElifEEvT5_PKS1_S3_NS_24const_host_device_scalarIT6_EEPKT4_S3_PKS5_S9_S3_SB_S6_S9_S3_SB_S9_PS1_PS5_21rocsparse_index_base_SE_SE_SE_bbb,"axG",@progbits,_ZN9rocsparseL26csrgemm_fill_block_per_rowILj1024ELj32ELj2048ELj137ELj64ElifEEvT5_PKS1_S3_NS_24const_host_device_scalarIT6_EEPKT4_S3_PKS5_S9_S3_SB_S6_S9_S3_SB_S9_PS1_PS5_21rocsparse_index_base_SE_SE_SE_bbb,comdat
.Lfunc_end185:
	.size	_ZN9rocsparseL26csrgemm_fill_block_per_rowILj1024ELj32ELj2048ELj137ELj64ElifEEvT5_PKS1_S3_NS_24const_host_device_scalarIT6_EEPKT4_S3_PKS5_S9_S3_SB_S6_S9_S3_SB_S9_PS1_PS5_21rocsparse_index_base_SE_SE_SE_bbb, .Lfunc_end185-_ZN9rocsparseL26csrgemm_fill_block_per_rowILj1024ELj32ELj2048ELj137ELj64ElifEEvT5_PKS1_S3_NS_24const_host_device_scalarIT6_EEPKT4_S3_PKS5_S9_S3_SB_S6_S9_S3_SB_S9_PS1_PS5_21rocsparse_index_base_SE_SE_SE_bbb
                                        ; -- End function
	.section	.AMDGPU.csdata,"",@progbits
; Kernel info:
; codeLenInByte = 2968
; NumSgprs: 58
; NumVgprs: 22
; NumAgprs: 0
; TotalNumVgprs: 22
; ScratchSize: 0
; MemoryBound: 0
; FloatMode: 240
; IeeeMode: 1
; LDSByteSize: 0 bytes/workgroup (compile time only)
; SGPRBlocks: 7
; VGPRBlocks: 2
; NumSGPRsForWavesPerEU: 58
; NumVGPRsForWavesPerEU: 22
; AccumOffset: 24
; Occupancy: 8
; WaveLimiterHint : 1
; COMPUTE_PGM_RSRC2:SCRATCH_EN: 0
; COMPUTE_PGM_RSRC2:USER_SGPR: 6
; COMPUTE_PGM_RSRC2:TRAP_HANDLER: 0
; COMPUTE_PGM_RSRC2:TGID_X_EN: 1
; COMPUTE_PGM_RSRC2:TGID_Y_EN: 0
; COMPUTE_PGM_RSRC2:TGID_Z_EN: 0
; COMPUTE_PGM_RSRC2:TIDIG_COMP_CNT: 0
; COMPUTE_PGM_RSRC3_GFX90A:ACCUM_OFFSET: 5
; COMPUTE_PGM_RSRC3_GFX90A:TG_SPLIT: 0
	.section	.text._ZN9rocsparseL26csrgemm_fill_block_per_rowILj1024ELj64ELj4096ELj137ELj32ElifEEvT5_PKS1_S3_NS_24const_host_device_scalarIT6_EEPKT4_S3_PKS5_S9_S3_SB_S6_S9_S3_SB_S9_PS1_PS5_21rocsparse_index_base_SE_SE_SE_bbb,"axG",@progbits,_ZN9rocsparseL26csrgemm_fill_block_per_rowILj1024ELj64ELj4096ELj137ELj32ElifEEvT5_PKS1_S3_NS_24const_host_device_scalarIT6_EEPKT4_S3_PKS5_S9_S3_SB_S6_S9_S3_SB_S9_PS1_PS5_21rocsparse_index_base_SE_SE_SE_bbb,comdat
	.globl	_ZN9rocsparseL26csrgemm_fill_block_per_rowILj1024ELj64ELj4096ELj137ELj32ElifEEvT5_PKS1_S3_NS_24const_host_device_scalarIT6_EEPKT4_S3_PKS5_S9_S3_SB_S6_S9_S3_SB_S9_PS1_PS5_21rocsparse_index_base_SE_SE_SE_bbb ; -- Begin function _ZN9rocsparseL26csrgemm_fill_block_per_rowILj1024ELj64ELj4096ELj137ELj32ElifEEvT5_PKS1_S3_NS_24const_host_device_scalarIT6_EEPKT4_S3_PKS5_S9_S3_SB_S6_S9_S3_SB_S9_PS1_PS5_21rocsparse_index_base_SE_SE_SE_bbb
	.p2align	8
	.type	_ZN9rocsparseL26csrgemm_fill_block_per_rowILj1024ELj64ELj4096ELj137ELj32ElifEEvT5_PKS1_S3_NS_24const_host_device_scalarIT6_EEPKT4_S3_PKS5_S9_S3_SB_S6_S9_S3_SB_S9_PS1_PS5_21rocsparse_index_base_SE_SE_SE_bbb,@function
_ZN9rocsparseL26csrgemm_fill_block_per_rowILj1024ELj64ELj4096ELj137ELj32ElifEEvT5_PKS1_S3_NS_24const_host_device_scalarIT6_EEPKT4_S3_PKS5_S9_S3_SB_S6_S9_S3_SB_S9_PS1_PS5_21rocsparse_index_base_SE_SE_SE_bbb: ; @_ZN9rocsparseL26csrgemm_fill_block_per_rowILj1024ELj64ELj4096ELj137ELj32ElifEEvT5_PKS1_S3_NS_24const_host_device_scalarIT6_EEPKT4_S3_PKS5_S9_S3_SB_S6_S9_S3_SB_S9_PS1_PS5_21rocsparse_index_base_SE_SE_SE_bbb
; %bb.0:
	s_load_dword s7, s[4:5], 0x98
	s_load_dwordx4 s[68:71], s[4:5], 0x88
	s_load_dwordx2 s[0:1], s[4:5], 0x18
	s_load_dwordx2 s[24:25], s[4:5], 0x50
	s_waitcnt lgkmcnt(0)
	s_bitcmp1_b32 s7, 0
	s_cselect_b64 s[2:3], -1, 0
	s_bitcmp1_b32 s7, 16
	s_cselect_b64 s[26:27], -1, 0
	s_xor_b64 s[8:9], s[2:3], -1
	s_or_b64 s[8:9], s[8:9], s[26:27]
	s_and_b64 vcc, exec, s[8:9]
	s_cbranch_vccnz .LBB186_2
; %bb.1:
	s_load_dword s0, s[0:1], 0x0
	s_waitcnt lgkmcnt(0)
	v_mov_b32_e32 v12, s0
	s_branch .LBB186_3
.LBB186_2:
	v_mov_b32_e32 v1, s0
	v_cndmask_b32_e64 v12, 0, v1, s[2:3]
.LBB186_3:
	s_load_dwordx4 s[72:75], s[4:5], 0x78
	s_load_dwordx8 s[60:67], s[4:5], 0x58
	s_load_dwordx4 s[16:19], s[4:5], 0x40
	s_load_dwordx4 s[20:23], s[4:5], 0x8
	s_load_dwordx8 s[8:15], s[4:5], 0x20
	s_bitcmp1_b32 s7, 8
	s_cselect_b64 s[0:1], -1, 0
	s_xor_b64 s[28:29], s[0:1], -1
	s_or_b64 s[26:27], s[28:29], s[26:27]
	s_and_b64 vcc, exec, s[26:27]
	s_cbranch_vccnz .LBB186_5
; %bb.4:
	s_load_dword s7, s[24:25], 0x0
	s_waitcnt lgkmcnt(0)
	v_mov_b32_e32 v11, s7
	s_branch .LBB186_6
.LBB186_5:
	v_mov_b32_e32 v1, s24
	v_cndmask_b32_e64 v11, 0, v1, s[0:1]
.LBB186_6:
	s_load_dword s33, s[4:5], 0x0
	v_or_b32_e32 v1, 0xfffffc00, v0
	v_lshl_add_u32 v10, v0, 2, 0
	s_mov_b64 s[4:5], 0
	v_mov_b32_e32 v2, 0
	s_waitcnt lgkmcnt(0)
	v_mov_b32_e32 v3, s33
	s_movk_i32 s7, 0xbff
	v_mov_b32_e32 v4, v10
	v_mov_b32_e32 v5, v1
.LBB186_7:                              ; =>This Inner Loop Header: Depth=1
	v_add_u32_e32 v5, 0x400, v5
	v_cmp_lt_u32_e32 vcc, s7, v5
	ds_write2st64_b32 v4, v3, v2 offset1:64
	s_or_b64 s[4:5], vcc, s[4:5]
	v_add_u32_e32 v4, 0x1000, v4
	s_andn2_b64 exec, exec, s[4:5]
	s_cbranch_execnz .LBB186_7
; %bb.8:
	s_or_b64 exec, exec, s[4:5]
	s_waitcnt lgkmcnt(0)
	s_barrier
	s_load_dword s4, s[20:21], 0x0
	s_mov_b32 s5, 0
	s_waitcnt lgkmcnt(0)
	s_add_i32 s4, s4, s6
	s_lshl_b64 s[4:5], s[4:5], 2
	s_add_u32 s4, s22, s4
	s_addc_u32 s5, s23, s5
	s_load_dword s76, s[4:5], 0x0
	s_and_b64 vcc, exec, s[2:3]
	s_cbranch_vccz .LBB186_28
; %bb.9:
	s_waitcnt lgkmcnt(0)
	s_ashr_i32 s77, s76, 31
	s_lshl_b64 s[2:3], s[76:77], 3
	s_add_u32 s2, s8, s2
	s_addc_u32 s3, s9, s3
	s_load_dwordx4 s[4:7], s[2:3], 0x0
	v_lshrrev_b32_e32 v2, 6, v0
	v_subrev_co_u32_e32 v2, vcc, s68, v2
	s_waitcnt lgkmcnt(0)
	s_sub_u32 s2, s6, s68
	s_subb_u32 s3, s7, 0
	v_subb_co_u32_e64 v3, s[6:7], 0, 0, vcc
	v_mov_b32_e32 v4, s5
	v_add_co_u32_e32 v2, vcc, s4, v2
	v_addc_co_u32_e32 v3, vcc, v4, v3, vcc
	v_cmp_gt_i64_e32 vcc, s[2:3], v[2:3]
	s_and_saveexec_b64 s[4:5], vcc
	s_cbranch_execz .LBB186_27
; %bb.10:
	v_and_b32_e32 v4, 63, v0
	v_subrev_co_u32_e32 v13, vcc, s69, v4
	s_mov_b32 s8, 0
	v_subb_co_u32_e64 v14, s[6:7], 0, 0, vcc
	s_mov_b32 s36, s69
	s_mov_b64 s[6:7], 0
	v_mov_b32_e32 v15, s11
	v_mov_b32_e32 v16, s15
	;; [unrolled: 1-line block ×3, first 2 shown]
	s_movk_i32 s11, 0x89
	s_branch .LBB186_12
.LBB186_11:                             ;   in Loop: Header=BB186_12 Depth=1
	s_or_b64 exec, exec, s[8:9]
	v_add_co_u32_e32 v2, vcc, 16, v2
	v_addc_co_u32_e32 v3, vcc, 0, v3, vcc
	v_cmp_le_i64_e32 vcc, s[2:3], v[2:3]
	s_or_b64 s[6:7], vcc, s[6:7]
	s_andn2_b64 exec, exec, s[6:7]
	s_cbranch_execz .LBB186_27
.LBB186_12:                             ; =>This Loop Header: Depth=1
                                        ;     Child Loop BB186_15 Depth 2
                                        ;       Child Loop BB186_17 Depth 3
	v_lshlrev_b64 v[8:9], 2, v[2:3]
	v_add_co_u32_e32 v4, vcc, s10, v8
	v_addc_co_u32_e32 v5, vcc, v15, v9, vcc
	global_load_dword v4, v[4:5], off
	s_waitcnt vmcnt(0)
	v_subrev_u32_e32 v4, s68, v4
	v_ashrrev_i32_e32 v5, 31, v4
	v_lshlrev_b64 v[4:5], 3, v[4:5]
	v_add_co_u32_e32 v4, vcc, s14, v4
	v_addc_co_u32_e32 v5, vcc, v16, v5, vcc
	global_load_dwordx4 v[18:21], v[4:5], off
	s_waitcnt vmcnt(0)
	v_subrev_co_u32_e32 v4, vcc, s36, v20
	v_subb_co_u32_e32 v5, vcc, v21, v17, vcc
	v_add_co_u32_e32 v6, vcc, v18, v13
	v_addc_co_u32_e32 v7, vcc, v19, v14, vcc
	v_cmp_lt_i64_e32 vcc, v[6:7], v[4:5]
	s_and_saveexec_b64 s[8:9], vcc
	s_cbranch_execz .LBB186_11
; %bb.13:                               ;   in Loop: Header=BB186_12 Depth=1
	v_mov_b32_e32 v18, s13
	v_add_co_u32_e32 v8, vcc, s12, v8
	v_addc_co_u32_e32 v9, vcc, v18, v9, vcc
	global_load_dword v8, v[8:9], off
	s_mov_b64 s[20:21], 0
	s_waitcnt vmcnt(0)
	v_mul_f32_e32 v8, v12, v8
	s_branch .LBB186_15
.LBB186_14:                             ;   in Loop: Header=BB186_15 Depth=2
	s_or_b64 exec, exec, s[22:23]
	v_add_co_u32_e32 v6, vcc, 64, v6
	v_addc_co_u32_e32 v7, vcc, 0, v7, vcc
	v_cmp_ge_i64_e32 vcc, v[6:7], v[4:5]
	s_or_b64 s[20:21], vcc, s[20:21]
	s_andn2_b64 exec, exec, s[20:21]
	s_cbranch_execz .LBB186_11
.LBB186_15:                             ;   Parent Loop BB186_12 Depth=1
                                        ; =>  This Loop Header: Depth=2
                                        ;       Child Loop BB186_17 Depth 3
	v_lshlrev_b64 v[18:19], 2, v[6:7]
	v_mov_b32_e32 v9, s17
	v_add_co_u32_e32 v20, vcc, s16, v18
	v_addc_co_u32_e32 v21, vcc, v9, v19, vcc
	global_load_dword v9, v[20:21], off
	v_mov_b32_e32 v20, s19
	v_add_co_u32_e32 v18, vcc, s18, v18
	v_addc_co_u32_e32 v19, vcc, v20, v19, vcc
	global_load_dword v18, v[18:19], off
	s_mov_b64 s[22:23], 0
	s_waitcnt vmcnt(1)
	v_subrev_u32_e32 v9, s69, v9
	v_mul_lo_u32 v19, v9, s11
	v_and_b32_e32 v19, 0xfff, v19
	s_waitcnt vmcnt(0)
	v_mul_f32_e32 v18, v8, v18
	s_branch .LBB186_17
.LBB186_16:                             ;   in Loop: Header=BB186_17 Depth=3
	s_or_b64 exec, exec, s[24:25]
	s_xor_b64 s[24:25], s[26:27], -1
	s_and_b64 s[24:25], exec, s[24:25]
	s_or_b64 s[22:23], s[24:25], s[22:23]
	s_andn2_b64 exec, exec, s[22:23]
	s_cbranch_execz .LBB186_14
.LBB186_17:                             ;   Parent Loop BB186_12 Depth=1
                                        ;     Parent Loop BB186_15 Depth=2
                                        ; =>    This Inner Loop Header: Depth=3
	v_lshl_add_u32 v20, v19, 2, 0
	ds_read_b32 v21, v20
                                        ; implicit-def: $sgpr26_sgpr27
	s_waitcnt lgkmcnt(0)
	v_cmp_ne_u32_e32 vcc, v21, v9
	s_and_saveexec_b64 s[24:25], vcc
	s_xor_b64 s[24:25], exec, s[24:25]
	s_cbranch_execz .LBB186_25
; %bb.18:                               ;   in Loop: Header=BB186_17 Depth=3
	v_cmp_ne_u32_e32 vcc, s33, v21
                                        ; implicit-def: $sgpr26_sgpr27
	s_and_saveexec_b64 s[28:29], vcc
	s_xor_b64 s[28:29], exec, s[28:29]
; %bb.19:                               ;   in Loop: Header=BB186_17 Depth=3
	v_add_u32_e32 v19, 1, v19
	v_and_b32_e32 v19, 0xfff, v19
	s_mov_b64 s[26:27], -1
                                        ; implicit-def: $vgpr20
; %bb.20:                               ;   in Loop: Header=BB186_17 Depth=3
	s_andn2_saveexec_b64 s[28:29], s[28:29]
	s_cbranch_execz .LBB186_24
; %bb.21:                               ;   in Loop: Header=BB186_17 Depth=3
	v_mov_b32_e32 v21, s33
	ds_cmpst_rtn_b32 v21, v20, v21, v9
	s_mov_b64 s[30:31], -1
	s_waitcnt lgkmcnt(0)
	v_cmp_eq_u32_e32 vcc, s33, v21
	s_and_saveexec_b64 s[34:35], vcc
	s_cbranch_execz .LBB186_23
; %bb.22:                               ;   in Loop: Header=BB186_17 Depth=3
	ds_add_f32 v20, v18 offset:16384
	s_xor_b64 s[30:31], exec, -1
.LBB186_23:                             ;   in Loop: Header=BB186_17 Depth=3
	s_or_b64 exec, exec, s[34:35]
	s_andn2_b64 s[26:27], s[26:27], exec
	s_and_b64 s[30:31], s[30:31], exec
	s_or_b64 s[26:27], s[26:27], s[30:31]
.LBB186_24:                             ;   in Loop: Header=BB186_17 Depth=3
	s_or_b64 exec, exec, s[28:29]
	s_and_b64 s[26:27], s[26:27], exec
                                        ; implicit-def: $vgpr20
.LBB186_25:                             ;   in Loop: Header=BB186_17 Depth=3
	s_andn2_saveexec_b64 s[24:25], s[24:25]
	s_cbranch_execz .LBB186_16
; %bb.26:                               ;   in Loop: Header=BB186_17 Depth=3
	ds_add_f32 v20, v18 offset:16384
	s_andn2_b64 s[26:27], s[26:27], exec
	s_branch .LBB186_16
.LBB186_27:
	s_or_b64 exec, exec, s[4:5]
.LBB186_28:
	s_andn2_b64 vcc, exec, s[0:1]
	s_cbranch_vccnz .LBB186_45
; %bb.29:
	s_waitcnt lgkmcnt(0)
	s_ashr_i32 s77, s76, 31
	s_lshl_b64 s[0:1], s[76:77], 3
	s_add_u32 s0, s60, s0
	s_addc_u32 s1, s61, s1
	s_load_dwordx4 s[4:7], s[0:1], 0x0
	v_subrev_co_u32_e32 v2, vcc, s71, v0
	v_subb_co_u32_e64 v3, s[0:1], 0, 0, vcc
	s_waitcnt lgkmcnt(0)
	s_sub_u32 s0, s6, s71
	v_mov_b32_e32 v4, s5
	v_add_co_u32_e32 v2, vcc, s4, v2
	s_subb_u32 s1, s7, 0
	v_addc_co_u32_e32 v3, vcc, v4, v3, vcc
	v_cmp_gt_i64_e32 vcc, s[0:1], v[2:3]
	s_and_saveexec_b64 s[2:3], vcc
	s_cbranch_execz .LBB186_44
; %bb.30:
	s_mov_b64 s[4:5], 0
	v_mov_b32_e32 v4, s63
	v_mov_b32_e32 v5, s65
	s_movk_i32 s18, 0x89
	s_branch .LBB186_32
.LBB186_31:                             ;   in Loop: Header=BB186_32 Depth=1
	s_or_b64 exec, exec, s[6:7]
	v_add_co_u32_e32 v2, vcc, 0x400, v2
	v_addc_co_u32_e32 v3, vcc, 0, v3, vcc
	v_cmp_le_i64_e32 vcc, s[0:1], v[2:3]
	s_or_b64 s[4:5], vcc, s[4:5]
	s_andn2_b64 exec, exec, s[4:5]
	s_cbranch_execz .LBB186_44
.LBB186_32:                             ; =>This Loop Header: Depth=1
                                        ;     Child Loop BB186_34 Depth 2
	v_lshlrev_b64 v[6:7], 2, v[2:3]
	v_add_co_u32_e32 v8, vcc, s62, v6
	v_addc_co_u32_e32 v9, vcc, v4, v7, vcc
	global_load_dword v8, v[8:9], off
	v_add_co_u32_e32 v6, vcc, s64, v6
	v_addc_co_u32_e32 v7, vcc, v5, v7, vcc
	global_load_dword v7, v[6:7], off
	s_mov_b64 s[6:7], 0
	s_waitcnt vmcnt(1)
	v_subrev_u32_e32 v6, s71, v8
	v_mul_lo_u32 v8, v6, s18
	v_and_b32_e32 v8, 0xfff, v8
	s_waitcnt vmcnt(0)
	v_mul_f32_e32 v7, v11, v7
	s_branch .LBB186_34
.LBB186_33:                             ;   in Loop: Header=BB186_34 Depth=2
	s_or_b64 exec, exec, s[8:9]
	s_xor_b64 s[8:9], s[10:11], -1
	s_and_b64 s[8:9], exec, s[8:9]
	s_or_b64 s[6:7], s[8:9], s[6:7]
	s_andn2_b64 exec, exec, s[6:7]
	s_cbranch_execz .LBB186_31
.LBB186_34:                             ;   Parent Loop BB186_32 Depth=1
                                        ; =>  This Inner Loop Header: Depth=2
	v_lshl_add_u32 v9, v8, 2, 0
	ds_read_b32 v12, v9
                                        ; implicit-def: $sgpr10_sgpr11
	s_waitcnt lgkmcnt(0)
	v_cmp_ne_u32_e32 vcc, v12, v6
	s_and_saveexec_b64 s[8:9], vcc
	s_xor_b64 s[8:9], exec, s[8:9]
	s_cbranch_execz .LBB186_42
; %bb.35:                               ;   in Loop: Header=BB186_34 Depth=2
	v_cmp_ne_u32_e32 vcc, s33, v12
                                        ; implicit-def: $sgpr10_sgpr11
	s_and_saveexec_b64 s[12:13], vcc
	s_xor_b64 s[12:13], exec, s[12:13]
; %bb.36:                               ;   in Loop: Header=BB186_34 Depth=2
	v_add_u32_e32 v8, 1, v8
	v_and_b32_e32 v8, 0xfff, v8
	s_mov_b64 s[10:11], -1
                                        ; implicit-def: $vgpr9
; %bb.37:                               ;   in Loop: Header=BB186_34 Depth=2
	s_andn2_saveexec_b64 s[12:13], s[12:13]
	s_cbranch_execz .LBB186_41
; %bb.38:                               ;   in Loop: Header=BB186_34 Depth=2
	v_mov_b32_e32 v12, s33
	ds_cmpst_rtn_b32 v12, v9, v12, v6
	s_mov_b64 s[14:15], -1
	s_waitcnt lgkmcnt(0)
	v_cmp_eq_u32_e32 vcc, s33, v12
	s_and_saveexec_b64 s[16:17], vcc
	s_cbranch_execz .LBB186_40
; %bb.39:                               ;   in Loop: Header=BB186_34 Depth=2
	ds_add_f32 v9, v7 offset:16384
	s_xor_b64 s[14:15], exec, -1
.LBB186_40:                             ;   in Loop: Header=BB186_34 Depth=2
	s_or_b64 exec, exec, s[16:17]
	s_andn2_b64 s[10:11], s[10:11], exec
	s_and_b64 s[14:15], s[14:15], exec
	s_or_b64 s[10:11], s[10:11], s[14:15]
.LBB186_41:                             ;   in Loop: Header=BB186_34 Depth=2
	s_or_b64 exec, exec, s[12:13]
	s_and_b64 s[10:11], s[10:11], exec
                                        ; implicit-def: $vgpr9
.LBB186_42:                             ;   in Loop: Header=BB186_34 Depth=2
	s_andn2_saveexec_b64 s[8:9], s[8:9]
	s_cbranch_execz .LBB186_33
; %bb.43:                               ;   in Loop: Header=BB186_34 Depth=2
	ds_add_f32 v9, v7 offset:16384
	s_andn2_b64 s[10:11], s[10:11], exec
	s_branch .LBB186_33
.LBB186_44:
	s_or_b64 exec, exec, s[2:3]
.LBB186_45:
	v_mbcnt_lo_u32_b32 v2, -1, 0
	v_mbcnt_hi_u32_b32 v2, -1, v2
	v_lshrrev_b32_e32 v4, 3, v0
	v_sub_u32_e32 v2, 63, v2
	v_and_b32_e32 v4, 0x7c, v4
	s_movk_i32 s0, 0x3ff
	s_movk_i32 s4, 0x5f
	s_movk_i32 s6, 0x7f
	s_movk_i32 s8, 0x9f
	s_movk_i32 s10, 0xbf
	s_movk_i32 s12, 0xdf
	s_movk_i32 s14, 0xff
	s_movk_i32 s16, 0x11f
	s_movk_i32 s18, 0x13f
	s_movk_i32 s20, 0x15f
	s_movk_i32 s22, 0x17f
	s_movk_i32 s24, 0x19f
	s_movk_i32 s26, 0x1bf
	s_movk_i32 s28, 0x1df
	s_movk_i32 s30, 0x1ff
	s_movk_i32 s34, 0x21f
	s_movk_i32 s36, 0x23f
	s_movk_i32 s38, 0x25f
	s_movk_i32 s40, 0x27f
	s_movk_i32 s42, 0x29f
	s_movk_i32 s44, 0x2bf
	s_movk_i32 s46, 0x2df
	s_movk_i32 s48, 0x2ff
	s_movk_i32 s50, 0x31f
	s_movk_i32 s52, 0x33f
	s_movk_i32 s54, 0x35f
	s_movk_i32 s56, 0x37f
	s_movk_i32 s58, 0x39f
	s_movk_i32 s60, 0x3bf
	s_movk_i32 s62, 0x3df
	v_mov_b32_e32 v6, 0
	v_lshrrev_b64 v[2:3], v2, -1
	v_add_u32_e32 v7, 0, v4
	v_cmp_eq_u32_e32 vcc, s0, v0
	v_cmp_lt_u32_e64 s[0:1], 31, v0
	v_cmp_lt_u32_e64 s[2:3], 63, v0
	;; [unrolled: 1-line block ×31, first 2 shown]
	s_mov_b64 s[68:69], 0
	s_movk_i32 s71, 0xbff
	v_mov_b32_e32 v8, 0
	s_waitcnt lgkmcnt(0)
	s_barrier
	s_branch .LBB186_47
.LBB186_46:                             ;   in Loop: Header=BB186_47 Depth=1
	s_or_b64 exec, exec, s[64:65]
	s_waitcnt lgkmcnt(0)
	s_barrier
	ds_read_b32 v4, v6 offset:32892
	v_add_u32_e32 v1, 0x400, v1
	v_cmp_lt_u32_e64 s[64:65], s71, v1
	s_or_b64 s[68:69], s[64:65], s[68:69]
	v_add_u32_e32 v10, 0x1000, v10
	s_waitcnt lgkmcnt(0)
	v_add_u32_e32 v8, v4, v8
	s_andn2_b64 exec, exec, s[68:69]
	s_cbranch_execz .LBB186_113
.LBB186_47:                             ; =>This Inner Loop Header: Depth=1
	ds_read2st64_b32 v[4:5], v10 offset1:64
	s_waitcnt lgkmcnt(0)
	s_barrier
	v_cmp_gt_i32_e64 s[64:65], s33, v4
	v_and_b32_e32 v11, s64, v2
	s_bcnt1_i32_b64 s77, s[64:65]
	v_and_b32_e32 v9, s65, v3
	v_bcnt_u32_b32 v11, v11, 0
	v_bcnt_u32_b32 v9, v9, v11
	v_mov_b32_e32 v11, s77
	ds_write_b32 v7, v11 offset:32768
	s_waitcnt lgkmcnt(0)
	s_barrier
	s_and_saveexec_b64 s[78:79], s[0:1]
	s_cbranch_execnz .LBB186_80
; %bb.48:                               ;   in Loop: Header=BB186_47 Depth=1
	s_or_b64 exec, exec, s[78:79]
	s_and_saveexec_b64 s[78:79], s[2:3]
	s_cbranch_execnz .LBB186_81
.LBB186_49:                             ;   in Loop: Header=BB186_47 Depth=1
	s_or_b64 exec, exec, s[78:79]
	s_and_saveexec_b64 s[78:79], s[4:5]
	s_cbranch_execnz .LBB186_82
.LBB186_50:                             ;   in Loop: Header=BB186_47 Depth=1
	s_or_b64 exec, exec, s[78:79]
	s_and_saveexec_b64 s[78:79], s[6:7]
	s_cbranch_execnz .LBB186_83
.LBB186_51:                             ;   in Loop: Header=BB186_47 Depth=1
	s_or_b64 exec, exec, s[78:79]
	s_and_saveexec_b64 s[78:79], s[8:9]
	s_cbranch_execnz .LBB186_84
.LBB186_52:                             ;   in Loop: Header=BB186_47 Depth=1
	s_or_b64 exec, exec, s[78:79]
	s_and_saveexec_b64 s[78:79], s[10:11]
	s_cbranch_execnz .LBB186_85
.LBB186_53:                             ;   in Loop: Header=BB186_47 Depth=1
	s_or_b64 exec, exec, s[78:79]
	s_and_saveexec_b64 s[78:79], s[12:13]
	s_cbranch_execnz .LBB186_86
.LBB186_54:                             ;   in Loop: Header=BB186_47 Depth=1
	s_or_b64 exec, exec, s[78:79]
	s_and_saveexec_b64 s[78:79], s[14:15]
	s_cbranch_execnz .LBB186_87
.LBB186_55:                             ;   in Loop: Header=BB186_47 Depth=1
	s_or_b64 exec, exec, s[78:79]
	s_and_saveexec_b64 s[78:79], s[16:17]
	s_cbranch_execnz .LBB186_88
.LBB186_56:                             ;   in Loop: Header=BB186_47 Depth=1
	s_or_b64 exec, exec, s[78:79]
	s_and_saveexec_b64 s[78:79], s[18:19]
	s_cbranch_execnz .LBB186_89
.LBB186_57:                             ;   in Loop: Header=BB186_47 Depth=1
	s_or_b64 exec, exec, s[78:79]
	s_and_saveexec_b64 s[78:79], s[20:21]
	s_cbranch_execnz .LBB186_90
.LBB186_58:                             ;   in Loop: Header=BB186_47 Depth=1
	s_or_b64 exec, exec, s[78:79]
	s_and_saveexec_b64 s[78:79], s[22:23]
	s_cbranch_execnz .LBB186_91
.LBB186_59:                             ;   in Loop: Header=BB186_47 Depth=1
	s_or_b64 exec, exec, s[78:79]
	s_and_saveexec_b64 s[78:79], s[24:25]
	s_cbranch_execnz .LBB186_92
.LBB186_60:                             ;   in Loop: Header=BB186_47 Depth=1
	s_or_b64 exec, exec, s[78:79]
	s_and_saveexec_b64 s[78:79], s[26:27]
	s_cbranch_execnz .LBB186_93
.LBB186_61:                             ;   in Loop: Header=BB186_47 Depth=1
	s_or_b64 exec, exec, s[78:79]
	s_and_saveexec_b64 s[78:79], s[28:29]
	s_cbranch_execnz .LBB186_94
.LBB186_62:                             ;   in Loop: Header=BB186_47 Depth=1
	s_or_b64 exec, exec, s[78:79]
	s_and_saveexec_b64 s[78:79], s[30:31]
	s_cbranch_execnz .LBB186_95
.LBB186_63:                             ;   in Loop: Header=BB186_47 Depth=1
	s_or_b64 exec, exec, s[78:79]
	s_and_saveexec_b64 s[78:79], s[34:35]
	s_cbranch_execnz .LBB186_96
.LBB186_64:                             ;   in Loop: Header=BB186_47 Depth=1
	s_or_b64 exec, exec, s[78:79]
	s_and_saveexec_b64 s[78:79], s[36:37]
	s_cbranch_execnz .LBB186_97
.LBB186_65:                             ;   in Loop: Header=BB186_47 Depth=1
	s_or_b64 exec, exec, s[78:79]
	s_and_saveexec_b64 s[78:79], s[38:39]
	s_cbranch_execnz .LBB186_98
.LBB186_66:                             ;   in Loop: Header=BB186_47 Depth=1
	s_or_b64 exec, exec, s[78:79]
	s_and_saveexec_b64 s[78:79], s[40:41]
	s_cbranch_execnz .LBB186_99
.LBB186_67:                             ;   in Loop: Header=BB186_47 Depth=1
	s_or_b64 exec, exec, s[78:79]
	s_and_saveexec_b64 s[78:79], s[42:43]
	s_cbranch_execnz .LBB186_100
.LBB186_68:                             ;   in Loop: Header=BB186_47 Depth=1
	s_or_b64 exec, exec, s[78:79]
	s_and_saveexec_b64 s[78:79], s[44:45]
	s_cbranch_execnz .LBB186_101
.LBB186_69:                             ;   in Loop: Header=BB186_47 Depth=1
	s_or_b64 exec, exec, s[78:79]
	s_and_saveexec_b64 s[78:79], s[46:47]
	s_cbranch_execnz .LBB186_102
.LBB186_70:                             ;   in Loop: Header=BB186_47 Depth=1
	s_or_b64 exec, exec, s[78:79]
	s_and_saveexec_b64 s[78:79], s[48:49]
	s_cbranch_execnz .LBB186_103
.LBB186_71:                             ;   in Loop: Header=BB186_47 Depth=1
	s_or_b64 exec, exec, s[78:79]
	s_and_saveexec_b64 s[78:79], s[50:51]
	s_cbranch_execnz .LBB186_104
.LBB186_72:                             ;   in Loop: Header=BB186_47 Depth=1
	s_or_b64 exec, exec, s[78:79]
	s_and_saveexec_b64 s[78:79], s[52:53]
	s_cbranch_execnz .LBB186_105
.LBB186_73:                             ;   in Loop: Header=BB186_47 Depth=1
	s_or_b64 exec, exec, s[78:79]
	s_and_saveexec_b64 s[78:79], s[54:55]
	s_cbranch_execnz .LBB186_106
.LBB186_74:                             ;   in Loop: Header=BB186_47 Depth=1
	s_or_b64 exec, exec, s[78:79]
	s_and_saveexec_b64 s[78:79], s[56:57]
	s_cbranch_execnz .LBB186_107
.LBB186_75:                             ;   in Loop: Header=BB186_47 Depth=1
	s_or_b64 exec, exec, s[78:79]
	s_and_saveexec_b64 s[78:79], s[58:59]
	s_cbranch_execnz .LBB186_108
.LBB186_76:                             ;   in Loop: Header=BB186_47 Depth=1
	s_or_b64 exec, exec, s[78:79]
	s_and_saveexec_b64 s[78:79], s[60:61]
	s_cbranch_execnz .LBB186_109
.LBB186_77:                             ;   in Loop: Header=BB186_47 Depth=1
	s_or_b64 exec, exec, s[78:79]
	s_and_saveexec_b64 s[78:79], s[62:63]
	s_cbranch_execnz .LBB186_110
.LBB186_78:                             ;   in Loop: Header=BB186_47 Depth=1
	s_or_b64 exec, exec, s[78:79]
	s_and_saveexec_b64 s[78:79], s[64:65]
	s_cbranch_execnz .LBB186_111
.LBB186_79:                             ;   in Loop: Header=BB186_47 Depth=1
	s_or_b64 exec, exec, s[78:79]
	s_and_saveexec_b64 s[64:65], vcc
	s_cbranch_execz .LBB186_46
	s_branch .LBB186_112
.LBB186_80:                             ;   in Loop: Header=BB186_47 Depth=1
	ds_read_b32 v11, v6 offset:32768
	s_waitcnt lgkmcnt(0)
	v_add_u32_e32 v9, v11, v9
	s_or_b64 exec, exec, s[78:79]
	s_and_saveexec_b64 s[78:79], s[2:3]
	s_cbranch_execz .LBB186_49
.LBB186_81:                             ;   in Loop: Header=BB186_47 Depth=1
	ds_read_b32 v11, v6 offset:32772
	s_waitcnt lgkmcnt(0)
	v_add_u32_e32 v9, v11, v9
	s_or_b64 exec, exec, s[78:79]
	s_and_saveexec_b64 s[78:79], s[4:5]
	s_cbranch_execz .LBB186_50
.LBB186_82:                             ;   in Loop: Header=BB186_47 Depth=1
	ds_read_b32 v11, v6 offset:32776
	s_waitcnt lgkmcnt(0)
	v_add_u32_e32 v9, v11, v9
	s_or_b64 exec, exec, s[78:79]
	s_and_saveexec_b64 s[78:79], s[6:7]
	s_cbranch_execz .LBB186_51
.LBB186_83:                             ;   in Loop: Header=BB186_47 Depth=1
	ds_read_b32 v11, v6 offset:32780
	s_waitcnt lgkmcnt(0)
	v_add_u32_e32 v9, v11, v9
	s_or_b64 exec, exec, s[78:79]
	s_and_saveexec_b64 s[78:79], s[8:9]
	s_cbranch_execz .LBB186_52
.LBB186_84:                             ;   in Loop: Header=BB186_47 Depth=1
	ds_read_b32 v11, v6 offset:32784
	s_waitcnt lgkmcnt(0)
	v_add_u32_e32 v9, v11, v9
	s_or_b64 exec, exec, s[78:79]
	s_and_saveexec_b64 s[78:79], s[10:11]
	s_cbranch_execz .LBB186_53
.LBB186_85:                             ;   in Loop: Header=BB186_47 Depth=1
	ds_read_b32 v11, v6 offset:32788
	s_waitcnt lgkmcnt(0)
	v_add_u32_e32 v9, v11, v9
	s_or_b64 exec, exec, s[78:79]
	s_and_saveexec_b64 s[78:79], s[12:13]
	s_cbranch_execz .LBB186_54
.LBB186_86:                             ;   in Loop: Header=BB186_47 Depth=1
	ds_read_b32 v11, v6 offset:32792
	s_waitcnt lgkmcnt(0)
	v_add_u32_e32 v9, v11, v9
	s_or_b64 exec, exec, s[78:79]
	s_and_saveexec_b64 s[78:79], s[14:15]
	s_cbranch_execz .LBB186_55
.LBB186_87:                             ;   in Loop: Header=BB186_47 Depth=1
	ds_read_b32 v11, v6 offset:32796
	s_waitcnt lgkmcnt(0)
	v_add_u32_e32 v9, v11, v9
	s_or_b64 exec, exec, s[78:79]
	s_and_saveexec_b64 s[78:79], s[16:17]
	s_cbranch_execz .LBB186_56
.LBB186_88:                             ;   in Loop: Header=BB186_47 Depth=1
	ds_read_b32 v11, v6 offset:32800
	s_waitcnt lgkmcnt(0)
	v_add_u32_e32 v9, v11, v9
	s_or_b64 exec, exec, s[78:79]
	s_and_saveexec_b64 s[78:79], s[18:19]
	s_cbranch_execz .LBB186_57
.LBB186_89:                             ;   in Loop: Header=BB186_47 Depth=1
	ds_read_b32 v11, v6 offset:32804
	s_waitcnt lgkmcnt(0)
	v_add_u32_e32 v9, v11, v9
	s_or_b64 exec, exec, s[78:79]
	s_and_saveexec_b64 s[78:79], s[20:21]
	s_cbranch_execz .LBB186_58
.LBB186_90:                             ;   in Loop: Header=BB186_47 Depth=1
	ds_read_b32 v11, v6 offset:32808
	s_waitcnt lgkmcnt(0)
	v_add_u32_e32 v9, v11, v9
	s_or_b64 exec, exec, s[78:79]
	s_and_saveexec_b64 s[78:79], s[22:23]
	s_cbranch_execz .LBB186_59
.LBB186_91:                             ;   in Loop: Header=BB186_47 Depth=1
	ds_read_b32 v11, v6 offset:32812
	s_waitcnt lgkmcnt(0)
	v_add_u32_e32 v9, v11, v9
	s_or_b64 exec, exec, s[78:79]
	s_and_saveexec_b64 s[78:79], s[24:25]
	s_cbranch_execz .LBB186_60
.LBB186_92:                             ;   in Loop: Header=BB186_47 Depth=1
	ds_read_b32 v11, v6 offset:32816
	s_waitcnt lgkmcnt(0)
	v_add_u32_e32 v9, v11, v9
	s_or_b64 exec, exec, s[78:79]
	s_and_saveexec_b64 s[78:79], s[26:27]
	s_cbranch_execz .LBB186_61
.LBB186_93:                             ;   in Loop: Header=BB186_47 Depth=1
	ds_read_b32 v11, v6 offset:32820
	s_waitcnt lgkmcnt(0)
	v_add_u32_e32 v9, v11, v9
	s_or_b64 exec, exec, s[78:79]
	s_and_saveexec_b64 s[78:79], s[28:29]
	s_cbranch_execz .LBB186_62
.LBB186_94:                             ;   in Loop: Header=BB186_47 Depth=1
	ds_read_b32 v11, v6 offset:32824
	s_waitcnt lgkmcnt(0)
	v_add_u32_e32 v9, v11, v9
	s_or_b64 exec, exec, s[78:79]
	s_and_saveexec_b64 s[78:79], s[30:31]
	s_cbranch_execz .LBB186_63
.LBB186_95:                             ;   in Loop: Header=BB186_47 Depth=1
	ds_read_b32 v11, v6 offset:32828
	s_waitcnt lgkmcnt(0)
	v_add_u32_e32 v9, v11, v9
	s_or_b64 exec, exec, s[78:79]
	s_and_saveexec_b64 s[78:79], s[34:35]
	s_cbranch_execz .LBB186_64
.LBB186_96:                             ;   in Loop: Header=BB186_47 Depth=1
	ds_read_b32 v11, v6 offset:32832
	s_waitcnt lgkmcnt(0)
	v_add_u32_e32 v9, v11, v9
	s_or_b64 exec, exec, s[78:79]
	s_and_saveexec_b64 s[78:79], s[36:37]
	s_cbranch_execz .LBB186_65
.LBB186_97:                             ;   in Loop: Header=BB186_47 Depth=1
	ds_read_b32 v11, v6 offset:32836
	s_waitcnt lgkmcnt(0)
	v_add_u32_e32 v9, v11, v9
	s_or_b64 exec, exec, s[78:79]
	s_and_saveexec_b64 s[78:79], s[38:39]
	s_cbranch_execz .LBB186_66
.LBB186_98:                             ;   in Loop: Header=BB186_47 Depth=1
	ds_read_b32 v11, v6 offset:32840
	s_waitcnt lgkmcnt(0)
	v_add_u32_e32 v9, v11, v9
	s_or_b64 exec, exec, s[78:79]
	s_and_saveexec_b64 s[78:79], s[40:41]
	s_cbranch_execz .LBB186_67
.LBB186_99:                             ;   in Loop: Header=BB186_47 Depth=1
	ds_read_b32 v11, v6 offset:32844
	s_waitcnt lgkmcnt(0)
	v_add_u32_e32 v9, v11, v9
	s_or_b64 exec, exec, s[78:79]
	s_and_saveexec_b64 s[78:79], s[42:43]
	s_cbranch_execz .LBB186_68
.LBB186_100:                            ;   in Loop: Header=BB186_47 Depth=1
	ds_read_b32 v11, v6 offset:32848
	s_waitcnt lgkmcnt(0)
	v_add_u32_e32 v9, v11, v9
	s_or_b64 exec, exec, s[78:79]
	s_and_saveexec_b64 s[78:79], s[44:45]
	s_cbranch_execz .LBB186_69
.LBB186_101:                            ;   in Loop: Header=BB186_47 Depth=1
	ds_read_b32 v11, v6 offset:32852
	s_waitcnt lgkmcnt(0)
	v_add_u32_e32 v9, v11, v9
	s_or_b64 exec, exec, s[78:79]
	s_and_saveexec_b64 s[78:79], s[46:47]
	s_cbranch_execz .LBB186_70
.LBB186_102:                            ;   in Loop: Header=BB186_47 Depth=1
	ds_read_b32 v11, v6 offset:32856
	s_waitcnt lgkmcnt(0)
	v_add_u32_e32 v9, v11, v9
	s_or_b64 exec, exec, s[78:79]
	s_and_saveexec_b64 s[78:79], s[48:49]
	s_cbranch_execz .LBB186_71
.LBB186_103:                            ;   in Loop: Header=BB186_47 Depth=1
	ds_read_b32 v11, v6 offset:32860
	s_waitcnt lgkmcnt(0)
	v_add_u32_e32 v9, v11, v9
	s_or_b64 exec, exec, s[78:79]
	s_and_saveexec_b64 s[78:79], s[50:51]
	s_cbranch_execz .LBB186_72
.LBB186_104:                            ;   in Loop: Header=BB186_47 Depth=1
	ds_read_b32 v11, v6 offset:32864
	s_waitcnt lgkmcnt(0)
	v_add_u32_e32 v9, v11, v9
	s_or_b64 exec, exec, s[78:79]
	s_and_saveexec_b64 s[78:79], s[52:53]
	s_cbranch_execz .LBB186_73
.LBB186_105:                            ;   in Loop: Header=BB186_47 Depth=1
	ds_read_b32 v11, v6 offset:32868
	s_waitcnt lgkmcnt(0)
	v_add_u32_e32 v9, v11, v9
	s_or_b64 exec, exec, s[78:79]
	s_and_saveexec_b64 s[78:79], s[54:55]
	s_cbranch_execz .LBB186_74
.LBB186_106:                            ;   in Loop: Header=BB186_47 Depth=1
	ds_read_b32 v11, v6 offset:32872
	s_waitcnt lgkmcnt(0)
	v_add_u32_e32 v9, v11, v9
	s_or_b64 exec, exec, s[78:79]
	s_and_saveexec_b64 s[78:79], s[56:57]
	s_cbranch_execz .LBB186_75
.LBB186_107:                            ;   in Loop: Header=BB186_47 Depth=1
	ds_read_b32 v11, v6 offset:32876
	s_waitcnt lgkmcnt(0)
	v_add_u32_e32 v9, v11, v9
	s_or_b64 exec, exec, s[78:79]
	s_and_saveexec_b64 s[78:79], s[58:59]
	s_cbranch_execz .LBB186_76
.LBB186_108:                            ;   in Loop: Header=BB186_47 Depth=1
	ds_read_b32 v11, v6 offset:32880
	s_waitcnt lgkmcnt(0)
	v_add_u32_e32 v9, v11, v9
	s_or_b64 exec, exec, s[78:79]
	s_and_saveexec_b64 s[78:79], s[60:61]
	s_cbranch_execz .LBB186_77
.LBB186_109:                            ;   in Loop: Header=BB186_47 Depth=1
	ds_read_b32 v11, v6 offset:32884
	s_waitcnt lgkmcnt(0)
	v_add_u32_e32 v9, v11, v9
	s_or_b64 exec, exec, s[78:79]
	s_and_saveexec_b64 s[78:79], s[62:63]
	s_cbranch_execz .LBB186_78
.LBB186_110:                            ;   in Loop: Header=BB186_47 Depth=1
	ds_read_b32 v11, v6 offset:32888
	s_waitcnt lgkmcnt(0)
	v_add_u32_e32 v9, v11, v9
	s_or_b64 exec, exec, s[78:79]
	s_and_saveexec_b64 s[78:79], s[64:65]
	s_cbranch_execz .LBB186_79
.LBB186_111:                            ;   in Loop: Header=BB186_47 Depth=1
	v_add3_u32 v11, v8, -1, v9
	v_lshl_add_u32 v11, v11, 2, 0
	ds_write2st64_b32 v11, v4, v5 offset1:64
	s_or_b64 exec, exec, s[78:79]
	s_and_saveexec_b64 s[64:65], vcc
	s_cbranch_execz .LBB186_46
.LBB186_112:                            ;   in Loop: Header=BB186_47 Depth=1
	ds_write_b32 v6, v9 offset:32892
	s_branch .LBB186_46
.LBB186_113:
	s_or_b64 exec, exec, s[68:69]
	s_ashr_i32 s77, s76, 31
	s_lshl_b64 s[0:1], s[76:77], 3
	s_add_u32 s0, s66, s0
	s_addc_u32 s1, s67, s1
	s_load_dwordx4 s[0:3], s[0:1], 0x0
	s_waitcnt lgkmcnt(0)
	s_sub_i32 s8, s2, s0
	v_cmp_gt_i32_e32 vcc, s8, v0
	s_and_saveexec_b64 s[4:5], vcc
	s_cbranch_execz .LBB186_123
; %bb.114:
	s_sub_u32 s4, s0, s70
	s_subb_u32 s5, s1, 0
	s_and_b32 s9, s8, 7
	s_sub_i32 s0, s0, s2
	s_cmp_lt_u32 s0, -7
	s_cselect_b64 s[0:1], -1, 0
	s_and_b32 s10, s8, -8
	s_cmp_lg_u32 s9, 0
	v_cndmask_b32_e64 v1, 0, 1, s[0:1]
	s_cselect_b64 s[2:3], -1, 0
	v_cmp_ne_u32_e64 s[0:1], 1, v1
	v_cndmask_b32_e64 v1, 0, 1, s[2:3]
	s_mov_b64 s[6:7], 0
	v_cmp_ne_u32_e64 s[2:3], 1, v1
	v_mov_b32_e32 v1, s73
	s_branch .LBB186_116
.LBB186_115:                            ;   in Loop: Header=BB186_116 Depth=1
	v_lshlrev_b64 v[4:5], 2, v[4:5]
	v_add_co_u32_e32 v6, vcc, s72, v4
	s_waitcnt lgkmcnt(0)
	v_add_u32_e32 v2, s70, v2
	v_addc_co_u32_e32 v7, vcc, v1, v5, vcc
	global_store_dword v[6:7], v2, off
	v_mov_b32_e32 v2, s75
	v_add_co_u32_e32 v4, vcc, s74, v4
	v_addc_co_u32_e32 v5, vcc, v2, v5, vcc
	v_add_u32_e32 v0, 0x400, v0
	v_cmp_le_i32_e32 vcc, s8, v0
	s_or_b64 s[6:7], vcc, s[6:7]
	global_store_dword v[4:5], v3, off
	s_andn2_b64 exec, exec, s[6:7]
	s_cbranch_execz .LBB186_123
.LBB186_116:                            ; =>This Loop Header: Depth=1
                                        ;     Child Loop BB186_118 Depth 2
                                        ;     Child Loop BB186_122 Depth 2
	v_lshl_add_u32 v2, v0, 2, 0
	ds_read2st64_b32 v[2:3], v2 offset1:64
	s_and_b64 vcc, exec, s[0:1]
	v_pk_mov_b32 v[4:5], s[4:5], s[4:5] op_sel:[0,1]
	s_mov_b32 s11, 0
	s_cbranch_vccnz .LBB186_120
; %bb.117:                              ;   in Loop: Header=BB186_116 Depth=1
	s_mov_b32 s12, 0
	v_pk_mov_b32 v[4:5], s[4:5], s[4:5] op_sel:[0,1]
.LBB186_118:                            ;   Parent Loop BB186_116 Depth=1
                                        ; =>  This Inner Loop Header: Depth=2
	v_mov_b32_e32 v12, s12
	ds_read2_b32 v[6:7], v12 offset1:1
	ds_read2_b32 v[8:9], v12 offset0:2 offset1:3
	ds_read2_b32 v[10:11], v12 offset0:4 offset1:5
	;; [unrolled: 1-line block ×3, first 2 shown]
	s_add_i32 s11, s11, 8
	s_waitcnt lgkmcnt(3)
	v_cmp_gt_i32_e32 vcc, v2, v6
	v_cndmask_b32_e64 v6, 0, 1, vcc
	v_cmp_gt_i32_e32 vcc, v2, v7
	v_cndmask_b32_e64 v7, 0, 1, vcc
	s_waitcnt lgkmcnt(2)
	v_cmp_gt_i32_e32 vcc, v2, v8
	v_cndmask_b32_e64 v8, 0, 1, vcc
	v_cmp_gt_i32_e32 vcc, v2, v9
	v_cndmask_b32_e64 v9, 0, 1, vcc
	;; [unrolled: 5-line block ×4, first 2 shown]
	v_add_co_u32_e32 v4, vcc, v4, v6
	v_addc_co_u32_e32 v5, vcc, 0, v5, vcc
	v_add_co_u32_e32 v4, vcc, v4, v7
	v_addc_co_u32_e32 v5, vcc, 0, v5, vcc
	;; [unrolled: 2-line block ×7, first 2 shown]
	s_add_i32 s12, s12, 32
	v_add_co_u32_e32 v4, vcc, v4, v13
	s_cmp_eq_u32 s10, s11
	v_addc_co_u32_e32 v5, vcc, 0, v5, vcc
	s_cbranch_scc0 .LBB186_118
; %bb.119:                              ;   in Loop: Header=BB186_116 Depth=1
	s_mov_b32 s11, s10
.LBB186_120:                            ;   in Loop: Header=BB186_116 Depth=1
	s_and_b64 vcc, exec, s[2:3]
	s_cbranch_vccnz .LBB186_115
; %bb.121:                              ;   in Loop: Header=BB186_116 Depth=1
	s_lshl_b32 s11, s11, 2
	s_add_i32 s11, s11, 0
	s_mov_b32 s12, s9
.LBB186_122:                            ;   Parent Loop BB186_116 Depth=1
                                        ; =>  This Inner Loop Header: Depth=2
	v_mov_b32_e32 v6, s11
	ds_read_b32 v6, v6
	s_add_i32 s11, s11, 4
	s_add_i32 s12, s12, -1
	s_cmp_lg_u32 s12, 0
	s_waitcnt lgkmcnt(0)
	v_cmp_gt_i32_e32 vcc, v2, v6
	v_cndmask_b32_e64 v6, 0, 1, vcc
	v_add_co_u32_e32 v4, vcc, v4, v6
	v_addc_co_u32_e32 v5, vcc, 0, v5, vcc
	s_cbranch_scc1 .LBB186_122
	s_branch .LBB186_115
.LBB186_123:
	s_endpgm
	.section	.rodata,"a",@progbits
	.p2align	6, 0x0
	.amdhsa_kernel _ZN9rocsparseL26csrgemm_fill_block_per_rowILj1024ELj64ELj4096ELj137ELj32ElifEEvT5_PKS1_S3_NS_24const_host_device_scalarIT6_EEPKT4_S3_PKS5_S9_S3_SB_S6_S9_S3_SB_S9_PS1_PS5_21rocsparse_index_base_SE_SE_SE_bbb
		.amdhsa_group_segment_fixed_size 0
		.amdhsa_private_segment_fixed_size 0
		.amdhsa_kernarg_size 156
		.amdhsa_user_sgpr_count 6
		.amdhsa_user_sgpr_private_segment_buffer 1
		.amdhsa_user_sgpr_dispatch_ptr 0
		.amdhsa_user_sgpr_queue_ptr 0
		.amdhsa_user_sgpr_kernarg_segment_ptr 1
		.amdhsa_user_sgpr_dispatch_id 0
		.amdhsa_user_sgpr_flat_scratch_init 0
		.amdhsa_user_sgpr_kernarg_preload_length 0
		.amdhsa_user_sgpr_kernarg_preload_offset 0
		.amdhsa_user_sgpr_private_segment_size 0
		.amdhsa_uses_dynamic_stack 0
		.amdhsa_system_sgpr_private_segment_wavefront_offset 0
		.amdhsa_system_sgpr_workgroup_id_x 1
		.amdhsa_system_sgpr_workgroup_id_y 0
		.amdhsa_system_sgpr_workgroup_id_z 0
		.amdhsa_system_sgpr_workgroup_info 0
		.amdhsa_system_vgpr_workitem_id 0
		.amdhsa_next_free_vgpr 22
		.amdhsa_next_free_sgpr 80
		.amdhsa_accum_offset 24
		.amdhsa_reserve_vcc 1
		.amdhsa_reserve_flat_scratch 0
		.amdhsa_float_round_mode_32 0
		.amdhsa_float_round_mode_16_64 0
		.amdhsa_float_denorm_mode_32 3
		.amdhsa_float_denorm_mode_16_64 3
		.amdhsa_dx10_clamp 1
		.amdhsa_ieee_mode 1
		.amdhsa_fp16_overflow 0
		.amdhsa_tg_split 0
		.amdhsa_exception_fp_ieee_invalid_op 0
		.amdhsa_exception_fp_denorm_src 0
		.amdhsa_exception_fp_ieee_div_zero 0
		.amdhsa_exception_fp_ieee_overflow 0
		.amdhsa_exception_fp_ieee_underflow 0
		.amdhsa_exception_fp_ieee_inexact 0
		.amdhsa_exception_int_div_zero 0
	.end_amdhsa_kernel
	.section	.text._ZN9rocsparseL26csrgemm_fill_block_per_rowILj1024ELj64ELj4096ELj137ELj32ElifEEvT5_PKS1_S3_NS_24const_host_device_scalarIT6_EEPKT4_S3_PKS5_S9_S3_SB_S6_S9_S3_SB_S9_PS1_PS5_21rocsparse_index_base_SE_SE_SE_bbb,"axG",@progbits,_ZN9rocsparseL26csrgemm_fill_block_per_rowILj1024ELj64ELj4096ELj137ELj32ElifEEvT5_PKS1_S3_NS_24const_host_device_scalarIT6_EEPKT4_S3_PKS5_S9_S3_SB_S6_S9_S3_SB_S9_PS1_PS5_21rocsparse_index_base_SE_SE_SE_bbb,comdat
.Lfunc_end186:
	.size	_ZN9rocsparseL26csrgemm_fill_block_per_rowILj1024ELj64ELj4096ELj137ELj32ElifEEvT5_PKS1_S3_NS_24const_host_device_scalarIT6_EEPKT4_S3_PKS5_S9_S3_SB_S6_S9_S3_SB_S9_PS1_PS5_21rocsparse_index_base_SE_SE_SE_bbb, .Lfunc_end186-_ZN9rocsparseL26csrgemm_fill_block_per_rowILj1024ELj64ELj4096ELj137ELj32ElifEEvT5_PKS1_S3_NS_24const_host_device_scalarIT6_EEPKT4_S3_PKS5_S9_S3_SB_S6_S9_S3_SB_S9_PS1_PS5_21rocsparse_index_base_SE_SE_SE_bbb
                                        ; -- End function
	.section	.AMDGPU.csdata,"",@progbits
; Kernel info:
; codeLenInByte = 3804
; NumSgprs: 84
; NumVgprs: 22
; NumAgprs: 0
; TotalNumVgprs: 22
; ScratchSize: 0
; MemoryBound: 0
; FloatMode: 240
; IeeeMode: 1
; LDSByteSize: 0 bytes/workgroup (compile time only)
; SGPRBlocks: 10
; VGPRBlocks: 2
; NumSGPRsForWavesPerEU: 84
; NumVGPRsForWavesPerEU: 22
; AccumOffset: 24
; Occupancy: 8
; WaveLimiterHint : 1
; COMPUTE_PGM_RSRC2:SCRATCH_EN: 0
; COMPUTE_PGM_RSRC2:USER_SGPR: 6
; COMPUTE_PGM_RSRC2:TRAP_HANDLER: 0
; COMPUTE_PGM_RSRC2:TGID_X_EN: 1
; COMPUTE_PGM_RSRC2:TGID_Y_EN: 0
; COMPUTE_PGM_RSRC2:TGID_Z_EN: 0
; COMPUTE_PGM_RSRC2:TIDIG_COMP_CNT: 0
; COMPUTE_PGM_RSRC3_GFX90A:ACCUM_OFFSET: 5
; COMPUTE_PGM_RSRC3_GFX90A:TG_SPLIT: 0
	.section	.text._ZN9rocsparseL26csrgemm_fill_block_per_rowILj1024ELj64ELj4096ELj137ELj64ElifEEvT5_PKS1_S3_NS_24const_host_device_scalarIT6_EEPKT4_S3_PKS5_S9_S3_SB_S6_S9_S3_SB_S9_PS1_PS5_21rocsparse_index_base_SE_SE_SE_bbb,"axG",@progbits,_ZN9rocsparseL26csrgemm_fill_block_per_rowILj1024ELj64ELj4096ELj137ELj64ElifEEvT5_PKS1_S3_NS_24const_host_device_scalarIT6_EEPKT4_S3_PKS5_S9_S3_SB_S6_S9_S3_SB_S9_PS1_PS5_21rocsparse_index_base_SE_SE_SE_bbb,comdat
	.globl	_ZN9rocsparseL26csrgemm_fill_block_per_rowILj1024ELj64ELj4096ELj137ELj64ElifEEvT5_PKS1_S3_NS_24const_host_device_scalarIT6_EEPKT4_S3_PKS5_S9_S3_SB_S6_S9_S3_SB_S9_PS1_PS5_21rocsparse_index_base_SE_SE_SE_bbb ; -- Begin function _ZN9rocsparseL26csrgemm_fill_block_per_rowILj1024ELj64ELj4096ELj137ELj64ElifEEvT5_PKS1_S3_NS_24const_host_device_scalarIT6_EEPKT4_S3_PKS5_S9_S3_SB_S6_S9_S3_SB_S9_PS1_PS5_21rocsparse_index_base_SE_SE_SE_bbb
	.p2align	8
	.type	_ZN9rocsparseL26csrgemm_fill_block_per_rowILj1024ELj64ELj4096ELj137ELj64ElifEEvT5_PKS1_S3_NS_24const_host_device_scalarIT6_EEPKT4_S3_PKS5_S9_S3_SB_S6_S9_S3_SB_S9_PS1_PS5_21rocsparse_index_base_SE_SE_SE_bbb,@function
_ZN9rocsparseL26csrgemm_fill_block_per_rowILj1024ELj64ELj4096ELj137ELj64ElifEEvT5_PKS1_S3_NS_24const_host_device_scalarIT6_EEPKT4_S3_PKS5_S9_S3_SB_S6_S9_S3_SB_S9_PS1_PS5_21rocsparse_index_base_SE_SE_SE_bbb: ; @_ZN9rocsparseL26csrgemm_fill_block_per_rowILj1024ELj64ELj4096ELj137ELj64ElifEEvT5_PKS1_S3_NS_24const_host_device_scalarIT6_EEPKT4_S3_PKS5_S9_S3_SB_S6_S9_S3_SB_S9_PS1_PS5_21rocsparse_index_base_SE_SE_SE_bbb
; %bb.0:
	s_load_dword s7, s[4:5], 0x98
	s_load_dwordx4 s[44:47], s[4:5], 0x88
	s_load_dwordx2 s[0:1], s[4:5], 0x18
	s_load_dwordx2 s[24:25], s[4:5], 0x50
	s_waitcnt lgkmcnt(0)
	s_bitcmp1_b32 s7, 0
	s_cselect_b64 s[2:3], -1, 0
	s_bitcmp1_b32 s7, 16
	s_cselect_b64 s[26:27], -1, 0
	s_xor_b64 s[8:9], s[2:3], -1
	s_or_b64 s[8:9], s[8:9], s[26:27]
	s_and_b64 vcc, exec, s[8:9]
	s_cbranch_vccnz .LBB187_2
; %bb.1:
	s_load_dword s0, s[0:1], 0x0
	s_waitcnt lgkmcnt(0)
	v_mov_b32_e32 v13, s0
	s_branch .LBB187_3
.LBB187_2:
	v_mov_b32_e32 v1, s0
	v_cndmask_b32_e64 v13, 0, v1, s[2:3]
.LBB187_3:
	s_load_dwordx4 s[48:51], s[4:5], 0x78
	s_load_dwordx8 s[36:43], s[4:5], 0x58
	s_load_dwordx4 s[16:19], s[4:5], 0x40
	s_load_dwordx4 s[20:23], s[4:5], 0x8
	s_load_dwordx8 s[8:15], s[4:5], 0x20
	s_bitcmp1_b32 s7, 8
	s_cselect_b64 s[0:1], -1, 0
	s_xor_b64 s[28:29], s[0:1], -1
	s_or_b64 s[26:27], s[28:29], s[26:27]
	s_and_b64 vcc, exec, s[26:27]
	s_cbranch_vccnz .LBB187_5
; %bb.4:
	s_load_dword s7, s[24:25], 0x0
	s_waitcnt lgkmcnt(0)
	v_mov_b32_e32 v11, s7
	s_branch .LBB187_6
.LBB187_5:
	v_mov_b32_e32 v1, s24
	v_cndmask_b32_e64 v11, 0, v1, s[0:1]
.LBB187_6:
	s_load_dword s33, s[4:5], 0x0
	v_or_b32_e32 v1, 0xfffffc00, v0
	v_lshl_add_u32 v10, v0, 2, 0
	s_mov_b64 s[4:5], 0
	v_mov_b32_e32 v2, 0
	s_waitcnt lgkmcnt(0)
	v_mov_b32_e32 v3, s33
	s_movk_i32 s7, 0xbff
	v_mov_b32_e32 v4, v10
	v_mov_b32_e32 v5, v1
.LBB187_7:                              ; =>This Inner Loop Header: Depth=1
	v_add_u32_e32 v5, 0x400, v5
	v_cmp_lt_u32_e32 vcc, s7, v5
	ds_write2st64_b32 v4, v3, v2 offset1:64
	s_or_b64 s[4:5], vcc, s[4:5]
	v_add_u32_e32 v4, 0x1000, v4
	s_andn2_b64 exec, exec, s[4:5]
	s_cbranch_execnz .LBB187_7
; %bb.8:
	s_or_b64 exec, exec, s[4:5]
	s_waitcnt lgkmcnt(0)
	s_barrier
	s_load_dword s4, s[20:21], 0x0
	s_mov_b32 s5, 0
	v_lshrrev_b32_e32 v12, 6, v0
	s_waitcnt lgkmcnt(0)
	s_add_i32 s4, s4, s6
	s_lshl_b64 s[4:5], s[4:5], 2
	s_add_u32 s4, s22, s4
	s_addc_u32 s5, s23, s5
	s_load_dword s34, s[4:5], 0x0
	s_and_b64 vcc, exec, s[2:3]
	s_cbranch_vccz .LBB187_28
; %bb.9:
	s_waitcnt lgkmcnt(0)
	s_ashr_i32 s35, s34, 31
	s_lshl_b64 s[2:3], s[34:35], 3
	s_add_u32 s2, s8, s2
	s_addc_u32 s3, s9, s3
	s_load_dwordx4 s[4:7], s[2:3], 0x0
	v_subrev_co_u32_e32 v2, vcc, s44, v12
	v_subb_co_u32_e64 v3, s[2:3], 0, 0, vcc
	s_waitcnt lgkmcnt(0)
	s_sub_u32 s2, s6, s44
	v_mov_b32_e32 v4, s5
	v_add_co_u32_e32 v2, vcc, s4, v2
	s_subb_u32 s3, s7, 0
	v_addc_co_u32_e32 v3, vcc, v4, v3, vcc
	v_cmp_gt_i64_e32 vcc, s[2:3], v[2:3]
	s_and_saveexec_b64 s[4:5], vcc
	s_cbranch_execz .LBB187_27
; %bb.10:
	v_and_b32_e32 v4, 63, v0
	v_subrev_co_u32_e32 v14, vcc, s45, v4
	s_mov_b32 s8, 0
	v_subb_co_u32_e64 v15, s[6:7], 0, 0, vcc
	s_mov_b32 s35, s45
	s_mov_b64 s[6:7], 0
	v_mov_b32_e32 v16, s11
	v_mov_b32_e32 v17, s15
	;; [unrolled: 1-line block ×3, first 2 shown]
	s_movk_i32 s11, 0x89
	s_branch .LBB187_12
.LBB187_11:                             ;   in Loop: Header=BB187_12 Depth=1
	s_or_b64 exec, exec, s[8:9]
	v_add_co_u32_e32 v2, vcc, 16, v2
	v_addc_co_u32_e32 v3, vcc, 0, v3, vcc
	v_cmp_le_i64_e32 vcc, s[2:3], v[2:3]
	s_or_b64 s[6:7], vcc, s[6:7]
	s_andn2_b64 exec, exec, s[6:7]
	s_cbranch_execz .LBB187_27
.LBB187_12:                             ; =>This Loop Header: Depth=1
                                        ;     Child Loop BB187_15 Depth 2
                                        ;       Child Loop BB187_17 Depth 3
	v_lshlrev_b64 v[8:9], 2, v[2:3]
	v_add_co_u32_e32 v4, vcc, s10, v8
	v_addc_co_u32_e32 v5, vcc, v16, v9, vcc
	global_load_dword v4, v[4:5], off
	s_waitcnt vmcnt(0)
	v_subrev_u32_e32 v4, s44, v4
	v_ashrrev_i32_e32 v5, 31, v4
	v_lshlrev_b64 v[4:5], 3, v[4:5]
	v_add_co_u32_e32 v4, vcc, s14, v4
	v_addc_co_u32_e32 v5, vcc, v17, v5, vcc
	global_load_dwordx4 v[20:23], v[4:5], off
	s_waitcnt vmcnt(0)
	v_subrev_co_u32_e32 v4, vcc, s35, v22
	v_subb_co_u32_e32 v5, vcc, v23, v18, vcc
	v_add_co_u32_e32 v6, vcc, v20, v14
	v_addc_co_u32_e32 v7, vcc, v21, v15, vcc
	v_cmp_lt_i64_e32 vcc, v[6:7], v[4:5]
	s_and_saveexec_b64 s[8:9], vcc
	s_cbranch_execz .LBB187_11
; %bb.13:                               ;   in Loop: Header=BB187_12 Depth=1
	v_mov_b32_e32 v19, s13
	v_add_co_u32_e32 v8, vcc, s12, v8
	v_addc_co_u32_e32 v9, vcc, v19, v9, vcc
	global_load_dword v8, v[8:9], off
	s_mov_b64 s[20:21], 0
	s_waitcnt vmcnt(0)
	v_mul_f32_e32 v8, v13, v8
	s_branch .LBB187_15
.LBB187_14:                             ;   in Loop: Header=BB187_15 Depth=2
	s_or_b64 exec, exec, s[22:23]
	v_add_co_u32_e32 v6, vcc, 64, v6
	v_addc_co_u32_e32 v7, vcc, 0, v7, vcc
	v_cmp_ge_i64_e32 vcc, v[6:7], v[4:5]
	s_or_b64 s[20:21], vcc, s[20:21]
	s_andn2_b64 exec, exec, s[20:21]
	s_cbranch_execz .LBB187_11
.LBB187_15:                             ;   Parent Loop BB187_12 Depth=1
                                        ; =>  This Loop Header: Depth=2
                                        ;       Child Loop BB187_17 Depth 3
	v_lshlrev_b64 v[20:21], 2, v[6:7]
	v_mov_b32_e32 v9, s17
	v_add_co_u32_e32 v22, vcc, s16, v20
	v_addc_co_u32_e32 v23, vcc, v9, v21, vcc
	global_load_dword v9, v[22:23], off
	v_mov_b32_e32 v19, s19
	v_add_co_u32_e32 v20, vcc, s18, v20
	v_addc_co_u32_e32 v21, vcc, v19, v21, vcc
	global_load_dword v19, v[20:21], off
	s_mov_b64 s[22:23], 0
	s_waitcnt vmcnt(1)
	v_subrev_u32_e32 v9, s45, v9
	v_mul_lo_u32 v20, v9, s11
	v_and_b32_e32 v20, 0xfff, v20
	s_waitcnt vmcnt(0)
	v_mul_f32_e32 v19, v8, v19
	s_branch .LBB187_17
.LBB187_16:                             ;   in Loop: Header=BB187_17 Depth=3
	s_or_b64 exec, exec, s[24:25]
	s_xor_b64 s[24:25], s[26:27], -1
	s_and_b64 s[24:25], exec, s[24:25]
	s_or_b64 s[22:23], s[24:25], s[22:23]
	s_andn2_b64 exec, exec, s[22:23]
	s_cbranch_execz .LBB187_14
.LBB187_17:                             ;   Parent Loop BB187_12 Depth=1
                                        ;     Parent Loop BB187_15 Depth=2
                                        ; =>    This Inner Loop Header: Depth=3
	v_lshl_add_u32 v21, v20, 2, 0
	ds_read_b32 v22, v21
                                        ; implicit-def: $sgpr26_sgpr27
	s_waitcnt lgkmcnt(0)
	v_cmp_ne_u32_e32 vcc, v22, v9
	s_and_saveexec_b64 s[24:25], vcc
	s_xor_b64 s[24:25], exec, s[24:25]
	s_cbranch_execz .LBB187_25
; %bb.18:                               ;   in Loop: Header=BB187_17 Depth=3
	v_cmp_ne_u32_e32 vcc, s33, v22
                                        ; implicit-def: $sgpr26_sgpr27
	s_and_saveexec_b64 s[28:29], vcc
	s_xor_b64 s[28:29], exec, s[28:29]
; %bb.19:                               ;   in Loop: Header=BB187_17 Depth=3
	v_add_u32_e32 v20, 1, v20
	v_and_b32_e32 v20, 0xfff, v20
	s_mov_b64 s[26:27], -1
                                        ; implicit-def: $vgpr21
; %bb.20:                               ;   in Loop: Header=BB187_17 Depth=3
	s_andn2_saveexec_b64 s[28:29], s[28:29]
	s_cbranch_execz .LBB187_24
; %bb.21:                               ;   in Loop: Header=BB187_17 Depth=3
	v_mov_b32_e32 v22, s33
	ds_cmpst_rtn_b32 v22, v21, v22, v9
	s_mov_b64 s[30:31], -1
	s_waitcnt lgkmcnt(0)
	v_cmp_eq_u32_e32 vcc, s33, v22
	s_and_saveexec_b64 s[52:53], vcc
	s_cbranch_execz .LBB187_23
; %bb.22:                               ;   in Loop: Header=BB187_17 Depth=3
	ds_add_f32 v21, v19 offset:16384
	s_xor_b64 s[30:31], exec, -1
.LBB187_23:                             ;   in Loop: Header=BB187_17 Depth=3
	s_or_b64 exec, exec, s[52:53]
	s_andn2_b64 s[26:27], s[26:27], exec
	s_and_b64 s[30:31], s[30:31], exec
	s_or_b64 s[26:27], s[26:27], s[30:31]
.LBB187_24:                             ;   in Loop: Header=BB187_17 Depth=3
	s_or_b64 exec, exec, s[28:29]
	s_and_b64 s[26:27], s[26:27], exec
                                        ; implicit-def: $vgpr21
.LBB187_25:                             ;   in Loop: Header=BB187_17 Depth=3
	s_andn2_saveexec_b64 s[24:25], s[24:25]
	s_cbranch_execz .LBB187_16
; %bb.26:                               ;   in Loop: Header=BB187_17 Depth=3
	ds_add_f32 v21, v19 offset:16384
	s_andn2_b64 s[26:27], s[26:27], exec
	s_branch .LBB187_16
.LBB187_27:
	s_or_b64 exec, exec, s[4:5]
.LBB187_28:
	s_andn2_b64 vcc, exec, s[0:1]
	s_cbranch_vccnz .LBB187_45
; %bb.29:
	s_waitcnt lgkmcnt(0)
	s_ashr_i32 s35, s34, 31
	s_lshl_b64 s[0:1], s[34:35], 3
	s_add_u32 s0, s36, s0
	s_addc_u32 s1, s37, s1
	s_load_dwordx4 s[4:7], s[0:1], 0x0
	v_subrev_co_u32_e32 v2, vcc, s47, v0
	v_subb_co_u32_e64 v3, s[0:1], 0, 0, vcc
	s_waitcnt lgkmcnt(0)
	s_sub_u32 s0, s6, s47
	v_mov_b32_e32 v4, s5
	v_add_co_u32_e32 v2, vcc, s4, v2
	s_subb_u32 s1, s7, 0
	v_addc_co_u32_e32 v3, vcc, v4, v3, vcc
	v_cmp_gt_i64_e32 vcc, s[0:1], v[2:3]
	s_and_saveexec_b64 s[2:3], vcc
	s_cbranch_execz .LBB187_44
; %bb.30:
	s_mov_b64 s[4:5], 0
	v_mov_b32_e32 v4, s39
	v_mov_b32_e32 v5, s41
	s_movk_i32 s18, 0x89
	s_branch .LBB187_32
.LBB187_31:                             ;   in Loop: Header=BB187_32 Depth=1
	s_or_b64 exec, exec, s[6:7]
	v_add_co_u32_e32 v2, vcc, 0x400, v2
	v_addc_co_u32_e32 v3, vcc, 0, v3, vcc
	v_cmp_le_i64_e32 vcc, s[0:1], v[2:3]
	s_or_b64 s[4:5], vcc, s[4:5]
	s_andn2_b64 exec, exec, s[4:5]
	s_cbranch_execz .LBB187_44
.LBB187_32:                             ; =>This Loop Header: Depth=1
                                        ;     Child Loop BB187_34 Depth 2
	v_lshlrev_b64 v[6:7], 2, v[2:3]
	v_add_co_u32_e32 v8, vcc, s38, v6
	v_addc_co_u32_e32 v9, vcc, v4, v7, vcc
	global_load_dword v8, v[8:9], off
	v_add_co_u32_e32 v6, vcc, s40, v6
	v_addc_co_u32_e32 v7, vcc, v5, v7, vcc
	global_load_dword v7, v[6:7], off
	s_mov_b64 s[6:7], 0
	s_waitcnt vmcnt(1)
	v_subrev_u32_e32 v6, s47, v8
	v_mul_lo_u32 v8, v6, s18
	v_and_b32_e32 v8, 0xfff, v8
	s_waitcnt vmcnt(0)
	v_mul_f32_e32 v7, v11, v7
	s_branch .LBB187_34
.LBB187_33:                             ;   in Loop: Header=BB187_34 Depth=2
	s_or_b64 exec, exec, s[8:9]
	s_xor_b64 s[8:9], s[10:11], -1
	s_and_b64 s[8:9], exec, s[8:9]
	s_or_b64 s[6:7], s[8:9], s[6:7]
	s_andn2_b64 exec, exec, s[6:7]
	s_cbranch_execz .LBB187_31
.LBB187_34:                             ;   Parent Loop BB187_32 Depth=1
                                        ; =>  This Inner Loop Header: Depth=2
	v_lshl_add_u32 v9, v8, 2, 0
	ds_read_b32 v13, v9
                                        ; implicit-def: $sgpr10_sgpr11
	s_waitcnt lgkmcnt(0)
	v_cmp_ne_u32_e32 vcc, v13, v6
	s_and_saveexec_b64 s[8:9], vcc
	s_xor_b64 s[8:9], exec, s[8:9]
	s_cbranch_execz .LBB187_42
; %bb.35:                               ;   in Loop: Header=BB187_34 Depth=2
	v_cmp_ne_u32_e32 vcc, s33, v13
                                        ; implicit-def: $sgpr10_sgpr11
	s_and_saveexec_b64 s[12:13], vcc
	s_xor_b64 s[12:13], exec, s[12:13]
; %bb.36:                               ;   in Loop: Header=BB187_34 Depth=2
	v_add_u32_e32 v8, 1, v8
	v_and_b32_e32 v8, 0xfff, v8
	s_mov_b64 s[10:11], -1
                                        ; implicit-def: $vgpr9
; %bb.37:                               ;   in Loop: Header=BB187_34 Depth=2
	s_andn2_saveexec_b64 s[12:13], s[12:13]
	s_cbranch_execz .LBB187_41
; %bb.38:                               ;   in Loop: Header=BB187_34 Depth=2
	v_mov_b32_e32 v13, s33
	ds_cmpst_rtn_b32 v13, v9, v13, v6
	s_mov_b64 s[14:15], -1
	s_waitcnt lgkmcnt(0)
	v_cmp_eq_u32_e32 vcc, s33, v13
	s_and_saveexec_b64 s[16:17], vcc
	s_cbranch_execz .LBB187_40
; %bb.39:                               ;   in Loop: Header=BB187_34 Depth=2
	ds_add_f32 v9, v7 offset:16384
	s_xor_b64 s[14:15], exec, -1
.LBB187_40:                             ;   in Loop: Header=BB187_34 Depth=2
	s_or_b64 exec, exec, s[16:17]
	s_andn2_b64 s[10:11], s[10:11], exec
	s_and_b64 s[14:15], s[14:15], exec
	s_or_b64 s[10:11], s[10:11], s[14:15]
.LBB187_41:                             ;   in Loop: Header=BB187_34 Depth=2
	s_or_b64 exec, exec, s[12:13]
	s_and_b64 s[10:11], s[10:11], exec
                                        ; implicit-def: $vgpr9
.LBB187_42:                             ;   in Loop: Header=BB187_34 Depth=2
	s_andn2_saveexec_b64 s[8:9], s[8:9]
	s_cbranch_execz .LBB187_33
; %bb.43:                               ;   in Loop: Header=BB187_34 Depth=2
	ds_add_f32 v9, v7 offset:16384
	s_andn2_b64 s[10:11], s[10:11], exec
	s_branch .LBB187_33
.LBB187_44:
	s_or_b64 exec, exec, s[2:3]
.LBB187_45:
	v_mbcnt_lo_u32_b32 v2, -1, 0
	v_mbcnt_hi_u32_b32 v2, -1, v2
	v_sub_u32_e32 v2, 63, v2
	s_movk_i32 s0, 0x3ff
	s_movk_i32 s2, 0x7f
	;; [unrolled: 1-line block ×15, first 2 shown]
	v_mov_b32_e32 v6, 0
	v_lshrrev_b64 v[2:3], v2, -1
	v_lshl_add_u32 v7, v12, 2, 0
	v_cmp_eq_u32_e32 vcc, s0, v0
	v_cmp_lt_u32_e64 s[0:1], 63, v0
	v_cmp_lt_u32_e64 s[2:3], s2, v0
	;; [unrolled: 1-line block ×15, first 2 shown]
	s_mov_b64 s[36:37], 0
	s_movk_i32 s35, 0xbff
	v_mov_b32_e32 v8, 0
	s_waitcnt lgkmcnt(0)
	s_barrier
	s_branch .LBB187_47
.LBB187_46:                             ;   in Loop: Header=BB187_47 Depth=1
	s_or_b64 exec, exec, s[30:31]
	s_waitcnt lgkmcnt(0)
	s_barrier
	ds_read_b32 v4, v6 offset:32828
	v_add_u32_e32 v1, 0x400, v1
	v_cmp_lt_u32_e64 s[30:31], s35, v1
	s_or_b64 s[36:37], s[30:31], s[36:37]
	v_add_u32_e32 v10, 0x1000, v10
	s_waitcnt lgkmcnt(0)
	v_add_u32_e32 v8, v4, v8
	s_andn2_b64 exec, exec, s[36:37]
	s_cbranch_execz .LBB187_81
.LBB187_47:                             ; =>This Inner Loop Header: Depth=1
	ds_read2st64_b32 v[4:5], v10 offset1:64
	s_waitcnt lgkmcnt(0)
	s_barrier
	v_cmp_gt_i32_e64 s[30:31], s33, v4
	v_and_b32_e32 v11, s30, v2
	s_bcnt1_i32_b64 s38, s[30:31]
	v_and_b32_e32 v9, s31, v3
	v_bcnt_u32_b32 v11, v11, 0
	v_bcnt_u32_b32 v9, v9, v11
	v_mov_b32_e32 v11, s38
	ds_write_b32 v7, v11 offset:32768
	s_waitcnt lgkmcnt(0)
	s_barrier
	s_and_saveexec_b64 s[38:39], s[0:1]
	s_cbranch_execnz .LBB187_64
; %bb.48:                               ;   in Loop: Header=BB187_47 Depth=1
	s_or_b64 exec, exec, s[38:39]
	s_and_saveexec_b64 s[38:39], s[2:3]
	s_cbranch_execnz .LBB187_65
.LBB187_49:                             ;   in Loop: Header=BB187_47 Depth=1
	s_or_b64 exec, exec, s[38:39]
	s_and_saveexec_b64 s[38:39], s[4:5]
	s_cbranch_execnz .LBB187_66
.LBB187_50:                             ;   in Loop: Header=BB187_47 Depth=1
	s_or_b64 exec, exec, s[38:39]
	s_and_saveexec_b64 s[38:39], s[6:7]
	s_cbranch_execnz .LBB187_67
.LBB187_51:                             ;   in Loop: Header=BB187_47 Depth=1
	s_or_b64 exec, exec, s[38:39]
	s_and_saveexec_b64 s[38:39], s[8:9]
	s_cbranch_execnz .LBB187_68
.LBB187_52:                             ;   in Loop: Header=BB187_47 Depth=1
	s_or_b64 exec, exec, s[38:39]
	s_and_saveexec_b64 s[38:39], s[10:11]
	s_cbranch_execnz .LBB187_69
.LBB187_53:                             ;   in Loop: Header=BB187_47 Depth=1
	s_or_b64 exec, exec, s[38:39]
	s_and_saveexec_b64 s[38:39], s[12:13]
	s_cbranch_execnz .LBB187_70
.LBB187_54:                             ;   in Loop: Header=BB187_47 Depth=1
	s_or_b64 exec, exec, s[38:39]
	s_and_saveexec_b64 s[38:39], s[14:15]
	s_cbranch_execnz .LBB187_71
.LBB187_55:                             ;   in Loop: Header=BB187_47 Depth=1
	s_or_b64 exec, exec, s[38:39]
	s_and_saveexec_b64 s[38:39], s[16:17]
	s_cbranch_execnz .LBB187_72
.LBB187_56:                             ;   in Loop: Header=BB187_47 Depth=1
	s_or_b64 exec, exec, s[38:39]
	s_and_saveexec_b64 s[38:39], s[18:19]
	s_cbranch_execnz .LBB187_73
.LBB187_57:                             ;   in Loop: Header=BB187_47 Depth=1
	s_or_b64 exec, exec, s[38:39]
	s_and_saveexec_b64 s[38:39], s[20:21]
	s_cbranch_execnz .LBB187_74
.LBB187_58:                             ;   in Loop: Header=BB187_47 Depth=1
	s_or_b64 exec, exec, s[38:39]
	s_and_saveexec_b64 s[38:39], s[22:23]
	s_cbranch_execnz .LBB187_75
.LBB187_59:                             ;   in Loop: Header=BB187_47 Depth=1
	s_or_b64 exec, exec, s[38:39]
	s_and_saveexec_b64 s[38:39], s[24:25]
	s_cbranch_execnz .LBB187_76
.LBB187_60:                             ;   in Loop: Header=BB187_47 Depth=1
	s_or_b64 exec, exec, s[38:39]
	s_and_saveexec_b64 s[38:39], s[26:27]
	s_cbranch_execnz .LBB187_77
.LBB187_61:                             ;   in Loop: Header=BB187_47 Depth=1
	s_or_b64 exec, exec, s[38:39]
	s_and_saveexec_b64 s[38:39], s[28:29]
	s_cbranch_execnz .LBB187_78
.LBB187_62:                             ;   in Loop: Header=BB187_47 Depth=1
	s_or_b64 exec, exec, s[38:39]
	s_and_saveexec_b64 s[38:39], s[30:31]
	s_cbranch_execnz .LBB187_79
.LBB187_63:                             ;   in Loop: Header=BB187_47 Depth=1
	s_or_b64 exec, exec, s[38:39]
	s_and_saveexec_b64 s[30:31], vcc
	s_cbranch_execz .LBB187_46
	s_branch .LBB187_80
.LBB187_64:                             ;   in Loop: Header=BB187_47 Depth=1
	ds_read_b32 v11, v6 offset:32768
	s_waitcnt lgkmcnt(0)
	v_add_u32_e32 v9, v11, v9
	s_or_b64 exec, exec, s[38:39]
	s_and_saveexec_b64 s[38:39], s[2:3]
	s_cbranch_execz .LBB187_49
.LBB187_65:                             ;   in Loop: Header=BB187_47 Depth=1
	ds_read_b32 v11, v6 offset:32772
	s_waitcnt lgkmcnt(0)
	v_add_u32_e32 v9, v11, v9
	s_or_b64 exec, exec, s[38:39]
	s_and_saveexec_b64 s[38:39], s[4:5]
	s_cbranch_execz .LBB187_50
.LBB187_66:                             ;   in Loop: Header=BB187_47 Depth=1
	ds_read_b32 v11, v6 offset:32776
	s_waitcnt lgkmcnt(0)
	v_add_u32_e32 v9, v11, v9
	s_or_b64 exec, exec, s[38:39]
	s_and_saveexec_b64 s[38:39], s[6:7]
	s_cbranch_execz .LBB187_51
.LBB187_67:                             ;   in Loop: Header=BB187_47 Depth=1
	ds_read_b32 v11, v6 offset:32780
	s_waitcnt lgkmcnt(0)
	v_add_u32_e32 v9, v11, v9
	s_or_b64 exec, exec, s[38:39]
	s_and_saveexec_b64 s[38:39], s[8:9]
	s_cbranch_execz .LBB187_52
.LBB187_68:                             ;   in Loop: Header=BB187_47 Depth=1
	ds_read_b32 v11, v6 offset:32784
	s_waitcnt lgkmcnt(0)
	v_add_u32_e32 v9, v11, v9
	s_or_b64 exec, exec, s[38:39]
	s_and_saveexec_b64 s[38:39], s[10:11]
	s_cbranch_execz .LBB187_53
.LBB187_69:                             ;   in Loop: Header=BB187_47 Depth=1
	ds_read_b32 v11, v6 offset:32788
	s_waitcnt lgkmcnt(0)
	v_add_u32_e32 v9, v11, v9
	s_or_b64 exec, exec, s[38:39]
	s_and_saveexec_b64 s[38:39], s[12:13]
	s_cbranch_execz .LBB187_54
.LBB187_70:                             ;   in Loop: Header=BB187_47 Depth=1
	ds_read_b32 v11, v6 offset:32792
	s_waitcnt lgkmcnt(0)
	v_add_u32_e32 v9, v11, v9
	s_or_b64 exec, exec, s[38:39]
	s_and_saveexec_b64 s[38:39], s[14:15]
	s_cbranch_execz .LBB187_55
.LBB187_71:                             ;   in Loop: Header=BB187_47 Depth=1
	ds_read_b32 v11, v6 offset:32796
	s_waitcnt lgkmcnt(0)
	v_add_u32_e32 v9, v11, v9
	s_or_b64 exec, exec, s[38:39]
	s_and_saveexec_b64 s[38:39], s[16:17]
	s_cbranch_execz .LBB187_56
.LBB187_72:                             ;   in Loop: Header=BB187_47 Depth=1
	ds_read_b32 v11, v6 offset:32800
	s_waitcnt lgkmcnt(0)
	v_add_u32_e32 v9, v11, v9
	s_or_b64 exec, exec, s[38:39]
	s_and_saveexec_b64 s[38:39], s[18:19]
	s_cbranch_execz .LBB187_57
.LBB187_73:                             ;   in Loop: Header=BB187_47 Depth=1
	ds_read_b32 v11, v6 offset:32804
	s_waitcnt lgkmcnt(0)
	v_add_u32_e32 v9, v11, v9
	s_or_b64 exec, exec, s[38:39]
	s_and_saveexec_b64 s[38:39], s[20:21]
	s_cbranch_execz .LBB187_58
.LBB187_74:                             ;   in Loop: Header=BB187_47 Depth=1
	ds_read_b32 v11, v6 offset:32808
	s_waitcnt lgkmcnt(0)
	v_add_u32_e32 v9, v11, v9
	s_or_b64 exec, exec, s[38:39]
	s_and_saveexec_b64 s[38:39], s[22:23]
	s_cbranch_execz .LBB187_59
.LBB187_75:                             ;   in Loop: Header=BB187_47 Depth=1
	ds_read_b32 v11, v6 offset:32812
	s_waitcnt lgkmcnt(0)
	v_add_u32_e32 v9, v11, v9
	s_or_b64 exec, exec, s[38:39]
	s_and_saveexec_b64 s[38:39], s[24:25]
	s_cbranch_execz .LBB187_60
.LBB187_76:                             ;   in Loop: Header=BB187_47 Depth=1
	ds_read_b32 v11, v6 offset:32816
	s_waitcnt lgkmcnt(0)
	v_add_u32_e32 v9, v11, v9
	s_or_b64 exec, exec, s[38:39]
	s_and_saveexec_b64 s[38:39], s[26:27]
	s_cbranch_execz .LBB187_61
.LBB187_77:                             ;   in Loop: Header=BB187_47 Depth=1
	ds_read_b32 v11, v6 offset:32820
	s_waitcnt lgkmcnt(0)
	v_add_u32_e32 v9, v11, v9
	s_or_b64 exec, exec, s[38:39]
	s_and_saveexec_b64 s[38:39], s[28:29]
	s_cbranch_execz .LBB187_62
.LBB187_78:                             ;   in Loop: Header=BB187_47 Depth=1
	ds_read_b32 v11, v6 offset:32824
	s_waitcnt lgkmcnt(0)
	v_add_u32_e32 v9, v11, v9
	s_or_b64 exec, exec, s[38:39]
	s_and_saveexec_b64 s[38:39], s[30:31]
	s_cbranch_execz .LBB187_63
.LBB187_79:                             ;   in Loop: Header=BB187_47 Depth=1
	v_add3_u32 v11, v8, -1, v9
	v_lshl_add_u32 v11, v11, 2, 0
	ds_write2st64_b32 v11, v4, v5 offset1:64
	s_or_b64 exec, exec, s[38:39]
	s_and_saveexec_b64 s[30:31], vcc
	s_cbranch_execz .LBB187_46
.LBB187_80:                             ;   in Loop: Header=BB187_47 Depth=1
	ds_write_b32 v6, v9 offset:32828
	s_branch .LBB187_46
.LBB187_81:
	s_or_b64 exec, exec, s[36:37]
	s_ashr_i32 s35, s34, 31
	s_lshl_b64 s[0:1], s[34:35], 3
	s_add_u32 s0, s42, s0
	s_addc_u32 s1, s43, s1
	s_load_dwordx4 s[0:3], s[0:1], 0x0
	s_waitcnt lgkmcnt(0)
	s_sub_i32 s8, s2, s0
	v_cmp_gt_i32_e32 vcc, s8, v0
	s_and_saveexec_b64 s[4:5], vcc
	s_cbranch_execz .LBB187_91
; %bb.82:
	s_sub_u32 s4, s0, s46
	s_subb_u32 s5, s1, 0
	s_and_b32 s9, s8, 7
	s_sub_i32 s0, s0, s2
	s_cmp_lt_u32 s0, -7
	s_cselect_b64 s[0:1], -1, 0
	s_and_b32 s10, s8, -8
	s_cmp_lg_u32 s9, 0
	v_cndmask_b32_e64 v1, 0, 1, s[0:1]
	s_cselect_b64 s[2:3], -1, 0
	v_cmp_ne_u32_e64 s[0:1], 1, v1
	v_cndmask_b32_e64 v1, 0, 1, s[2:3]
	s_mov_b64 s[6:7], 0
	v_cmp_ne_u32_e64 s[2:3], 1, v1
	v_mov_b32_e32 v1, s49
	s_branch .LBB187_84
.LBB187_83:                             ;   in Loop: Header=BB187_84 Depth=1
	v_lshlrev_b64 v[4:5], 2, v[4:5]
	v_add_co_u32_e32 v6, vcc, s48, v4
	s_waitcnt lgkmcnt(0)
	v_add_u32_e32 v2, s46, v2
	v_addc_co_u32_e32 v7, vcc, v1, v5, vcc
	global_store_dword v[6:7], v2, off
	v_mov_b32_e32 v2, s51
	v_add_co_u32_e32 v4, vcc, s50, v4
	v_addc_co_u32_e32 v5, vcc, v2, v5, vcc
	v_add_u32_e32 v0, 0x400, v0
	v_cmp_le_i32_e32 vcc, s8, v0
	s_or_b64 s[6:7], vcc, s[6:7]
	global_store_dword v[4:5], v3, off
	s_andn2_b64 exec, exec, s[6:7]
	s_cbranch_execz .LBB187_91
.LBB187_84:                             ; =>This Loop Header: Depth=1
                                        ;     Child Loop BB187_86 Depth 2
                                        ;     Child Loop BB187_90 Depth 2
	v_lshl_add_u32 v2, v0, 2, 0
	ds_read2st64_b32 v[2:3], v2 offset1:64
	s_and_b64 vcc, exec, s[0:1]
	v_pk_mov_b32 v[4:5], s[4:5], s[4:5] op_sel:[0,1]
	s_mov_b32 s11, 0
	s_cbranch_vccnz .LBB187_88
; %bb.85:                               ;   in Loop: Header=BB187_84 Depth=1
	s_mov_b32 s12, 0
	v_pk_mov_b32 v[4:5], s[4:5], s[4:5] op_sel:[0,1]
.LBB187_86:                             ;   Parent Loop BB187_84 Depth=1
                                        ; =>  This Inner Loop Header: Depth=2
	v_mov_b32_e32 v12, s12
	ds_read2_b32 v[6:7], v12 offset1:1
	ds_read2_b32 v[8:9], v12 offset0:2 offset1:3
	ds_read2_b32 v[10:11], v12 offset0:4 offset1:5
	;; [unrolled: 1-line block ×3, first 2 shown]
	s_add_i32 s11, s11, 8
	s_waitcnt lgkmcnt(3)
	v_cmp_gt_i32_e32 vcc, v2, v6
	v_cndmask_b32_e64 v6, 0, 1, vcc
	v_cmp_gt_i32_e32 vcc, v2, v7
	v_cndmask_b32_e64 v7, 0, 1, vcc
	s_waitcnt lgkmcnt(2)
	v_cmp_gt_i32_e32 vcc, v2, v8
	v_cndmask_b32_e64 v8, 0, 1, vcc
	v_cmp_gt_i32_e32 vcc, v2, v9
	v_cndmask_b32_e64 v9, 0, 1, vcc
	;; [unrolled: 5-line block ×4, first 2 shown]
	v_add_co_u32_e32 v4, vcc, v4, v6
	v_addc_co_u32_e32 v5, vcc, 0, v5, vcc
	v_add_co_u32_e32 v4, vcc, v4, v7
	v_addc_co_u32_e32 v5, vcc, 0, v5, vcc
	v_add_co_u32_e32 v4, vcc, v4, v8
	v_addc_co_u32_e32 v5, vcc, 0, v5, vcc
	v_add_co_u32_e32 v4, vcc, v4, v9
	v_addc_co_u32_e32 v5, vcc, 0, v5, vcc
	v_add_co_u32_e32 v4, vcc, v4, v10
	v_addc_co_u32_e32 v5, vcc, 0, v5, vcc
	v_add_co_u32_e32 v4, vcc, v4, v11
	v_addc_co_u32_e32 v5, vcc, 0, v5, vcc
	v_add_co_u32_e32 v4, vcc, v4, v12
	v_addc_co_u32_e32 v5, vcc, 0, v5, vcc
	s_add_i32 s12, s12, 32
	v_add_co_u32_e32 v4, vcc, v4, v13
	s_cmp_eq_u32 s10, s11
	v_addc_co_u32_e32 v5, vcc, 0, v5, vcc
	s_cbranch_scc0 .LBB187_86
; %bb.87:                               ;   in Loop: Header=BB187_84 Depth=1
	s_mov_b32 s11, s10
.LBB187_88:                             ;   in Loop: Header=BB187_84 Depth=1
	s_and_b64 vcc, exec, s[2:3]
	s_cbranch_vccnz .LBB187_83
; %bb.89:                               ;   in Loop: Header=BB187_84 Depth=1
	s_lshl_b32 s11, s11, 2
	s_add_i32 s11, s11, 0
	s_mov_b32 s12, s9
.LBB187_90:                             ;   Parent Loop BB187_84 Depth=1
                                        ; =>  This Inner Loop Header: Depth=2
	v_mov_b32_e32 v6, s11
	ds_read_b32 v6, v6
	s_add_i32 s11, s11, 4
	s_add_i32 s12, s12, -1
	s_cmp_lg_u32 s12, 0
	s_waitcnt lgkmcnt(0)
	v_cmp_gt_i32_e32 vcc, v2, v6
	v_cndmask_b32_e64 v6, 0, 1, vcc
	v_add_co_u32_e32 v4, vcc, v4, v6
	v_addc_co_u32_e32 v5, vcc, 0, v5, vcc
	s_cbranch_scc1 .LBB187_90
	s_branch .LBB187_83
.LBB187_91:
	s_endpgm
	.section	.rodata,"a",@progbits
	.p2align	6, 0x0
	.amdhsa_kernel _ZN9rocsparseL26csrgemm_fill_block_per_rowILj1024ELj64ELj4096ELj137ELj64ElifEEvT5_PKS1_S3_NS_24const_host_device_scalarIT6_EEPKT4_S3_PKS5_S9_S3_SB_S6_S9_S3_SB_S9_PS1_PS5_21rocsparse_index_base_SE_SE_SE_bbb
		.amdhsa_group_segment_fixed_size 0
		.amdhsa_private_segment_fixed_size 0
		.amdhsa_kernarg_size 156
		.amdhsa_user_sgpr_count 6
		.amdhsa_user_sgpr_private_segment_buffer 1
		.amdhsa_user_sgpr_dispatch_ptr 0
		.amdhsa_user_sgpr_queue_ptr 0
		.amdhsa_user_sgpr_kernarg_segment_ptr 1
		.amdhsa_user_sgpr_dispatch_id 0
		.amdhsa_user_sgpr_flat_scratch_init 0
		.amdhsa_user_sgpr_kernarg_preload_length 0
		.amdhsa_user_sgpr_kernarg_preload_offset 0
		.amdhsa_user_sgpr_private_segment_size 0
		.amdhsa_uses_dynamic_stack 0
		.amdhsa_system_sgpr_private_segment_wavefront_offset 0
		.amdhsa_system_sgpr_workgroup_id_x 1
		.amdhsa_system_sgpr_workgroup_id_y 0
		.amdhsa_system_sgpr_workgroup_id_z 0
		.amdhsa_system_sgpr_workgroup_info 0
		.amdhsa_system_vgpr_workitem_id 0
		.amdhsa_next_free_vgpr 24
		.amdhsa_next_free_sgpr 54
		.amdhsa_accum_offset 24
		.amdhsa_reserve_vcc 1
		.amdhsa_reserve_flat_scratch 0
		.amdhsa_float_round_mode_32 0
		.amdhsa_float_round_mode_16_64 0
		.amdhsa_float_denorm_mode_32 3
		.amdhsa_float_denorm_mode_16_64 3
		.amdhsa_dx10_clamp 1
		.amdhsa_ieee_mode 1
		.amdhsa_fp16_overflow 0
		.amdhsa_tg_split 0
		.amdhsa_exception_fp_ieee_invalid_op 0
		.amdhsa_exception_fp_denorm_src 0
		.amdhsa_exception_fp_ieee_div_zero 0
		.amdhsa_exception_fp_ieee_overflow 0
		.amdhsa_exception_fp_ieee_underflow 0
		.amdhsa_exception_fp_ieee_inexact 0
		.amdhsa_exception_int_div_zero 0
	.end_amdhsa_kernel
	.section	.text._ZN9rocsparseL26csrgemm_fill_block_per_rowILj1024ELj64ELj4096ELj137ELj64ElifEEvT5_PKS1_S3_NS_24const_host_device_scalarIT6_EEPKT4_S3_PKS5_S9_S3_SB_S6_S9_S3_SB_S9_PS1_PS5_21rocsparse_index_base_SE_SE_SE_bbb,"axG",@progbits,_ZN9rocsparseL26csrgemm_fill_block_per_rowILj1024ELj64ELj4096ELj137ELj64ElifEEvT5_PKS1_S3_NS_24const_host_device_scalarIT6_EEPKT4_S3_PKS5_S9_S3_SB_S6_S9_S3_SB_S9_PS1_PS5_21rocsparse_index_base_SE_SE_SE_bbb,comdat
.Lfunc_end187:
	.size	_ZN9rocsparseL26csrgemm_fill_block_per_rowILj1024ELj64ELj4096ELj137ELj64ElifEEvT5_PKS1_S3_NS_24const_host_device_scalarIT6_EEPKT4_S3_PKS5_S9_S3_SB_S6_S9_S3_SB_S9_PS1_PS5_21rocsparse_index_base_SE_SE_SE_bbb, .Lfunc_end187-_ZN9rocsparseL26csrgemm_fill_block_per_rowILj1024ELj64ELj4096ELj137ELj64ElifEEvT5_PKS1_S3_NS_24const_host_device_scalarIT6_EEPKT4_S3_PKS5_S9_S3_SB_S6_S9_S3_SB_S9_PS1_PS5_21rocsparse_index_base_SE_SE_SE_bbb
                                        ; -- End function
	.section	.AMDGPU.csdata,"",@progbits
; Kernel info:
; codeLenInByte = 2968
; NumSgprs: 58
; NumVgprs: 24
; NumAgprs: 0
; TotalNumVgprs: 24
; ScratchSize: 0
; MemoryBound: 0
; FloatMode: 240
; IeeeMode: 1
; LDSByteSize: 0 bytes/workgroup (compile time only)
; SGPRBlocks: 7
; VGPRBlocks: 2
; NumSGPRsForWavesPerEU: 58
; NumVGPRsForWavesPerEU: 24
; AccumOffset: 24
; Occupancy: 8
; WaveLimiterHint : 1
; COMPUTE_PGM_RSRC2:SCRATCH_EN: 0
; COMPUTE_PGM_RSRC2:USER_SGPR: 6
; COMPUTE_PGM_RSRC2:TRAP_HANDLER: 0
; COMPUTE_PGM_RSRC2:TGID_X_EN: 1
; COMPUTE_PGM_RSRC2:TGID_Y_EN: 0
; COMPUTE_PGM_RSRC2:TGID_Z_EN: 0
; COMPUTE_PGM_RSRC2:TIDIG_COMP_CNT: 0
; COMPUTE_PGM_RSRC3_GFX90A:ACCUM_OFFSET: 5
; COMPUTE_PGM_RSRC3_GFX90A:TG_SPLIT: 0
	.section	.text._ZN9rocsparseL26csrgemm_fill_block_per_rowILj1024ELj64ELj8192ELj137ELj32ElifEEvT5_PKS1_S3_NS_24const_host_device_scalarIT6_EEPKT4_S3_PKS5_S9_S3_SB_S6_S9_S3_SB_S9_PS1_PS5_21rocsparse_index_base_SE_SE_SE_bbb,"axG",@progbits,_ZN9rocsparseL26csrgemm_fill_block_per_rowILj1024ELj64ELj8192ELj137ELj32ElifEEvT5_PKS1_S3_NS_24const_host_device_scalarIT6_EEPKT4_S3_PKS5_S9_S3_SB_S6_S9_S3_SB_S9_PS1_PS5_21rocsparse_index_base_SE_SE_SE_bbb,comdat
	.globl	_ZN9rocsparseL26csrgemm_fill_block_per_rowILj1024ELj64ELj8192ELj137ELj32ElifEEvT5_PKS1_S3_NS_24const_host_device_scalarIT6_EEPKT4_S3_PKS5_S9_S3_SB_S6_S9_S3_SB_S9_PS1_PS5_21rocsparse_index_base_SE_SE_SE_bbb ; -- Begin function _ZN9rocsparseL26csrgemm_fill_block_per_rowILj1024ELj64ELj8192ELj137ELj32ElifEEvT5_PKS1_S3_NS_24const_host_device_scalarIT6_EEPKT4_S3_PKS5_S9_S3_SB_S6_S9_S3_SB_S9_PS1_PS5_21rocsparse_index_base_SE_SE_SE_bbb
	.p2align	8
	.type	_ZN9rocsparseL26csrgemm_fill_block_per_rowILj1024ELj64ELj8192ELj137ELj32ElifEEvT5_PKS1_S3_NS_24const_host_device_scalarIT6_EEPKT4_S3_PKS5_S9_S3_SB_S6_S9_S3_SB_S9_PS1_PS5_21rocsparse_index_base_SE_SE_SE_bbb,@function
_ZN9rocsparseL26csrgemm_fill_block_per_rowILj1024ELj64ELj8192ELj137ELj32ElifEEvT5_PKS1_S3_NS_24const_host_device_scalarIT6_EEPKT4_S3_PKS5_S9_S3_SB_S6_S9_S3_SB_S9_PS1_PS5_21rocsparse_index_base_SE_SE_SE_bbb: ; @_ZN9rocsparseL26csrgemm_fill_block_per_rowILj1024ELj64ELj8192ELj137ELj32ElifEEvT5_PKS1_S3_NS_24const_host_device_scalarIT6_EEPKT4_S3_PKS5_S9_S3_SB_S6_S9_S3_SB_S9_PS1_PS5_21rocsparse_index_base_SE_SE_SE_bbb
; %bb.0:
	s_load_dword s7, s[4:5], 0x98
	s_load_dwordx4 s[8:11], s[4:5], 0x8
	s_load_dwordx2 s[0:1], s[4:5], 0x18
	s_load_dwordx4 s[64:67], s[4:5], 0x88
	s_load_dwordx2 s[12:13], s[4:5], 0x50
	s_waitcnt lgkmcnt(0)
	s_bitcmp1_b32 s7, 0
	s_cselect_b64 s[2:3], -1, 0
	s_bitcmp1_b32 s7, 16
	s_cselect_b64 s[14:15], -1, 0
	s_xor_b64 s[16:17], s[2:3], -1
	s_or_b64 s[16:17], s[16:17], s[14:15]
	s_and_b64 vcc, exec, s[16:17]
	s_cbranch_vccnz .LBB188_2
; %bb.1:
	s_load_dword s0, s[0:1], 0x0
	s_waitcnt lgkmcnt(0)
	v_mov_b32_e32 v10, s0
	s_branch .LBB188_3
.LBB188_2:
	v_mov_b32_e32 v1, s0
	v_cndmask_b32_e64 v10, 0, v1, s[2:3]
.LBB188_3:
	s_bitcmp1_b32 s7, 8
	s_cselect_b64 s[0:1], -1, 0
	s_xor_b64 s[16:17], s[0:1], -1
	s_or_b64 s[14:15], s[16:17], s[14:15]
	s_mov_b32 s7, 0
	s_and_b64 vcc, exec, s[14:15]
	s_cbranch_vccnz .LBB188_5
; %bb.4:
	s_load_dword s12, s[12:13], 0x0
	s_waitcnt lgkmcnt(0)
	v_mov_b32_e32 v1, s12
	s_branch .LBB188_6
.LBB188_5:
	v_mov_b32_e32 v1, s12
	v_cndmask_b32_e64 v1, 0, v1, s[0:1]
.LBB188_6:
	s_load_dword s33, s[4:5], 0x0
	v_lshlrev_b32_e32 v2, 2, v0
	s_add_i32 s12, 0, 0x8000
	v_mov_b32_e32 v3, 0
	v_add_u32_e32 v4, 0, v2
	s_waitcnt lgkmcnt(0)
	v_mov_b32_e32 v5, s33
	v_mov_b32_e32 v6, s33
	v_add_u32_e32 v2, s12, v2
	ds_write_b32 v4, v3 offset:32768
	ds_write2st64_b32 v4, v5, v6 offset1:16
	ds_write2st64_b32 v2, v3, v3 offset0:16 offset1:32
	ds_write2st64_b32 v4, v5, v6 offset0:32 offset1:48
	;; [unrolled: 1-line block ×6, first 2 shown]
	ds_write_b32 v2, v3 offset:28672
	s_waitcnt lgkmcnt(0)
	s_barrier
	s_load_dword s8, s[8:9], 0x0
	s_waitcnt lgkmcnt(0)
	s_add_i32 s6, s8, s6
	s_lshl_b64 s[6:7], s[6:7], 2
	s_add_u32 s6, s10, s6
	s_addc_u32 s7, s11, s7
	s_load_dword s42, s[6:7], 0x0
	s_andn2_b64 vcc, exec, s[2:3]
	s_cbranch_vccnz .LBB188_26
; %bb.7:
	s_load_dwordx2 s[2:3], s[4:5], 0x20
	s_waitcnt lgkmcnt(0)
	s_ashr_i32 s43, s42, 31
	s_lshl_b64 s[6:7], s[42:43], 3
	v_lshrrev_b32_e32 v2, 6, v0
	v_subrev_co_u32_e32 v2, vcc, s64, v2
	s_add_u32 s2, s2, s6
	s_addc_u32 s3, s3, s7
	s_load_dwordx4 s[8:11], s[2:3], 0x0
	v_subb_co_u32_e64 v3, s[2:3], 0, 0, vcc
	s_mov_b32 s20, 0
	s_waitcnt lgkmcnt(0)
	s_sub_u32 s2, s10, s64
	v_mov_b32_e32 v4, s9
	v_add_co_u32_e32 v2, vcc, s8, v2
	s_subb_u32 s3, s11, 0
	v_addc_co_u32_e32 v3, vcc, v4, v3, vcc
	v_cmp_gt_i64_e32 vcc, s[2:3], v[2:3]
	s_and_saveexec_b64 s[6:7], vcc
	s_cbranch_execz .LBB188_25
; %bb.8:
	s_load_dwordx2 s[16:17], s[4:5], 0x48
	s_load_dwordx8 s[8:15], s[4:5], 0x28
	v_and_b32_e32 v4, 63, v0
	v_subrev_co_u32_e32 v11, vcc, s65, v4
	v_subb_co_u32_e64 v12, s[18:19], 0, 0, vcc
	s_mov_b32 s38, s65
	s_mov_b64 s[18:19], 0
	s_waitcnt lgkmcnt(0)
	v_mov_b32_e32 v13, s9
	v_mov_b32_e32 v14, s13
	;; [unrolled: 1-line block ×3, first 2 shown]
	s_movk_i32 s9, 0x89
	s_branch .LBB188_10
.LBB188_9:                              ;   in Loop: Header=BB188_10 Depth=1
	s_or_b64 exec, exec, s[20:21]
	v_add_co_u32_e32 v2, vcc, 16, v2
	v_addc_co_u32_e32 v3, vcc, 0, v3, vcc
	v_cmp_le_i64_e32 vcc, s[2:3], v[2:3]
	s_or_b64 s[18:19], vcc, s[18:19]
	s_andn2_b64 exec, exec, s[18:19]
	s_cbranch_execz .LBB188_25
.LBB188_10:                             ; =>This Loop Header: Depth=1
                                        ;     Child Loop BB188_13 Depth 2
                                        ;       Child Loop BB188_15 Depth 3
	v_lshlrev_b64 v[8:9], 2, v[2:3]
	v_add_co_u32_e32 v4, vcc, s8, v8
	v_addc_co_u32_e32 v5, vcc, v13, v9, vcc
	global_load_dword v4, v[4:5], off
	s_waitcnt vmcnt(0)
	v_subrev_u32_e32 v4, s64, v4
	v_ashrrev_i32_e32 v5, 31, v4
	v_lshlrev_b64 v[4:5], 3, v[4:5]
	v_add_co_u32_e32 v4, vcc, s12, v4
	v_addc_co_u32_e32 v5, vcc, v14, v5, vcc
	global_load_dwordx4 v[16:19], v[4:5], off
	s_waitcnt vmcnt(0)
	v_subrev_co_u32_e32 v4, vcc, s38, v18
	v_subb_co_u32_e32 v5, vcc, v19, v15, vcc
	v_add_co_u32_e32 v6, vcc, v16, v11
	v_addc_co_u32_e32 v7, vcc, v17, v12, vcc
	v_cmp_lt_i64_e32 vcc, v[6:7], v[4:5]
	s_and_saveexec_b64 s[20:21], vcc
	s_cbranch_execz .LBB188_9
; %bb.11:                               ;   in Loop: Header=BB188_10 Depth=1
	v_mov_b32_e32 v16, s11
	v_add_co_u32_e32 v8, vcc, s10, v8
	v_addc_co_u32_e32 v9, vcc, v16, v9, vcc
	global_load_dword v8, v[8:9], off
	s_mov_b64 s[22:23], 0
	s_waitcnt vmcnt(0)
	v_mul_f32_e32 v8, v10, v8
	s_branch .LBB188_13
.LBB188_12:                             ;   in Loop: Header=BB188_13 Depth=2
	s_or_b64 exec, exec, s[24:25]
	v_add_co_u32_e32 v6, vcc, 64, v6
	v_addc_co_u32_e32 v7, vcc, 0, v7, vcc
	v_cmp_ge_i64_e32 vcc, v[6:7], v[4:5]
	s_or_b64 s[22:23], vcc, s[22:23]
	s_andn2_b64 exec, exec, s[22:23]
	s_cbranch_execz .LBB188_9
.LBB188_13:                             ;   Parent Loop BB188_10 Depth=1
                                        ; =>  This Loop Header: Depth=2
                                        ;       Child Loop BB188_15 Depth 3
	v_lshlrev_b64 v[16:17], 2, v[6:7]
	v_mov_b32_e32 v9, s15
	v_add_co_u32_e32 v18, vcc, s14, v16
	v_addc_co_u32_e32 v19, vcc, v9, v17, vcc
	global_load_dword v9, v[18:19], off
	v_mov_b32_e32 v18, s17
	v_add_co_u32_e32 v16, vcc, s16, v16
	v_addc_co_u32_e32 v17, vcc, v18, v17, vcc
	global_load_dword v16, v[16:17], off
	s_mov_b64 s[24:25], 0
	s_waitcnt vmcnt(1)
	v_subrev_u32_e32 v9, s65, v9
	v_mul_lo_u32 v17, v9, s9
	v_and_b32_e32 v17, 0x1fff, v17
	s_waitcnt vmcnt(0)
	v_mul_f32_e32 v16, v8, v16
	s_branch .LBB188_15
.LBB188_14:                             ;   in Loop: Header=BB188_15 Depth=3
	s_or_b64 exec, exec, s[26:27]
	s_xor_b64 s[26:27], s[28:29], -1
	s_and_b64 s[26:27], exec, s[26:27]
	s_or_b64 s[24:25], s[26:27], s[24:25]
	s_andn2_b64 exec, exec, s[24:25]
	s_cbranch_execz .LBB188_12
.LBB188_15:                             ;   Parent Loop BB188_10 Depth=1
                                        ;     Parent Loop BB188_13 Depth=2
                                        ; =>    This Inner Loop Header: Depth=3
	v_lshl_add_u32 v18, v17, 2, 0
	ds_read_b32 v19, v18
                                        ; implicit-def: $sgpr28_sgpr29
	s_waitcnt lgkmcnt(0)
	v_cmp_ne_u32_e32 vcc, v19, v9
	s_and_saveexec_b64 s[26:27], vcc
	s_xor_b64 s[26:27], exec, s[26:27]
	s_cbranch_execz .LBB188_23
; %bb.16:                               ;   in Loop: Header=BB188_15 Depth=3
	v_cmp_ne_u32_e32 vcc, s33, v19
                                        ; implicit-def: $sgpr28_sgpr29
	s_and_saveexec_b64 s[30:31], vcc
	s_xor_b64 s[30:31], exec, s[30:31]
; %bb.17:                               ;   in Loop: Header=BB188_15 Depth=3
	v_add_u32_e32 v17, 1, v17
	v_and_b32_e32 v17, 0x1fff, v17
	s_mov_b64 s[28:29], -1
                                        ; implicit-def: $vgpr18
; %bb.18:                               ;   in Loop: Header=BB188_15 Depth=3
	s_andn2_saveexec_b64 s[30:31], s[30:31]
	s_cbranch_execz .LBB188_22
; %bb.19:                               ;   in Loop: Header=BB188_15 Depth=3
	v_mov_b32_e32 v19, s33
	ds_cmpst_rtn_b32 v19, v18, v19, v9
	s_mov_b64 s[34:35], -1
	s_waitcnt lgkmcnt(0)
	v_cmp_eq_u32_e32 vcc, s33, v19
	s_and_saveexec_b64 s[36:37], vcc
	s_cbranch_execz .LBB188_21
; %bb.20:                               ;   in Loop: Header=BB188_15 Depth=3
	ds_add_f32 v18, v16 offset:32768
	s_xor_b64 s[34:35], exec, -1
.LBB188_21:                             ;   in Loop: Header=BB188_15 Depth=3
	s_or_b64 exec, exec, s[36:37]
	s_andn2_b64 s[28:29], s[28:29], exec
	s_and_b64 s[34:35], s[34:35], exec
	s_or_b64 s[28:29], s[28:29], s[34:35]
.LBB188_22:                             ;   in Loop: Header=BB188_15 Depth=3
	s_or_b64 exec, exec, s[30:31]
	s_and_b64 s[28:29], s[28:29], exec
                                        ; implicit-def: $vgpr18
.LBB188_23:                             ;   in Loop: Header=BB188_15 Depth=3
	s_andn2_saveexec_b64 s[26:27], s[26:27]
	s_cbranch_execz .LBB188_14
; %bb.24:                               ;   in Loop: Header=BB188_15 Depth=3
	ds_add_f32 v18, v16 offset:32768
	s_andn2_b64 s[28:29], s[28:29], exec
	s_branch .LBB188_14
.LBB188_25:
	s_or_b64 exec, exec, s[6:7]
.LBB188_26:
	s_load_dwordx2 s[24:25], s[4:5], 0x80
	s_load_dwordx4 s[8:11], s[4:5], 0x70
                                        ; implicit-def: $vgpr20 : SGPR spill to VGPR lane
	s_andn2_b64 vcc, exec, s[0:1]
	s_waitcnt lgkmcnt(0)
	v_writelane_b32 v20, s8, 0
	v_writelane_b32 v20, s9, 1
	;; [unrolled: 1-line block ×4, first 2 shown]
	s_cbranch_vccnz .LBB188_43
; %bb.27:
	s_load_dwordx2 s[0:1], s[4:5], 0x58
	s_ashr_i32 s43, s42, 31
	s_lshl_b64 s[2:3], s[42:43], 3
	v_subrev_co_u32_e32 v2, vcc, s67, v0
	s_waitcnt lgkmcnt(0)
	s_add_u32 s0, s0, s2
	s_addc_u32 s1, s1, s3
	s_load_dwordx4 s[0:3], s[0:1], 0x0
	v_subb_co_u32_e64 v3, s[6:7], 0, 0, vcc
	s_waitcnt lgkmcnt(0)
	s_sub_u32 s6, s2, s67
	v_mov_b32_e32 v4, s1
	v_add_co_u32_e32 v2, vcc, s0, v2
	s_subb_u32 s7, s3, 0
	v_addc_co_u32_e32 v3, vcc, v4, v3, vcc
	v_cmp_gt_i64_e32 vcc, s[6:7], v[2:3]
	s_and_saveexec_b64 s[8:9], vcc
	s_cbranch_execz .LBB188_42
; %bb.28:
	s_load_dwordx4 s[0:3], s[4:5], 0x60
	s_mov_b64 s[4:5], 0
	s_waitcnt lgkmcnt(0)
	v_mov_b32_e32 v4, s1
	v_mov_b32_e32 v5, s3
	s_movk_i32 s1, 0x89
	s_branch .LBB188_30
.LBB188_29:                             ;   in Loop: Header=BB188_30 Depth=1
	s_or_b64 exec, exec, s[10:11]
	v_add_co_u32_e32 v2, vcc, 0x400, v2
	v_addc_co_u32_e32 v3, vcc, 0, v3, vcc
	v_cmp_le_i64_e32 vcc, s[6:7], v[2:3]
	s_or_b64 s[4:5], vcc, s[4:5]
	s_andn2_b64 exec, exec, s[4:5]
	s_cbranch_execz .LBB188_42
.LBB188_30:                             ; =>This Loop Header: Depth=1
                                        ;     Child Loop BB188_32 Depth 2
	v_lshlrev_b64 v[6:7], 2, v[2:3]
	v_add_co_u32_e32 v8, vcc, s0, v6
	v_addc_co_u32_e32 v9, vcc, v4, v7, vcc
	global_load_dword v8, v[8:9], off
	v_add_co_u32_e32 v6, vcc, s2, v6
	v_addc_co_u32_e32 v7, vcc, v5, v7, vcc
	global_load_dword v7, v[6:7], off
	s_mov_b64 s[10:11], 0
	s_waitcnt vmcnt(1)
	v_subrev_u32_e32 v6, s67, v8
	v_mul_lo_u32 v8, v6, s1
	v_and_b32_e32 v8, 0x1fff, v8
	s_waitcnt vmcnt(0)
	v_mul_f32_e32 v7, v1, v7
	s_branch .LBB188_32
.LBB188_31:                             ;   in Loop: Header=BB188_32 Depth=2
	s_or_b64 exec, exec, s[12:13]
	s_xor_b64 s[12:13], s[14:15], -1
	s_and_b64 s[12:13], exec, s[12:13]
	s_or_b64 s[10:11], s[12:13], s[10:11]
	s_andn2_b64 exec, exec, s[10:11]
	s_cbranch_execz .LBB188_29
.LBB188_32:                             ;   Parent Loop BB188_30 Depth=1
                                        ; =>  This Inner Loop Header: Depth=2
	v_lshl_add_u32 v9, v8, 2, 0
	ds_read_b32 v10, v9
                                        ; implicit-def: $sgpr14_sgpr15
	s_waitcnt lgkmcnt(0)
	v_cmp_ne_u32_e32 vcc, v10, v6
	s_and_saveexec_b64 s[12:13], vcc
	s_xor_b64 s[12:13], exec, s[12:13]
	s_cbranch_execz .LBB188_40
; %bb.33:                               ;   in Loop: Header=BB188_32 Depth=2
	v_cmp_ne_u32_e32 vcc, s33, v10
                                        ; implicit-def: $sgpr14_sgpr15
	s_and_saveexec_b64 s[16:17], vcc
	s_xor_b64 s[16:17], exec, s[16:17]
; %bb.34:                               ;   in Loop: Header=BB188_32 Depth=2
	v_add_u32_e32 v8, 1, v8
	v_and_b32_e32 v8, 0x1fff, v8
	s_mov_b64 s[14:15], -1
                                        ; implicit-def: $vgpr9
; %bb.35:                               ;   in Loop: Header=BB188_32 Depth=2
	s_andn2_saveexec_b64 s[16:17], s[16:17]
	s_cbranch_execz .LBB188_39
; %bb.36:                               ;   in Loop: Header=BB188_32 Depth=2
	v_mov_b32_e32 v10, s33
	ds_cmpst_rtn_b32 v10, v9, v10, v6
	s_mov_b64 s[18:19], -1
	s_waitcnt lgkmcnt(0)
	v_cmp_eq_u32_e32 vcc, s33, v10
	s_and_saveexec_b64 s[20:21], vcc
	s_cbranch_execz .LBB188_38
; %bb.37:                               ;   in Loop: Header=BB188_32 Depth=2
	ds_add_f32 v9, v7 offset:32768
	s_xor_b64 s[18:19], exec, -1
.LBB188_38:                             ;   in Loop: Header=BB188_32 Depth=2
	s_or_b64 exec, exec, s[20:21]
	s_andn2_b64 s[14:15], s[14:15], exec
	s_and_b64 s[18:19], s[18:19], exec
	s_or_b64 s[14:15], s[14:15], s[18:19]
.LBB188_39:                             ;   in Loop: Header=BB188_32 Depth=2
	s_or_b64 exec, exec, s[16:17]
	s_and_b64 s[14:15], s[14:15], exec
                                        ; implicit-def: $vgpr9
.LBB188_40:                             ;   in Loop: Header=BB188_32 Depth=2
	s_andn2_saveexec_b64 s[12:13], s[12:13]
	s_cbranch_execz .LBB188_31
; %bb.41:                               ;   in Loop: Header=BB188_32 Depth=2
	ds_add_f32 v9, v7 offset:32768
	s_andn2_b64 s[14:15], s[14:15], exec
	s_branch .LBB188_31
.LBB188_42:
	s_or_b64 exec, exec, s[8:9]
.LBB188_43:
	v_writelane_b32 v20, s24, 4
	v_writelane_b32 v20, s25, 5
	;; [unrolled: 1-line block ×4, first 2 shown]
	s_add_i32 s0, 0, 0x10000
	v_writelane_b32 v20, s0, 8
	s_add_i32 s60, 0, 0x10004
	v_writelane_b32 v20, s60, 9
	;; [unrolled: 2-line block ×5, first 2 shown]
	s_add_i32 s60, 0, 0x10014
	v_lshrrev_b32_e32 v4, 3, v0
	v_writelane_b32 v20, s60, 13
	s_add_i32 s60, 0, 0x10018
	v_mbcnt_lo_u32_b32 v2, -1, 0
	v_and_b32_e32 v4, 0x7c, v4
	v_writelane_b32 v20, s60, 14
	s_add_i32 s60, 0, 0x1001c
	v_mbcnt_hi_u32_b32 v2, -1, v2
	v_add_u32_e32 v6, s0, v4
	s_movk_i32 s0, 0x3ff
	v_writelane_b32 v20, s60, 15
	s_add_i32 s60, 0, 0x10020
	v_sub_u32_e32 v2, 63, v2
	v_cmp_eq_u32_e32 vcc, s0, v0
	s_movk_i32 s0, 0x5f
	s_movk_i32 s2, 0x7f
	s_movk_i32 s4, 0x9f
	s_movk_i32 s6, 0xbf
	s_movk_i32 s8, 0xdf
	s_movk_i32 s10, 0xff
	s_movk_i32 s12, 0x11f
	s_movk_i32 s14, 0x13f
	s_movk_i32 s16, 0x15f
	s_movk_i32 s18, 0x17f
	s_movk_i32 s20, 0x19f
	s_movk_i32 s22, 0x1bf
	s_movk_i32 s24, 0x1df
	s_movk_i32 s26, 0x1ff
	s_movk_i32 s28, 0x21f
	s_movk_i32 s30, 0x23f
	s_movk_i32 s34, 0x25f
	s_movk_i32 s36, 0x27f
	s_movk_i32 s38, 0x29f
	s_movk_i32 s40, 0x2bf
	s_movk_i32 s42, 0x2df
	s_movk_i32 s44, 0x2ff
	s_movk_i32 s46, 0x31f
	s_movk_i32 s48, 0x33f
	s_movk_i32 s50, 0x35f
	s_movk_i32 s52, 0x37f
	s_movk_i32 s54, 0x39f
	s_movk_i32 s56, 0x3bf
	s_movk_i32 s58, 0x3df
	v_writelane_b32 v20, s60, 16
	s_add_i32 s60, 0, 0x10024
	v_mov_b32_e32 v1, 0
	v_lshrrev_b64 v[2:3], v2, -1
	v_cmp_lt_u32_e64 s[0:1], s0, v0
	v_cmp_lt_u32_e64 s[2:3], s2, v0
	v_cmp_lt_u32_e64 s[4:5], s4, v0
	v_cmp_lt_u32_e64 s[6:7], s6, v0
	v_cmp_lt_u32_e64 s[8:9], s8, v0
	v_cmp_lt_u32_e64 s[10:11], s10, v0
	v_cmp_lt_u32_e64 s[12:13], s12, v0
	v_cmp_lt_u32_e64 s[14:15], s14, v0
	v_cmp_lt_u32_e64 s[16:17], s16, v0
	v_cmp_lt_u32_e64 s[18:19], s18, v0
	v_cmp_lt_u32_e64 s[20:21], s20, v0
	v_cmp_lt_u32_e64 s[22:23], s22, v0
	v_cmp_lt_u32_e64 s[24:25], s24, v0
	v_cmp_lt_u32_e64 s[26:27], s26, v0
	v_cmp_lt_u32_e64 s[28:29], s28, v0
	v_cmp_lt_u32_e64 s[30:31], s30, v0
	v_cmp_lt_u32_e64 s[34:35], s34, v0
	v_cmp_lt_u32_e64 s[36:37], s36, v0
	v_cmp_lt_u32_e64 s[38:39], s38, v0
	v_cmp_lt_u32_e64 s[40:41], s40, v0
	v_cmp_lt_u32_e64 s[42:43], s42, v0
	v_cmp_lt_u32_e64 s[44:45], s44, v0
	v_cmp_lt_u32_e64 s[46:47], s46, v0
	v_cmp_lt_u32_e64 s[48:49], s48, v0
	v_cmp_lt_u32_e64 s[50:51], s50, v0
	v_cmp_lt_u32_e64 s[52:53], s52, v0
	v_cmp_lt_u32_e64 s[54:55], s54, v0
	v_cmp_lt_u32_e64 s[56:57], s56, v0
	v_cmp_lt_u32_e64 s[58:59], s58, v0
	v_or_b32_e32 v7, 0xfffffc00, v0
	v_lshl_add_u32 v8, v0, 2, 0
	v_writelane_b32 v20, s60, 17
	s_add_i32 s88, 0, 0x10028
	s_add_i32 s89, 0, 0x1002c
	;; [unrolled: 1-line block ×22, first 2 shown]
	s_movk_i32 s85, 0x1bff
	v_cmp_lt_u32_e64 s[60:61], 31, v0
	v_cmp_lt_u32_e64 s[62:63], 63, v0
	s_mov_b64 s[76:77], 0
	s_waitcnt lgkmcnt(0)
	s_barrier
	s_branch .LBB188_45
.LBB188_44:                             ;   in Loop: Header=BB188_45 Depth=1
	s_or_b64 exec, exec, s[64:65]
	v_mov_b32_e32 v4, s84
	s_waitcnt lgkmcnt(0)
	s_barrier
	ds_read_b32 v4, v4
	v_add_u32_e32 v7, 0x400, v7
	v_cmp_lt_u32_e64 s[64:65], s85, v7
	s_or_b64 s[76:77], s[64:65], s[76:77]
	v_add_u32_e32 v8, 0x1000, v8
	s_waitcnt lgkmcnt(0)
	v_add_u32_e32 v1, v4, v1
	s_andn2_b64 exec, exec, s[76:77]
	s_cbranch_execz .LBB188_111
.LBB188_45:                             ; =>This Inner Loop Header: Depth=1
	ds_read2st64_b32 v[4:5], v8 offset1:128
	s_waitcnt lgkmcnt(0)
	s_barrier
	v_cmp_gt_i32_e64 s[64:65], s33, v4
	v_and_b32_e32 v10, s64, v2
	s_bcnt1_i32_b64 s78, s[64:65]
	v_and_b32_e32 v9, s65, v3
	v_bcnt_u32_b32 v10, v10, 0
	v_bcnt_u32_b32 v9, v9, v10
	v_mov_b32_e32 v10, s78
	ds_write_b32 v6, v10
	s_waitcnt lgkmcnt(0)
	s_barrier
	s_and_saveexec_b64 s[78:79], s[60:61]
	s_cbranch_execnz .LBB188_78
; %bb.46:                               ;   in Loop: Header=BB188_45 Depth=1
	s_or_b64 exec, exec, s[78:79]
	s_and_saveexec_b64 s[78:79], s[62:63]
	s_cbranch_execnz .LBB188_79
.LBB188_47:                             ;   in Loop: Header=BB188_45 Depth=1
	s_or_b64 exec, exec, s[78:79]
	s_and_saveexec_b64 s[78:79], s[0:1]
	s_cbranch_execnz .LBB188_80
.LBB188_48:                             ;   in Loop: Header=BB188_45 Depth=1
	s_or_b64 exec, exec, s[78:79]
	s_and_saveexec_b64 s[78:79], s[2:3]
	s_cbranch_execnz .LBB188_81
.LBB188_49:                             ;   in Loop: Header=BB188_45 Depth=1
	s_or_b64 exec, exec, s[78:79]
	s_and_saveexec_b64 s[78:79], s[4:5]
	s_cbranch_execnz .LBB188_82
.LBB188_50:                             ;   in Loop: Header=BB188_45 Depth=1
	s_or_b64 exec, exec, s[78:79]
	s_and_saveexec_b64 s[78:79], s[6:7]
	s_cbranch_execnz .LBB188_83
.LBB188_51:                             ;   in Loop: Header=BB188_45 Depth=1
	s_or_b64 exec, exec, s[78:79]
	s_and_saveexec_b64 s[78:79], s[8:9]
	s_cbranch_execnz .LBB188_84
.LBB188_52:                             ;   in Loop: Header=BB188_45 Depth=1
	s_or_b64 exec, exec, s[78:79]
	s_and_saveexec_b64 s[78:79], s[10:11]
	s_cbranch_execnz .LBB188_85
.LBB188_53:                             ;   in Loop: Header=BB188_45 Depth=1
	s_or_b64 exec, exec, s[78:79]
	s_and_saveexec_b64 s[78:79], s[12:13]
	s_cbranch_execnz .LBB188_86
.LBB188_54:                             ;   in Loop: Header=BB188_45 Depth=1
	s_or_b64 exec, exec, s[78:79]
	s_and_saveexec_b64 s[78:79], s[14:15]
	s_cbranch_execnz .LBB188_87
.LBB188_55:                             ;   in Loop: Header=BB188_45 Depth=1
	s_or_b64 exec, exec, s[78:79]
	s_and_saveexec_b64 s[78:79], s[16:17]
	s_cbranch_execnz .LBB188_88
.LBB188_56:                             ;   in Loop: Header=BB188_45 Depth=1
	s_or_b64 exec, exec, s[78:79]
	s_and_saveexec_b64 s[78:79], s[18:19]
	s_cbranch_execnz .LBB188_89
.LBB188_57:                             ;   in Loop: Header=BB188_45 Depth=1
	s_or_b64 exec, exec, s[78:79]
	s_and_saveexec_b64 s[78:79], s[20:21]
	s_cbranch_execnz .LBB188_90
.LBB188_58:                             ;   in Loop: Header=BB188_45 Depth=1
	s_or_b64 exec, exec, s[78:79]
	s_and_saveexec_b64 s[78:79], s[22:23]
	s_cbranch_execnz .LBB188_91
.LBB188_59:                             ;   in Loop: Header=BB188_45 Depth=1
	s_or_b64 exec, exec, s[78:79]
	s_and_saveexec_b64 s[78:79], s[24:25]
	s_cbranch_execnz .LBB188_92
.LBB188_60:                             ;   in Loop: Header=BB188_45 Depth=1
	s_or_b64 exec, exec, s[78:79]
	s_and_saveexec_b64 s[78:79], s[26:27]
	s_cbranch_execnz .LBB188_93
.LBB188_61:                             ;   in Loop: Header=BB188_45 Depth=1
	s_or_b64 exec, exec, s[78:79]
	s_and_saveexec_b64 s[78:79], s[28:29]
	s_cbranch_execnz .LBB188_94
.LBB188_62:                             ;   in Loop: Header=BB188_45 Depth=1
	s_or_b64 exec, exec, s[78:79]
	s_and_saveexec_b64 s[78:79], s[30:31]
	s_cbranch_execnz .LBB188_95
.LBB188_63:                             ;   in Loop: Header=BB188_45 Depth=1
	s_or_b64 exec, exec, s[78:79]
	s_and_saveexec_b64 s[78:79], s[34:35]
	s_cbranch_execnz .LBB188_96
.LBB188_64:                             ;   in Loop: Header=BB188_45 Depth=1
	s_or_b64 exec, exec, s[78:79]
	s_and_saveexec_b64 s[78:79], s[36:37]
	s_cbranch_execnz .LBB188_97
.LBB188_65:                             ;   in Loop: Header=BB188_45 Depth=1
	s_or_b64 exec, exec, s[78:79]
	s_and_saveexec_b64 s[78:79], s[38:39]
	s_cbranch_execnz .LBB188_98
.LBB188_66:                             ;   in Loop: Header=BB188_45 Depth=1
	s_or_b64 exec, exec, s[78:79]
	s_and_saveexec_b64 s[78:79], s[40:41]
	s_cbranch_execnz .LBB188_99
.LBB188_67:                             ;   in Loop: Header=BB188_45 Depth=1
	s_or_b64 exec, exec, s[78:79]
	s_and_saveexec_b64 s[78:79], s[42:43]
	s_cbranch_execnz .LBB188_100
.LBB188_68:                             ;   in Loop: Header=BB188_45 Depth=1
	s_or_b64 exec, exec, s[78:79]
	s_and_saveexec_b64 s[78:79], s[44:45]
	s_cbranch_execnz .LBB188_101
.LBB188_69:                             ;   in Loop: Header=BB188_45 Depth=1
	s_or_b64 exec, exec, s[78:79]
	s_and_saveexec_b64 s[78:79], s[46:47]
	s_cbranch_execnz .LBB188_102
.LBB188_70:                             ;   in Loop: Header=BB188_45 Depth=1
	s_or_b64 exec, exec, s[78:79]
	s_and_saveexec_b64 s[78:79], s[48:49]
	s_cbranch_execnz .LBB188_103
.LBB188_71:                             ;   in Loop: Header=BB188_45 Depth=1
	s_or_b64 exec, exec, s[78:79]
	s_and_saveexec_b64 s[78:79], s[50:51]
	s_cbranch_execnz .LBB188_104
.LBB188_72:                             ;   in Loop: Header=BB188_45 Depth=1
	s_or_b64 exec, exec, s[78:79]
	s_and_saveexec_b64 s[78:79], s[52:53]
	s_cbranch_execnz .LBB188_105
.LBB188_73:                             ;   in Loop: Header=BB188_45 Depth=1
	s_or_b64 exec, exec, s[78:79]
	s_and_saveexec_b64 s[78:79], s[54:55]
	s_cbranch_execnz .LBB188_106
.LBB188_74:                             ;   in Loop: Header=BB188_45 Depth=1
	s_or_b64 exec, exec, s[78:79]
	s_and_saveexec_b64 s[78:79], s[56:57]
	s_cbranch_execnz .LBB188_107
.LBB188_75:                             ;   in Loop: Header=BB188_45 Depth=1
	s_or_b64 exec, exec, s[78:79]
	s_and_saveexec_b64 s[78:79], s[58:59]
	s_cbranch_execnz .LBB188_108
.LBB188_76:                             ;   in Loop: Header=BB188_45 Depth=1
	s_or_b64 exec, exec, s[78:79]
	s_and_saveexec_b64 s[78:79], s[64:65]
	s_cbranch_execnz .LBB188_109
.LBB188_77:                             ;   in Loop: Header=BB188_45 Depth=1
	s_or_b64 exec, exec, s[78:79]
	s_and_saveexec_b64 s[64:65], vcc
	s_cbranch_execz .LBB188_44
	s_branch .LBB188_110
.LBB188_78:                             ;   in Loop: Header=BB188_45 Depth=1
	v_readlane_b32 s86, v20, 8
	v_mov_b32_e32 v10, s86
	ds_read_b32 v10, v10
	s_waitcnt lgkmcnt(0)
	v_add_u32_e32 v9, v10, v9
	s_or_b64 exec, exec, s[78:79]
	s_and_saveexec_b64 s[78:79], s[62:63]
	s_cbranch_execz .LBB188_47
.LBB188_79:                             ;   in Loop: Header=BB188_45 Depth=1
	v_readlane_b32 s86, v20, 9
	v_mov_b32_e32 v10, s86
	ds_read_b32 v10, v10
	s_waitcnt lgkmcnt(0)
	v_add_u32_e32 v9, v10, v9
	s_or_b64 exec, exec, s[78:79]
	s_and_saveexec_b64 s[78:79], s[0:1]
	s_cbranch_execz .LBB188_48
.LBB188_80:                             ;   in Loop: Header=BB188_45 Depth=1
	v_readlane_b32 s86, v20, 10
	v_mov_b32_e32 v10, s86
	ds_read_b32 v10, v10
	s_waitcnt lgkmcnt(0)
	v_add_u32_e32 v9, v10, v9
	s_or_b64 exec, exec, s[78:79]
	s_and_saveexec_b64 s[78:79], s[2:3]
	s_cbranch_execz .LBB188_49
.LBB188_81:                             ;   in Loop: Header=BB188_45 Depth=1
	v_readlane_b32 s86, v20, 11
	v_mov_b32_e32 v10, s86
	ds_read_b32 v10, v10
	s_waitcnt lgkmcnt(0)
	v_add_u32_e32 v9, v10, v9
	s_or_b64 exec, exec, s[78:79]
	s_and_saveexec_b64 s[78:79], s[4:5]
	s_cbranch_execz .LBB188_50
.LBB188_82:                             ;   in Loop: Header=BB188_45 Depth=1
	v_readlane_b32 s86, v20, 12
	v_mov_b32_e32 v10, s86
	ds_read_b32 v10, v10
	s_waitcnt lgkmcnt(0)
	v_add_u32_e32 v9, v10, v9
	s_or_b64 exec, exec, s[78:79]
	s_and_saveexec_b64 s[78:79], s[6:7]
	s_cbranch_execz .LBB188_51
.LBB188_83:                             ;   in Loop: Header=BB188_45 Depth=1
	v_readlane_b32 s86, v20, 13
	v_mov_b32_e32 v10, s86
	ds_read_b32 v10, v10
	s_waitcnt lgkmcnt(0)
	v_add_u32_e32 v9, v10, v9
	s_or_b64 exec, exec, s[78:79]
	s_and_saveexec_b64 s[78:79], s[8:9]
	s_cbranch_execz .LBB188_52
.LBB188_84:                             ;   in Loop: Header=BB188_45 Depth=1
	v_readlane_b32 s86, v20, 14
	v_mov_b32_e32 v10, s86
	ds_read_b32 v10, v10
	s_waitcnt lgkmcnt(0)
	v_add_u32_e32 v9, v10, v9
	s_or_b64 exec, exec, s[78:79]
	s_and_saveexec_b64 s[78:79], s[10:11]
	s_cbranch_execz .LBB188_53
.LBB188_85:                             ;   in Loop: Header=BB188_45 Depth=1
	v_readlane_b32 s86, v20, 15
	v_mov_b32_e32 v10, s86
	ds_read_b32 v10, v10
	s_waitcnt lgkmcnt(0)
	v_add_u32_e32 v9, v10, v9
	s_or_b64 exec, exec, s[78:79]
	s_and_saveexec_b64 s[78:79], s[12:13]
	s_cbranch_execz .LBB188_54
.LBB188_86:                             ;   in Loop: Header=BB188_45 Depth=1
	v_readlane_b32 s86, v20, 16
	v_mov_b32_e32 v10, s86
	ds_read_b32 v10, v10
	s_waitcnt lgkmcnt(0)
	v_add_u32_e32 v9, v10, v9
	s_or_b64 exec, exec, s[78:79]
	s_and_saveexec_b64 s[78:79], s[14:15]
	s_cbranch_execz .LBB188_55
.LBB188_87:                             ;   in Loop: Header=BB188_45 Depth=1
	v_readlane_b32 s86, v20, 17
	v_mov_b32_e32 v10, s86
	ds_read_b32 v10, v10
	s_waitcnt lgkmcnt(0)
	v_add_u32_e32 v9, v10, v9
	s_or_b64 exec, exec, s[78:79]
	s_and_saveexec_b64 s[78:79], s[16:17]
	s_cbranch_execz .LBB188_56
.LBB188_88:                             ;   in Loop: Header=BB188_45 Depth=1
	v_mov_b32_e32 v10, s88
	ds_read_b32 v10, v10
	s_waitcnt lgkmcnt(0)
	v_add_u32_e32 v9, v10, v9
	s_or_b64 exec, exec, s[78:79]
	s_and_saveexec_b64 s[78:79], s[18:19]
	s_cbranch_execz .LBB188_57
.LBB188_89:                             ;   in Loop: Header=BB188_45 Depth=1
	v_mov_b32_e32 v10, s89
	ds_read_b32 v10, v10
	s_waitcnt lgkmcnt(0)
	v_add_u32_e32 v9, v10, v9
	s_or_b64 exec, exec, s[78:79]
	s_and_saveexec_b64 s[78:79], s[20:21]
	s_cbranch_execz .LBB188_58
.LBB188_90:                             ;   in Loop: Header=BB188_45 Depth=1
	v_mov_b32_e32 v10, s90
	ds_read_b32 v10, v10
	s_waitcnt lgkmcnt(0)
	v_add_u32_e32 v9, v10, v9
	s_or_b64 exec, exec, s[78:79]
	s_and_saveexec_b64 s[78:79], s[22:23]
	s_cbranch_execz .LBB188_59
.LBB188_91:                             ;   in Loop: Header=BB188_45 Depth=1
	v_mov_b32_e32 v10, s91
	ds_read_b32 v10, v10
	s_waitcnt lgkmcnt(0)
	v_add_u32_e32 v9, v10, v9
	s_or_b64 exec, exec, s[78:79]
	s_and_saveexec_b64 s[78:79], s[24:25]
	s_cbranch_execz .LBB188_60
.LBB188_92:                             ;   in Loop: Header=BB188_45 Depth=1
	v_mov_b32_e32 v10, s92
	ds_read_b32 v10, v10
	s_waitcnt lgkmcnt(0)
	v_add_u32_e32 v9, v10, v9
	s_or_b64 exec, exec, s[78:79]
	s_and_saveexec_b64 s[78:79], s[26:27]
	s_cbranch_execz .LBB188_61
.LBB188_93:                             ;   in Loop: Header=BB188_45 Depth=1
	v_mov_b32_e32 v10, s93
	ds_read_b32 v10, v10
	s_waitcnt lgkmcnt(0)
	v_add_u32_e32 v9, v10, v9
	s_or_b64 exec, exec, s[78:79]
	s_and_saveexec_b64 s[78:79], s[28:29]
	s_cbranch_execz .LBB188_62
.LBB188_94:                             ;   in Loop: Header=BB188_45 Depth=1
	v_mov_b32_e32 v10, s94
	ds_read_b32 v10, v10
	s_waitcnt lgkmcnt(0)
	v_add_u32_e32 v9, v10, v9
	s_or_b64 exec, exec, s[78:79]
	s_and_saveexec_b64 s[78:79], s[30:31]
	s_cbranch_execz .LBB188_63
.LBB188_95:                             ;   in Loop: Header=BB188_45 Depth=1
	v_mov_b32_e32 v10, s95
	ds_read_b32 v10, v10
	s_waitcnt lgkmcnt(0)
	v_add_u32_e32 v9, v10, v9
	s_or_b64 exec, exec, s[78:79]
	s_and_saveexec_b64 s[78:79], s[34:35]
	s_cbranch_execz .LBB188_64
.LBB188_96:                             ;   in Loop: Header=BB188_45 Depth=1
	v_mov_b32_e32 v10, s72
	ds_read_b32 v10, v10
	s_waitcnt lgkmcnt(0)
	v_add_u32_e32 v9, v10, v9
	s_or_b64 exec, exec, s[78:79]
	s_and_saveexec_b64 s[78:79], s[36:37]
	s_cbranch_execz .LBB188_65
.LBB188_97:                             ;   in Loop: Header=BB188_45 Depth=1
	v_mov_b32_e32 v10, s68
	ds_read_b32 v10, v10
	s_waitcnt lgkmcnt(0)
	v_add_u32_e32 v9, v10, v9
	s_or_b64 exec, exec, s[78:79]
	s_and_saveexec_b64 s[78:79], s[38:39]
	s_cbranch_execz .LBB188_66
.LBB188_98:                             ;   in Loop: Header=BB188_45 Depth=1
	v_mov_b32_e32 v10, s69
	ds_read_b32 v10, v10
	s_waitcnt lgkmcnt(0)
	v_add_u32_e32 v9, v10, v9
	s_or_b64 exec, exec, s[78:79]
	s_and_saveexec_b64 s[78:79], s[40:41]
	s_cbranch_execz .LBB188_67
.LBB188_99:                             ;   in Loop: Header=BB188_45 Depth=1
	v_mov_b32_e32 v10, s70
	ds_read_b32 v10, v10
	s_waitcnt lgkmcnt(0)
	v_add_u32_e32 v9, v10, v9
	s_or_b64 exec, exec, s[78:79]
	s_and_saveexec_b64 s[78:79], s[42:43]
	s_cbranch_execz .LBB188_68
.LBB188_100:                            ;   in Loop: Header=BB188_45 Depth=1
	v_mov_b32_e32 v10, s71
	ds_read_b32 v10, v10
	s_waitcnt lgkmcnt(0)
	v_add_u32_e32 v9, v10, v9
	s_or_b64 exec, exec, s[78:79]
	s_and_saveexec_b64 s[78:79], s[44:45]
	s_cbranch_execz .LBB188_69
.LBB188_101:                            ;   in Loop: Header=BB188_45 Depth=1
	v_mov_b32_e32 v10, s74
	ds_read_b32 v10, v10
	s_waitcnt lgkmcnt(0)
	v_add_u32_e32 v9, v10, v9
	s_or_b64 exec, exec, s[78:79]
	s_and_saveexec_b64 s[78:79], s[46:47]
	s_cbranch_execz .LBB188_70
.LBB188_102:                            ;   in Loop: Header=BB188_45 Depth=1
	v_mov_b32_e32 v10, s75
	ds_read_b32 v10, v10
	s_waitcnt lgkmcnt(0)
	v_add_u32_e32 v9, v10, v9
	s_or_b64 exec, exec, s[78:79]
	s_and_saveexec_b64 s[78:79], s[48:49]
	s_cbranch_execz .LBB188_71
.LBB188_103:                            ;   in Loop: Header=BB188_45 Depth=1
	v_mov_b32_e32 v10, s67
	ds_read_b32 v10, v10
	s_waitcnt lgkmcnt(0)
	v_add_u32_e32 v9, v10, v9
	s_or_b64 exec, exec, s[78:79]
	s_and_saveexec_b64 s[78:79], s[50:51]
	s_cbranch_execz .LBB188_72
.LBB188_104:                            ;   in Loop: Header=BB188_45 Depth=1
	v_mov_b32_e32 v10, s73
	ds_read_b32 v10, v10
	s_waitcnt lgkmcnt(0)
	v_add_u32_e32 v9, v10, v9
	s_or_b64 exec, exec, s[78:79]
	s_and_saveexec_b64 s[78:79], s[52:53]
	s_cbranch_execz .LBB188_73
.LBB188_105:                            ;   in Loop: Header=BB188_45 Depth=1
	v_mov_b32_e32 v10, s80
	ds_read_b32 v10, v10
	s_waitcnt lgkmcnt(0)
	v_add_u32_e32 v9, v10, v9
	s_or_b64 exec, exec, s[78:79]
	s_and_saveexec_b64 s[78:79], s[54:55]
	s_cbranch_execz .LBB188_74
.LBB188_106:                            ;   in Loop: Header=BB188_45 Depth=1
	v_mov_b32_e32 v10, s81
	ds_read_b32 v10, v10
	s_waitcnt lgkmcnt(0)
	v_add_u32_e32 v9, v10, v9
	s_or_b64 exec, exec, s[78:79]
	s_and_saveexec_b64 s[78:79], s[56:57]
	s_cbranch_execz .LBB188_75
.LBB188_107:                            ;   in Loop: Header=BB188_45 Depth=1
	v_mov_b32_e32 v10, s82
	ds_read_b32 v10, v10
	s_waitcnt lgkmcnt(0)
	v_add_u32_e32 v9, v10, v9
	s_or_b64 exec, exec, s[78:79]
	s_and_saveexec_b64 s[78:79], s[58:59]
	s_cbranch_execz .LBB188_76
.LBB188_108:                            ;   in Loop: Header=BB188_45 Depth=1
	v_mov_b32_e32 v10, s83
	ds_read_b32 v10, v10
	s_waitcnt lgkmcnt(0)
	v_add_u32_e32 v9, v10, v9
	s_or_b64 exec, exec, s[78:79]
	s_and_saveexec_b64 s[78:79], s[64:65]
	s_cbranch_execz .LBB188_77
.LBB188_109:                            ;   in Loop: Header=BB188_45 Depth=1
	v_add3_u32 v10, v1, -1, v9
	v_lshl_add_u32 v10, v10, 2, 0
	ds_write2st64_b32 v10, v4, v5 offset1:128
	s_or_b64 exec, exec, s[78:79]
	s_and_saveexec_b64 s[64:65], vcc
	s_cbranch_execz .LBB188_44
.LBB188_110:                            ;   in Loop: Header=BB188_45 Depth=1
	v_mov_b32_e32 v4, s84
	ds_write_b32 v4, v9
	s_branch .LBB188_44
.LBB188_111:
	s_or_b64 exec, exec, s[76:77]
	v_readlane_b32 s0, v20, 6
	v_readlane_b32 s1, v20, 7
	s_ashr_i32 s1, s0, 31
	s_lshl_b64 s[0:1], s[0:1], 3
	v_readlane_b32 s4, v20, 0
	v_readlane_b32 s5, v20, 1
	s_add_u32 s0, s4, s0
	s_addc_u32 s1, s5, s1
	s_load_dwordx4 s[0:3], s[0:1], 0x0
	v_readlane_b32 s6, v20, 2
	v_readlane_b32 s7, v20, 3
	s_waitcnt lgkmcnt(0)
	s_sub_i32 s8, s2, s0
	v_cmp_gt_i32_e32 vcc, s8, v0
	s_and_saveexec_b64 s[4:5], vcc
	v_readlane_b32 s14, v20, 4
	v_readlane_b32 s15, v20, 5
	s_cbranch_execz .LBB188_121
; %bb.112:
	s_sub_u32 s4, s0, s66
	s_subb_u32 s5, s1, 0
	s_and_b32 s9, s8, 7
	s_sub_i32 s0, s0, s2
	s_cmp_lt_u32 s0, -7
	s_cselect_b64 s[0:1], -1, 0
	s_and_b32 s10, s8, -8
	s_cmp_lg_u32 s9, 0
	v_cndmask_b32_e64 v1, 0, 1, s[0:1]
	s_cselect_b64 s[2:3], -1, 0
	v_readlane_b32 s16, v20, 0
	v_cmp_ne_u32_e64 s[0:1], 1, v1
	v_cndmask_b32_e64 v1, 0, 1, s[2:3]
	v_readlane_b32 s19, v20, 3
	s_mov_b64 s[6:7], 0
	v_cmp_ne_u32_e64 s[2:3], 1, v1
	v_mov_b32_e32 v1, s19
	v_readlane_b32 s17, v20, 1
	v_readlane_b32 s18, v20, 2
	s_branch .LBB188_114
.LBB188_113:                            ;   in Loop: Header=BB188_114 Depth=1
	v_readlane_b32 s16, v20, 0
	v_lshlrev_b64 v[4:5], 2, v[4:5]
	v_readlane_b32 s18, v20, 2
	v_add_co_u32_e32 v6, vcc, s18, v4
	s_waitcnt lgkmcnt(0)
	v_add_u32_e32 v2, s66, v2
	v_addc_co_u32_e32 v7, vcc, v1, v5, vcc
	global_store_dword v[6:7], v2, off
	v_mov_b32_e32 v2, s15
	v_add_co_u32_e32 v4, vcc, s14, v4
	v_addc_co_u32_e32 v5, vcc, v2, v5, vcc
	v_add_u32_e32 v0, 0x400, v0
	v_cmp_le_i32_e32 vcc, s8, v0
	s_or_b64 s[6:7], vcc, s[6:7]
	v_readlane_b32 s17, v20, 1
	v_readlane_b32 s19, v20, 3
	global_store_dword v[4:5], v3, off
	s_andn2_b64 exec, exec, s[6:7]
	s_cbranch_execz .LBB188_121
.LBB188_114:                            ; =>This Loop Header: Depth=1
                                        ;     Child Loop BB188_116 Depth 2
                                        ;     Child Loop BB188_120 Depth 2
	v_lshl_add_u32 v2, v0, 2, 0
	ds_read2st64_b32 v[2:3], v2 offset1:128
	s_and_b64 vcc, exec, s[0:1]
	v_pk_mov_b32 v[4:5], s[4:5], s[4:5] op_sel:[0,1]
	s_mov_b32 s11, 0
	s_cbranch_vccnz .LBB188_118
; %bb.115:                              ;   in Loop: Header=BB188_114 Depth=1
	s_mov_b32 s12, 0
	v_pk_mov_b32 v[4:5], s[4:5], s[4:5] op_sel:[0,1]
.LBB188_116:                            ;   Parent Loop BB188_114 Depth=1
                                        ; =>  This Inner Loop Header: Depth=2
	v_mov_b32_e32 v12, s12
	ds_read2_b32 v[6:7], v12 offset1:1
	ds_read2_b32 v[8:9], v12 offset0:2 offset1:3
	ds_read2_b32 v[10:11], v12 offset0:4 offset1:5
	ds_read2_b32 v[12:13], v12 offset0:6 offset1:7
	s_add_i32 s11, s11, 8
	s_waitcnt lgkmcnt(3)
	v_cmp_gt_i32_e32 vcc, v2, v6
	v_cndmask_b32_e64 v6, 0, 1, vcc
	v_cmp_gt_i32_e32 vcc, v2, v7
	v_cndmask_b32_e64 v7, 0, 1, vcc
	s_waitcnt lgkmcnt(2)
	v_cmp_gt_i32_e32 vcc, v2, v8
	v_cndmask_b32_e64 v8, 0, 1, vcc
	v_cmp_gt_i32_e32 vcc, v2, v9
	v_cndmask_b32_e64 v9, 0, 1, vcc
	;; [unrolled: 5-line block ×4, first 2 shown]
	v_add_co_u32_e32 v4, vcc, v4, v6
	v_addc_co_u32_e32 v5, vcc, 0, v5, vcc
	v_add_co_u32_e32 v4, vcc, v4, v7
	v_addc_co_u32_e32 v5, vcc, 0, v5, vcc
	;; [unrolled: 2-line block ×7, first 2 shown]
	s_add_i32 s12, s12, 32
	v_add_co_u32_e32 v4, vcc, v4, v13
	s_cmp_eq_u32 s10, s11
	v_addc_co_u32_e32 v5, vcc, 0, v5, vcc
	s_cbranch_scc0 .LBB188_116
; %bb.117:                              ;   in Loop: Header=BB188_114 Depth=1
	s_mov_b32 s11, s10
.LBB188_118:                            ;   in Loop: Header=BB188_114 Depth=1
	s_and_b64 vcc, exec, s[2:3]
	s_cbranch_vccnz .LBB188_113
; %bb.119:                              ;   in Loop: Header=BB188_114 Depth=1
	s_lshl_b32 s11, s11, 2
	s_add_i32 s11, s11, 0
	s_mov_b32 s12, s9
.LBB188_120:                            ;   Parent Loop BB188_114 Depth=1
                                        ; =>  This Inner Loop Header: Depth=2
	v_mov_b32_e32 v6, s11
	ds_read_b32 v6, v6
	s_add_i32 s11, s11, 4
	s_add_i32 s12, s12, -1
	s_cmp_lg_u32 s12, 0
	s_waitcnt lgkmcnt(0)
	v_cmp_gt_i32_e32 vcc, v2, v6
	v_cndmask_b32_e64 v6, 0, 1, vcc
	v_add_co_u32_e32 v4, vcc, v4, v6
	v_addc_co_u32_e32 v5, vcc, 0, v5, vcc
	s_cbranch_scc1 .LBB188_120
	s_branch .LBB188_113
.LBB188_121:
	s_endpgm
	.section	.rodata,"a",@progbits
	.p2align	6, 0x0
	.amdhsa_kernel _ZN9rocsparseL26csrgemm_fill_block_per_rowILj1024ELj64ELj8192ELj137ELj32ElifEEvT5_PKS1_S3_NS_24const_host_device_scalarIT6_EEPKT4_S3_PKS5_S9_S3_SB_S6_S9_S3_SB_S9_PS1_PS5_21rocsparse_index_base_SE_SE_SE_bbb
		.amdhsa_group_segment_fixed_size 0
		.amdhsa_private_segment_fixed_size 0
		.amdhsa_kernarg_size 156
		.amdhsa_user_sgpr_count 6
		.amdhsa_user_sgpr_private_segment_buffer 1
		.amdhsa_user_sgpr_dispatch_ptr 0
		.amdhsa_user_sgpr_queue_ptr 0
		.amdhsa_user_sgpr_kernarg_segment_ptr 1
		.amdhsa_user_sgpr_dispatch_id 0
		.amdhsa_user_sgpr_flat_scratch_init 0
		.amdhsa_user_sgpr_kernarg_preload_length 0
		.amdhsa_user_sgpr_kernarg_preload_offset 0
		.amdhsa_user_sgpr_private_segment_size 0
		.amdhsa_uses_dynamic_stack 0
		.amdhsa_system_sgpr_private_segment_wavefront_offset 0
		.amdhsa_system_sgpr_workgroup_id_x 1
		.amdhsa_system_sgpr_workgroup_id_y 0
		.amdhsa_system_sgpr_workgroup_id_z 0
		.amdhsa_system_sgpr_workgroup_info 0
		.amdhsa_system_vgpr_workitem_id 0
		.amdhsa_next_free_vgpr 21
		.amdhsa_next_free_sgpr 96
		.amdhsa_accum_offset 24
		.amdhsa_reserve_vcc 1
		.amdhsa_reserve_flat_scratch 0
		.amdhsa_float_round_mode_32 0
		.amdhsa_float_round_mode_16_64 0
		.amdhsa_float_denorm_mode_32 3
		.amdhsa_float_denorm_mode_16_64 3
		.amdhsa_dx10_clamp 1
		.amdhsa_ieee_mode 1
		.amdhsa_fp16_overflow 0
		.amdhsa_tg_split 0
		.amdhsa_exception_fp_ieee_invalid_op 0
		.amdhsa_exception_fp_denorm_src 0
		.amdhsa_exception_fp_ieee_div_zero 0
		.amdhsa_exception_fp_ieee_overflow 0
		.amdhsa_exception_fp_ieee_underflow 0
		.amdhsa_exception_fp_ieee_inexact 0
		.amdhsa_exception_int_div_zero 0
	.end_amdhsa_kernel
	.section	.text._ZN9rocsparseL26csrgemm_fill_block_per_rowILj1024ELj64ELj8192ELj137ELj32ElifEEvT5_PKS1_S3_NS_24const_host_device_scalarIT6_EEPKT4_S3_PKS5_S9_S3_SB_S6_S9_S3_SB_S9_PS1_PS5_21rocsparse_index_base_SE_SE_SE_bbb,"axG",@progbits,_ZN9rocsparseL26csrgemm_fill_block_per_rowILj1024ELj64ELj8192ELj137ELj32ElifEEvT5_PKS1_S3_NS_24const_host_device_scalarIT6_EEPKT4_S3_PKS5_S9_S3_SB_S6_S9_S3_SB_S9_PS1_PS5_21rocsparse_index_base_SE_SE_SE_bbb,comdat
.Lfunc_end188:
	.size	_ZN9rocsparseL26csrgemm_fill_block_per_rowILj1024ELj64ELj8192ELj137ELj32ElifEEvT5_PKS1_S3_NS_24const_host_device_scalarIT6_EEPKT4_S3_PKS5_S9_S3_SB_S6_S9_S3_SB_S9_PS1_PS5_21rocsparse_index_base_SE_SE_SE_bbb, .Lfunc_end188-_ZN9rocsparseL26csrgemm_fill_block_per_rowILj1024ELj64ELj8192ELj137ELj32ElifEEvT5_PKS1_S3_NS_24const_host_device_scalarIT6_EEPKT4_S3_PKS5_S9_S3_SB_S6_S9_S3_SB_S9_PS1_PS5_21rocsparse_index_base_SE_SE_SE_bbb
                                        ; -- End function
	.section	.AMDGPU.csdata,"",@progbits
; Kernel info:
; codeLenInByte = 4612
; NumSgprs: 100
; NumVgprs: 21
; NumAgprs: 0
; TotalNumVgprs: 21
; ScratchSize: 0
; MemoryBound: 0
; FloatMode: 240
; IeeeMode: 1
; LDSByteSize: 0 bytes/workgroup (compile time only)
; SGPRBlocks: 12
; VGPRBlocks: 2
; NumSGPRsForWavesPerEU: 100
; NumVGPRsForWavesPerEU: 21
; AccumOffset: 24
; Occupancy: 8
; WaveLimiterHint : 1
; COMPUTE_PGM_RSRC2:SCRATCH_EN: 0
; COMPUTE_PGM_RSRC2:USER_SGPR: 6
; COMPUTE_PGM_RSRC2:TRAP_HANDLER: 0
; COMPUTE_PGM_RSRC2:TGID_X_EN: 1
; COMPUTE_PGM_RSRC2:TGID_Y_EN: 0
; COMPUTE_PGM_RSRC2:TGID_Z_EN: 0
; COMPUTE_PGM_RSRC2:TIDIG_COMP_CNT: 0
; COMPUTE_PGM_RSRC3_GFX90A:ACCUM_OFFSET: 5
; COMPUTE_PGM_RSRC3_GFX90A:TG_SPLIT: 0
	.section	.text._ZN9rocsparseL26csrgemm_fill_block_per_rowILj1024ELj64ELj8192ELj137ELj64ElifEEvT5_PKS1_S3_NS_24const_host_device_scalarIT6_EEPKT4_S3_PKS5_S9_S3_SB_S6_S9_S3_SB_S9_PS1_PS5_21rocsparse_index_base_SE_SE_SE_bbb,"axG",@progbits,_ZN9rocsparseL26csrgemm_fill_block_per_rowILj1024ELj64ELj8192ELj137ELj64ElifEEvT5_PKS1_S3_NS_24const_host_device_scalarIT6_EEPKT4_S3_PKS5_S9_S3_SB_S6_S9_S3_SB_S9_PS1_PS5_21rocsparse_index_base_SE_SE_SE_bbb,comdat
	.globl	_ZN9rocsparseL26csrgemm_fill_block_per_rowILj1024ELj64ELj8192ELj137ELj64ElifEEvT5_PKS1_S3_NS_24const_host_device_scalarIT6_EEPKT4_S3_PKS5_S9_S3_SB_S6_S9_S3_SB_S9_PS1_PS5_21rocsparse_index_base_SE_SE_SE_bbb ; -- Begin function _ZN9rocsparseL26csrgemm_fill_block_per_rowILj1024ELj64ELj8192ELj137ELj64ElifEEvT5_PKS1_S3_NS_24const_host_device_scalarIT6_EEPKT4_S3_PKS5_S9_S3_SB_S6_S9_S3_SB_S9_PS1_PS5_21rocsparse_index_base_SE_SE_SE_bbb
	.p2align	8
	.type	_ZN9rocsparseL26csrgemm_fill_block_per_rowILj1024ELj64ELj8192ELj137ELj64ElifEEvT5_PKS1_S3_NS_24const_host_device_scalarIT6_EEPKT4_S3_PKS5_S9_S3_SB_S6_S9_S3_SB_S9_PS1_PS5_21rocsparse_index_base_SE_SE_SE_bbb,@function
_ZN9rocsparseL26csrgemm_fill_block_per_rowILj1024ELj64ELj8192ELj137ELj64ElifEEvT5_PKS1_S3_NS_24const_host_device_scalarIT6_EEPKT4_S3_PKS5_S9_S3_SB_S6_S9_S3_SB_S9_PS1_PS5_21rocsparse_index_base_SE_SE_SE_bbb: ; @_ZN9rocsparseL26csrgemm_fill_block_per_rowILj1024ELj64ELj8192ELj137ELj64ElifEEvT5_PKS1_S3_NS_24const_host_device_scalarIT6_EEPKT4_S3_PKS5_S9_S3_SB_S6_S9_S3_SB_S9_PS1_PS5_21rocsparse_index_base_SE_SE_SE_bbb
; %bb.0:
	s_load_dword s7, s[4:5], 0x98
	s_load_dwordx4 s[8:11], s[4:5], 0x8
	s_load_dwordx2 s[0:1], s[4:5], 0x18
	s_load_dwordx4 s[36:39], s[4:5], 0x88
	s_load_dwordx2 s[12:13], s[4:5], 0x50
	s_waitcnt lgkmcnt(0)
	s_bitcmp1_b32 s7, 0
	s_cselect_b64 s[2:3], -1, 0
	s_bitcmp1_b32 s7, 16
	s_cselect_b64 s[14:15], -1, 0
	s_xor_b64 s[16:17], s[2:3], -1
	s_or_b64 s[16:17], s[16:17], s[14:15]
	s_and_b64 vcc, exec, s[16:17]
	s_cbranch_vccnz .LBB189_2
; %bb.1:
	s_load_dword s0, s[0:1], 0x0
	s_waitcnt lgkmcnt(0)
	v_mov_b32_e32 v11, s0
	s_branch .LBB189_3
.LBB189_2:
	v_mov_b32_e32 v1, s0
	v_cndmask_b32_e64 v11, 0, v1, s[2:3]
.LBB189_3:
	s_bitcmp1_b32 s7, 8
	s_cselect_b64 s[0:1], -1, 0
	s_xor_b64 s[16:17], s[0:1], -1
	s_or_b64 s[14:15], s[16:17], s[14:15]
	s_mov_b32 s7, 0
	s_and_b64 vcc, exec, s[14:15]
	s_cbranch_vccnz .LBB189_5
; %bb.4:
	s_load_dword s12, s[12:13], 0x0
	s_waitcnt lgkmcnt(0)
	v_mov_b32_e32 v1, s12
	s_branch .LBB189_6
.LBB189_5:
	v_mov_b32_e32 v1, s12
	v_cndmask_b32_e64 v1, 0, v1, s[0:1]
.LBB189_6:
	s_load_dword s33, s[4:5], 0x0
	v_lshlrev_b32_e32 v2, 2, v0
	s_add_i32 s12, 0, 0x8000
	v_mov_b32_e32 v3, 0
	v_add_u32_e32 v4, 0, v2
	s_waitcnt lgkmcnt(0)
	v_mov_b32_e32 v5, s33
	v_mov_b32_e32 v6, s33
	v_add_u32_e32 v2, s12, v2
	ds_write_b32 v4, v3 offset:32768
	ds_write2st64_b32 v4, v5, v6 offset1:16
	ds_write2st64_b32 v2, v3, v3 offset0:16 offset1:32
	ds_write2st64_b32 v4, v5, v6 offset0:32 offset1:48
	;; [unrolled: 1-line block ×6, first 2 shown]
	ds_write_b32 v2, v3 offset:28672
	s_waitcnt lgkmcnt(0)
	s_barrier
	s_load_dword s8, s[8:9], 0x0
	v_lshrrev_b32_e32 v10, 6, v0
	s_waitcnt lgkmcnt(0)
	s_add_i32 s6, s8, s6
	s_lshl_b64 s[6:7], s[6:7], 2
	s_add_u32 s6, s10, s6
	s_addc_u32 s7, s11, s7
	s_load_dword s34, s[6:7], 0x0
	s_andn2_b64 vcc, exec, s[2:3]
	s_cbranch_vccnz .LBB189_26
; %bb.7:
	s_load_dwordx2 s[2:3], s[4:5], 0x20
	s_waitcnt lgkmcnt(0)
	s_ashr_i32 s35, s34, 31
	s_lshl_b64 s[6:7], s[34:35], 3
	v_subrev_co_u32_e32 v2, vcc, s36, v10
	s_add_u32 s2, s2, s6
	s_addc_u32 s3, s3, s7
	s_load_dwordx4 s[8:11], s[2:3], 0x0
	v_subb_co_u32_e64 v3, s[2:3], 0, 0, vcc
	s_mov_b32 s20, 0
	s_waitcnt lgkmcnt(0)
	s_sub_u32 s2, s10, s36
	v_mov_b32_e32 v4, s9
	v_add_co_u32_e32 v2, vcc, s8, v2
	s_subb_u32 s3, s11, 0
	v_addc_co_u32_e32 v3, vcc, v4, v3, vcc
	v_cmp_gt_i64_e32 vcc, s[2:3], v[2:3]
	s_and_saveexec_b64 s[6:7], vcc
	s_cbranch_execz .LBB189_25
; %bb.8:
	s_load_dwordx2 s[16:17], s[4:5], 0x48
	s_load_dwordx8 s[8:15], s[4:5], 0x28
	v_and_b32_e32 v4, 63, v0
	v_subrev_co_u32_e32 v12, vcc, s37, v4
	v_subb_co_u32_e64 v13, s[18:19], 0, 0, vcc
	s_mov_b32 s35, s37
	s_mov_b64 s[18:19], 0
	s_waitcnt lgkmcnt(0)
	v_mov_b32_e32 v14, s9
	v_mov_b32_e32 v15, s13
	;; [unrolled: 1-line block ×3, first 2 shown]
	s_movk_i32 s9, 0x89
	s_branch .LBB189_10
.LBB189_9:                              ;   in Loop: Header=BB189_10 Depth=1
	s_or_b64 exec, exec, s[20:21]
	v_add_co_u32_e32 v2, vcc, 16, v2
	v_addc_co_u32_e32 v3, vcc, 0, v3, vcc
	v_cmp_le_i64_e32 vcc, s[2:3], v[2:3]
	s_or_b64 s[18:19], vcc, s[18:19]
	s_andn2_b64 exec, exec, s[18:19]
	s_cbranch_execz .LBB189_25
.LBB189_10:                             ; =>This Loop Header: Depth=1
                                        ;     Child Loop BB189_13 Depth 2
                                        ;       Child Loop BB189_15 Depth 3
	v_lshlrev_b64 v[8:9], 2, v[2:3]
	v_add_co_u32_e32 v4, vcc, s8, v8
	v_addc_co_u32_e32 v5, vcc, v14, v9, vcc
	global_load_dword v4, v[4:5], off
	s_waitcnt vmcnt(0)
	v_subrev_u32_e32 v4, s36, v4
	v_ashrrev_i32_e32 v5, 31, v4
	v_lshlrev_b64 v[4:5], 3, v[4:5]
	v_add_co_u32_e32 v4, vcc, s12, v4
	v_addc_co_u32_e32 v5, vcc, v15, v5, vcc
	global_load_dwordx4 v[18:21], v[4:5], off
	s_waitcnt vmcnt(0)
	v_subrev_co_u32_e32 v4, vcc, s35, v20
	v_subb_co_u32_e32 v5, vcc, v21, v16, vcc
	v_add_co_u32_e32 v6, vcc, v18, v12
	v_addc_co_u32_e32 v7, vcc, v19, v13, vcc
	v_cmp_lt_i64_e32 vcc, v[6:7], v[4:5]
	s_and_saveexec_b64 s[20:21], vcc
	s_cbranch_execz .LBB189_9
; %bb.11:                               ;   in Loop: Header=BB189_10 Depth=1
	v_mov_b32_e32 v17, s11
	v_add_co_u32_e32 v8, vcc, s10, v8
	v_addc_co_u32_e32 v9, vcc, v17, v9, vcc
	global_load_dword v8, v[8:9], off
	s_mov_b64 s[22:23], 0
	s_waitcnt vmcnt(0)
	v_mul_f32_e32 v8, v11, v8
	s_branch .LBB189_13
.LBB189_12:                             ;   in Loop: Header=BB189_13 Depth=2
	s_or_b64 exec, exec, s[24:25]
	v_add_co_u32_e32 v6, vcc, 64, v6
	v_addc_co_u32_e32 v7, vcc, 0, v7, vcc
	v_cmp_ge_i64_e32 vcc, v[6:7], v[4:5]
	s_or_b64 s[22:23], vcc, s[22:23]
	s_andn2_b64 exec, exec, s[22:23]
	s_cbranch_execz .LBB189_9
.LBB189_13:                             ;   Parent Loop BB189_10 Depth=1
                                        ; =>  This Loop Header: Depth=2
                                        ;       Child Loop BB189_15 Depth 3
	v_lshlrev_b64 v[18:19], 2, v[6:7]
	v_mov_b32_e32 v9, s15
	v_add_co_u32_e32 v20, vcc, s14, v18
	v_addc_co_u32_e32 v21, vcc, v9, v19, vcc
	global_load_dword v9, v[20:21], off
	v_mov_b32_e32 v17, s17
	v_add_co_u32_e32 v18, vcc, s16, v18
	v_addc_co_u32_e32 v19, vcc, v17, v19, vcc
	global_load_dword v17, v[18:19], off
	s_mov_b64 s[24:25], 0
	s_waitcnt vmcnt(1)
	v_subrev_u32_e32 v9, s37, v9
	v_mul_lo_u32 v18, v9, s9
	v_and_b32_e32 v18, 0x1fff, v18
	s_waitcnt vmcnt(0)
	v_mul_f32_e32 v17, v8, v17
	s_branch .LBB189_15
.LBB189_14:                             ;   in Loop: Header=BB189_15 Depth=3
	s_or_b64 exec, exec, s[26:27]
	s_xor_b64 s[26:27], s[28:29], -1
	s_and_b64 s[26:27], exec, s[26:27]
	s_or_b64 s[24:25], s[26:27], s[24:25]
	s_andn2_b64 exec, exec, s[24:25]
	s_cbranch_execz .LBB189_12
.LBB189_15:                             ;   Parent Loop BB189_10 Depth=1
                                        ;     Parent Loop BB189_13 Depth=2
                                        ; =>    This Inner Loop Header: Depth=3
	v_lshl_add_u32 v19, v18, 2, 0
	ds_read_b32 v20, v19
                                        ; implicit-def: $sgpr28_sgpr29
	s_waitcnt lgkmcnt(0)
	v_cmp_ne_u32_e32 vcc, v20, v9
	s_and_saveexec_b64 s[26:27], vcc
	s_xor_b64 s[26:27], exec, s[26:27]
	s_cbranch_execz .LBB189_23
; %bb.16:                               ;   in Loop: Header=BB189_15 Depth=3
	v_cmp_ne_u32_e32 vcc, s33, v20
                                        ; implicit-def: $sgpr28_sgpr29
	s_and_saveexec_b64 s[30:31], vcc
	s_xor_b64 s[30:31], exec, s[30:31]
; %bb.17:                               ;   in Loop: Header=BB189_15 Depth=3
	v_add_u32_e32 v18, 1, v18
	v_and_b32_e32 v18, 0x1fff, v18
	s_mov_b64 s[28:29], -1
                                        ; implicit-def: $vgpr19
; %bb.18:                               ;   in Loop: Header=BB189_15 Depth=3
	s_andn2_saveexec_b64 s[30:31], s[30:31]
	s_cbranch_execz .LBB189_22
; %bb.19:                               ;   in Loop: Header=BB189_15 Depth=3
	v_mov_b32_e32 v20, s33
	ds_cmpst_rtn_b32 v20, v19, v20, v9
	s_mov_b64 s[40:41], -1
	s_waitcnt lgkmcnt(0)
	v_cmp_eq_u32_e32 vcc, s33, v20
	s_and_saveexec_b64 s[42:43], vcc
	s_cbranch_execz .LBB189_21
; %bb.20:                               ;   in Loop: Header=BB189_15 Depth=3
	ds_add_f32 v19, v17 offset:32768
	s_xor_b64 s[40:41], exec, -1
.LBB189_21:                             ;   in Loop: Header=BB189_15 Depth=3
	s_or_b64 exec, exec, s[42:43]
	s_andn2_b64 s[28:29], s[28:29], exec
	s_and_b64 s[40:41], s[40:41], exec
	s_or_b64 s[28:29], s[28:29], s[40:41]
.LBB189_22:                             ;   in Loop: Header=BB189_15 Depth=3
	s_or_b64 exec, exec, s[30:31]
	s_and_b64 s[28:29], s[28:29], exec
                                        ; implicit-def: $vgpr19
.LBB189_23:                             ;   in Loop: Header=BB189_15 Depth=3
	s_andn2_saveexec_b64 s[26:27], s[26:27]
	s_cbranch_execz .LBB189_14
; %bb.24:                               ;   in Loop: Header=BB189_15 Depth=3
	ds_add_f32 v19, v17 offset:32768
	s_andn2_b64 s[28:29], s[28:29], exec
	s_branch .LBB189_14
.LBB189_25:
	s_or_b64 exec, exec, s[6:7]
.LBB189_26:
	s_load_dwordx2 s[36:37], s[4:5], 0x80
	s_load_dwordx4 s[40:43], s[4:5], 0x70
	s_andn2_b64 vcc, exec, s[0:1]
	s_cbranch_vccnz .LBB189_43
; %bb.27:
	s_load_dwordx2 s[0:1], s[4:5], 0x58
	s_waitcnt lgkmcnt(0)
	s_ashr_i32 s35, s34, 31
	s_lshl_b64 s[2:3], s[34:35], 3
	v_subrev_co_u32_e32 v2, vcc, s39, v0
	s_add_u32 s0, s0, s2
	s_addc_u32 s1, s1, s3
	s_load_dwordx4 s[0:3], s[0:1], 0x0
	v_subb_co_u32_e64 v3, s[6:7], 0, 0, vcc
	s_waitcnt lgkmcnt(0)
	s_sub_u32 s6, s2, s39
	v_mov_b32_e32 v4, s1
	v_add_co_u32_e32 v2, vcc, s0, v2
	s_subb_u32 s7, s3, 0
	v_addc_co_u32_e32 v3, vcc, v4, v3, vcc
	v_cmp_gt_i64_e32 vcc, s[6:7], v[2:3]
	s_and_saveexec_b64 s[8:9], vcc
	s_cbranch_execz .LBB189_42
; %bb.28:
	s_load_dwordx4 s[0:3], s[4:5], 0x60
	s_mov_b64 s[4:5], 0
	s_waitcnt lgkmcnt(0)
	v_mov_b32_e32 v4, s1
	v_mov_b32_e32 v5, s3
	s_movk_i32 s1, 0x89
	s_branch .LBB189_30
.LBB189_29:                             ;   in Loop: Header=BB189_30 Depth=1
	s_or_b64 exec, exec, s[10:11]
	v_add_co_u32_e32 v2, vcc, 0x400, v2
	v_addc_co_u32_e32 v3, vcc, 0, v3, vcc
	v_cmp_le_i64_e32 vcc, s[6:7], v[2:3]
	s_or_b64 s[4:5], vcc, s[4:5]
	s_andn2_b64 exec, exec, s[4:5]
	s_cbranch_execz .LBB189_42
.LBB189_30:                             ; =>This Loop Header: Depth=1
                                        ;     Child Loop BB189_32 Depth 2
	v_lshlrev_b64 v[6:7], 2, v[2:3]
	v_add_co_u32_e32 v8, vcc, s0, v6
	v_addc_co_u32_e32 v9, vcc, v4, v7, vcc
	global_load_dword v8, v[8:9], off
	v_add_co_u32_e32 v6, vcc, s2, v6
	v_addc_co_u32_e32 v7, vcc, v5, v7, vcc
	global_load_dword v7, v[6:7], off
	s_mov_b64 s[10:11], 0
	s_waitcnt vmcnt(1)
	v_subrev_u32_e32 v6, s39, v8
	v_mul_lo_u32 v8, v6, s1
	v_and_b32_e32 v8, 0x1fff, v8
	s_waitcnt vmcnt(0)
	v_mul_f32_e32 v7, v1, v7
	s_branch .LBB189_32
.LBB189_31:                             ;   in Loop: Header=BB189_32 Depth=2
	s_or_b64 exec, exec, s[12:13]
	s_xor_b64 s[12:13], s[14:15], -1
	s_and_b64 s[12:13], exec, s[12:13]
	s_or_b64 s[10:11], s[12:13], s[10:11]
	s_andn2_b64 exec, exec, s[10:11]
	s_cbranch_execz .LBB189_29
.LBB189_32:                             ;   Parent Loop BB189_30 Depth=1
                                        ; =>  This Inner Loop Header: Depth=2
	v_lshl_add_u32 v9, v8, 2, 0
	ds_read_b32 v11, v9
                                        ; implicit-def: $sgpr14_sgpr15
	s_waitcnt lgkmcnt(0)
	v_cmp_ne_u32_e32 vcc, v11, v6
	s_and_saveexec_b64 s[12:13], vcc
	s_xor_b64 s[12:13], exec, s[12:13]
	s_cbranch_execz .LBB189_40
; %bb.33:                               ;   in Loop: Header=BB189_32 Depth=2
	v_cmp_ne_u32_e32 vcc, s33, v11
                                        ; implicit-def: $sgpr14_sgpr15
	s_and_saveexec_b64 s[16:17], vcc
	s_xor_b64 s[16:17], exec, s[16:17]
; %bb.34:                               ;   in Loop: Header=BB189_32 Depth=2
	v_add_u32_e32 v8, 1, v8
	v_and_b32_e32 v8, 0x1fff, v8
	s_mov_b64 s[14:15], -1
                                        ; implicit-def: $vgpr9
; %bb.35:                               ;   in Loop: Header=BB189_32 Depth=2
	s_andn2_saveexec_b64 s[16:17], s[16:17]
	s_cbranch_execz .LBB189_39
; %bb.36:                               ;   in Loop: Header=BB189_32 Depth=2
	v_mov_b32_e32 v11, s33
	ds_cmpst_rtn_b32 v11, v9, v11, v6
	s_mov_b64 s[18:19], -1
	s_waitcnt lgkmcnt(0)
	v_cmp_eq_u32_e32 vcc, s33, v11
	s_and_saveexec_b64 s[20:21], vcc
	s_cbranch_execz .LBB189_38
; %bb.37:                               ;   in Loop: Header=BB189_32 Depth=2
	ds_add_f32 v9, v7 offset:32768
	s_xor_b64 s[18:19], exec, -1
.LBB189_38:                             ;   in Loop: Header=BB189_32 Depth=2
	s_or_b64 exec, exec, s[20:21]
	s_andn2_b64 s[14:15], s[14:15], exec
	s_and_b64 s[18:19], s[18:19], exec
	s_or_b64 s[14:15], s[14:15], s[18:19]
.LBB189_39:                             ;   in Loop: Header=BB189_32 Depth=2
	s_or_b64 exec, exec, s[16:17]
	s_and_b64 s[14:15], s[14:15], exec
                                        ; implicit-def: $vgpr9
.LBB189_40:                             ;   in Loop: Header=BB189_32 Depth=2
	s_andn2_saveexec_b64 s[12:13], s[12:13]
	s_cbranch_execz .LBB189_31
; %bb.41:                               ;   in Loop: Header=BB189_32 Depth=2
	ds_add_f32 v9, v7 offset:32768
	s_andn2_b64 s[14:15], s[14:15], exec
	s_branch .LBB189_31
.LBB189_42:
	s_or_b64 exec, exec, s[8:9]
.LBB189_43:
	v_mbcnt_lo_u32_b32 v2, -1, 0
	v_mbcnt_hi_u32_b32 v2, -1, v2
	v_sub_u32_e32 v2, 63, v2
	s_add_i32 s35, 0, 0x10000
	s_movk_i32 s0, 0x3ff
	s_movk_i32 s2, 0x7f
	;; [unrolled: 1-line block ×15, first 2 shown]
	s_add_i32 s61, 0, 0x1003c
	v_mov_b32_e32 v1, 0
	v_lshrrev_b64 v[2:3], v2, -1
	v_lshl_add_u32 v6, v10, 2, s35
	v_cmp_eq_u32_e32 vcc, s0, v0
	v_cmp_lt_u32_e64 s[0:1], 63, v0
	v_cmp_lt_u32_e64 s[2:3], s2, v0
	v_cmp_lt_u32_e64 s[4:5], s4, v0
	v_cmp_lt_u32_e64 s[6:7], s6, v0
	v_cmp_lt_u32_e64 s[8:9], s8, v0
	v_cmp_lt_u32_e64 s[10:11], s10, v0
	v_cmp_lt_u32_e64 s[12:13], s12, v0
	v_cmp_lt_u32_e64 s[14:15], s14, v0
	v_cmp_lt_u32_e64 s[16:17], s16, v0
	v_cmp_lt_u32_e64 s[18:19], s18, v0
	v_cmp_lt_u32_e64 s[20:21], s20, v0
	v_cmp_lt_u32_e64 s[22:23], s22, v0
	v_cmp_lt_u32_e64 s[24:25], s24, v0
	v_cmp_lt_u32_e64 s[26:27], s26, v0
	v_cmp_lt_u32_e64 s[28:29], s28, v0
	v_or_b32_e32 v7, 0xfffffc00, v0
	v_lshl_add_u32 v8, v0, 2, 0
	s_mov_b64 s[44:45], 0
	s_add_i32 s39, 0, 0x10004
	s_add_i32 s48, 0, 0x10008
	;; [unrolled: 1-line block ×14, first 2 shown]
	v_mov_b32_e32 v9, s61
	s_movk_i32 s62, 0x1bff
	s_waitcnt lgkmcnt(0)
	s_barrier
	s_branch .LBB189_45
.LBB189_44:                             ;   in Loop: Header=BB189_45 Depth=1
	s_or_b64 exec, exec, s[30:31]
	s_waitcnt lgkmcnt(0)
	s_barrier
	ds_read_b32 v4, v9
	v_add_u32_e32 v7, 0x400, v7
	v_cmp_lt_u32_e64 s[30:31], s62, v7
	s_or_b64 s[44:45], s[30:31], s[44:45]
	v_add_u32_e32 v8, 0x1000, v8
	s_waitcnt lgkmcnt(0)
	v_add_u32_e32 v1, v4, v1
	s_andn2_b64 exec, exec, s[44:45]
	s_cbranch_execz .LBB189_79
.LBB189_45:                             ; =>This Inner Loop Header: Depth=1
	ds_read2st64_b32 v[4:5], v8 offset1:128
	s_waitcnt lgkmcnt(0)
	s_barrier
	v_cmp_gt_i32_e64 s[30:31], s33, v4
	v_and_b32_e32 v11, s30, v2
	s_bcnt1_i32_b64 s46, s[30:31]
	v_and_b32_e32 v10, s31, v3
	v_bcnt_u32_b32 v11, v11, 0
	v_bcnt_u32_b32 v10, v10, v11
	v_mov_b32_e32 v11, s46
	ds_write_b32 v6, v11
	s_waitcnt lgkmcnt(0)
	s_barrier
	s_and_saveexec_b64 s[46:47], s[0:1]
	s_cbranch_execnz .LBB189_62
; %bb.46:                               ;   in Loop: Header=BB189_45 Depth=1
	s_or_b64 exec, exec, s[46:47]
	s_and_saveexec_b64 s[46:47], s[2:3]
	s_cbranch_execnz .LBB189_63
.LBB189_47:                             ;   in Loop: Header=BB189_45 Depth=1
	s_or_b64 exec, exec, s[46:47]
	s_and_saveexec_b64 s[46:47], s[4:5]
	s_cbranch_execnz .LBB189_64
.LBB189_48:                             ;   in Loop: Header=BB189_45 Depth=1
	s_or_b64 exec, exec, s[46:47]
	s_and_saveexec_b64 s[46:47], s[6:7]
	s_cbranch_execnz .LBB189_65
.LBB189_49:                             ;   in Loop: Header=BB189_45 Depth=1
	s_or_b64 exec, exec, s[46:47]
	s_and_saveexec_b64 s[46:47], s[8:9]
	s_cbranch_execnz .LBB189_66
.LBB189_50:                             ;   in Loop: Header=BB189_45 Depth=1
	s_or_b64 exec, exec, s[46:47]
	s_and_saveexec_b64 s[46:47], s[10:11]
	s_cbranch_execnz .LBB189_67
.LBB189_51:                             ;   in Loop: Header=BB189_45 Depth=1
	s_or_b64 exec, exec, s[46:47]
	s_and_saveexec_b64 s[46:47], s[12:13]
	s_cbranch_execnz .LBB189_68
.LBB189_52:                             ;   in Loop: Header=BB189_45 Depth=1
	s_or_b64 exec, exec, s[46:47]
	s_and_saveexec_b64 s[46:47], s[14:15]
	s_cbranch_execnz .LBB189_69
.LBB189_53:                             ;   in Loop: Header=BB189_45 Depth=1
	s_or_b64 exec, exec, s[46:47]
	s_and_saveexec_b64 s[46:47], s[16:17]
	s_cbranch_execnz .LBB189_70
.LBB189_54:                             ;   in Loop: Header=BB189_45 Depth=1
	s_or_b64 exec, exec, s[46:47]
	s_and_saveexec_b64 s[46:47], s[18:19]
	s_cbranch_execnz .LBB189_71
.LBB189_55:                             ;   in Loop: Header=BB189_45 Depth=1
	s_or_b64 exec, exec, s[46:47]
	s_and_saveexec_b64 s[46:47], s[20:21]
	s_cbranch_execnz .LBB189_72
.LBB189_56:                             ;   in Loop: Header=BB189_45 Depth=1
	s_or_b64 exec, exec, s[46:47]
	s_and_saveexec_b64 s[46:47], s[22:23]
	s_cbranch_execnz .LBB189_73
.LBB189_57:                             ;   in Loop: Header=BB189_45 Depth=1
	s_or_b64 exec, exec, s[46:47]
	s_and_saveexec_b64 s[46:47], s[24:25]
	s_cbranch_execnz .LBB189_74
.LBB189_58:                             ;   in Loop: Header=BB189_45 Depth=1
	s_or_b64 exec, exec, s[46:47]
	s_and_saveexec_b64 s[46:47], s[26:27]
	s_cbranch_execnz .LBB189_75
.LBB189_59:                             ;   in Loop: Header=BB189_45 Depth=1
	s_or_b64 exec, exec, s[46:47]
	s_and_saveexec_b64 s[46:47], s[28:29]
	s_cbranch_execnz .LBB189_76
.LBB189_60:                             ;   in Loop: Header=BB189_45 Depth=1
	s_or_b64 exec, exec, s[46:47]
	s_and_saveexec_b64 s[46:47], s[30:31]
	s_cbranch_execnz .LBB189_77
.LBB189_61:                             ;   in Loop: Header=BB189_45 Depth=1
	s_or_b64 exec, exec, s[46:47]
	s_and_saveexec_b64 s[30:31], vcc
	s_cbranch_execz .LBB189_44
	s_branch .LBB189_78
.LBB189_62:                             ;   in Loop: Header=BB189_45 Depth=1
	v_mov_b32_e32 v11, s35
	ds_read_b32 v11, v11
	s_waitcnt lgkmcnt(0)
	v_add_u32_e32 v10, v11, v10
	s_or_b64 exec, exec, s[46:47]
	s_and_saveexec_b64 s[46:47], s[2:3]
	s_cbranch_execz .LBB189_47
.LBB189_63:                             ;   in Loop: Header=BB189_45 Depth=1
	v_mov_b32_e32 v11, s39
	ds_read_b32 v11, v11
	s_waitcnt lgkmcnt(0)
	v_add_u32_e32 v10, v11, v10
	s_or_b64 exec, exec, s[46:47]
	s_and_saveexec_b64 s[46:47], s[4:5]
	s_cbranch_execz .LBB189_48
.LBB189_64:                             ;   in Loop: Header=BB189_45 Depth=1
	v_mov_b32_e32 v11, s48
	ds_read_b32 v11, v11
	s_waitcnt lgkmcnt(0)
	v_add_u32_e32 v10, v11, v10
	s_or_b64 exec, exec, s[46:47]
	s_and_saveexec_b64 s[46:47], s[6:7]
	s_cbranch_execz .LBB189_49
.LBB189_65:                             ;   in Loop: Header=BB189_45 Depth=1
	v_mov_b32_e32 v11, s49
	ds_read_b32 v11, v11
	s_waitcnt lgkmcnt(0)
	v_add_u32_e32 v10, v11, v10
	s_or_b64 exec, exec, s[46:47]
	s_and_saveexec_b64 s[46:47], s[8:9]
	s_cbranch_execz .LBB189_50
.LBB189_66:                             ;   in Loop: Header=BB189_45 Depth=1
	v_mov_b32_e32 v11, s50
	ds_read_b32 v11, v11
	s_waitcnt lgkmcnt(0)
	v_add_u32_e32 v10, v11, v10
	s_or_b64 exec, exec, s[46:47]
	s_and_saveexec_b64 s[46:47], s[10:11]
	s_cbranch_execz .LBB189_51
.LBB189_67:                             ;   in Loop: Header=BB189_45 Depth=1
	v_mov_b32_e32 v11, s51
	ds_read_b32 v11, v11
	s_waitcnt lgkmcnt(0)
	v_add_u32_e32 v10, v11, v10
	s_or_b64 exec, exec, s[46:47]
	s_and_saveexec_b64 s[46:47], s[12:13]
	s_cbranch_execz .LBB189_52
.LBB189_68:                             ;   in Loop: Header=BB189_45 Depth=1
	v_mov_b32_e32 v11, s52
	ds_read_b32 v11, v11
	s_waitcnt lgkmcnt(0)
	v_add_u32_e32 v10, v11, v10
	s_or_b64 exec, exec, s[46:47]
	s_and_saveexec_b64 s[46:47], s[14:15]
	s_cbranch_execz .LBB189_53
.LBB189_69:                             ;   in Loop: Header=BB189_45 Depth=1
	v_mov_b32_e32 v11, s53
	ds_read_b32 v11, v11
	s_waitcnt lgkmcnt(0)
	v_add_u32_e32 v10, v11, v10
	s_or_b64 exec, exec, s[46:47]
	s_and_saveexec_b64 s[46:47], s[16:17]
	s_cbranch_execz .LBB189_54
.LBB189_70:                             ;   in Loop: Header=BB189_45 Depth=1
	v_mov_b32_e32 v11, s54
	ds_read_b32 v11, v11
	s_waitcnt lgkmcnt(0)
	v_add_u32_e32 v10, v11, v10
	s_or_b64 exec, exec, s[46:47]
	s_and_saveexec_b64 s[46:47], s[18:19]
	s_cbranch_execz .LBB189_55
.LBB189_71:                             ;   in Loop: Header=BB189_45 Depth=1
	v_mov_b32_e32 v11, s55
	ds_read_b32 v11, v11
	s_waitcnt lgkmcnt(0)
	v_add_u32_e32 v10, v11, v10
	s_or_b64 exec, exec, s[46:47]
	s_and_saveexec_b64 s[46:47], s[20:21]
	s_cbranch_execz .LBB189_56
.LBB189_72:                             ;   in Loop: Header=BB189_45 Depth=1
	v_mov_b32_e32 v11, s56
	ds_read_b32 v11, v11
	s_waitcnt lgkmcnt(0)
	v_add_u32_e32 v10, v11, v10
	s_or_b64 exec, exec, s[46:47]
	s_and_saveexec_b64 s[46:47], s[22:23]
	s_cbranch_execz .LBB189_57
.LBB189_73:                             ;   in Loop: Header=BB189_45 Depth=1
	v_mov_b32_e32 v11, s57
	ds_read_b32 v11, v11
	s_waitcnt lgkmcnt(0)
	v_add_u32_e32 v10, v11, v10
	s_or_b64 exec, exec, s[46:47]
	s_and_saveexec_b64 s[46:47], s[24:25]
	s_cbranch_execz .LBB189_58
.LBB189_74:                             ;   in Loop: Header=BB189_45 Depth=1
	v_mov_b32_e32 v11, s58
	ds_read_b32 v11, v11
	s_waitcnt lgkmcnt(0)
	v_add_u32_e32 v10, v11, v10
	s_or_b64 exec, exec, s[46:47]
	s_and_saveexec_b64 s[46:47], s[26:27]
	s_cbranch_execz .LBB189_59
.LBB189_75:                             ;   in Loop: Header=BB189_45 Depth=1
	v_mov_b32_e32 v11, s59
	ds_read_b32 v11, v11
	s_waitcnt lgkmcnt(0)
	v_add_u32_e32 v10, v11, v10
	s_or_b64 exec, exec, s[46:47]
	s_and_saveexec_b64 s[46:47], s[28:29]
	s_cbranch_execz .LBB189_60
.LBB189_76:                             ;   in Loop: Header=BB189_45 Depth=1
	v_mov_b32_e32 v11, s60
	ds_read_b32 v11, v11
	s_waitcnt lgkmcnt(0)
	v_add_u32_e32 v10, v11, v10
	s_or_b64 exec, exec, s[46:47]
	s_and_saveexec_b64 s[46:47], s[30:31]
	s_cbranch_execz .LBB189_61
.LBB189_77:                             ;   in Loop: Header=BB189_45 Depth=1
	v_add3_u32 v11, v1, -1, v10
	v_lshl_add_u32 v11, v11, 2, 0
	ds_write2st64_b32 v11, v4, v5 offset1:128
	s_or_b64 exec, exec, s[46:47]
	s_and_saveexec_b64 s[30:31], vcc
	s_cbranch_execz .LBB189_44
.LBB189_78:                             ;   in Loop: Header=BB189_45 Depth=1
	v_mov_b32_e32 v4, s61
	ds_write_b32 v4, v10
	s_branch .LBB189_44
.LBB189_79:
	s_or_b64 exec, exec, s[44:45]
	s_ashr_i32 s35, s34, 31
	s_lshl_b64 s[0:1], s[34:35], 3
	s_add_u32 s0, s40, s0
	s_addc_u32 s1, s41, s1
	s_load_dwordx4 s[0:3], s[0:1], 0x0
	s_waitcnt lgkmcnt(0)
	s_sub_i32 s8, s2, s0
	v_cmp_gt_i32_e32 vcc, s8, v0
	s_and_saveexec_b64 s[4:5], vcc
	s_cbranch_execz .LBB189_89
; %bb.80:
	s_sub_u32 s4, s0, s38
	s_subb_u32 s5, s1, 0
	s_and_b32 s9, s8, 7
	s_sub_i32 s0, s0, s2
	s_cmp_lt_u32 s0, -7
	s_cselect_b64 s[0:1], -1, 0
	s_and_b32 s10, s8, -8
	s_cmp_lg_u32 s9, 0
	v_cndmask_b32_e64 v1, 0, 1, s[0:1]
	s_cselect_b64 s[2:3], -1, 0
	v_cmp_ne_u32_e64 s[0:1], 1, v1
	v_cndmask_b32_e64 v1, 0, 1, s[2:3]
	s_mov_b64 s[6:7], 0
	v_cmp_ne_u32_e64 s[2:3], 1, v1
	v_mov_b32_e32 v1, s43
	s_branch .LBB189_82
.LBB189_81:                             ;   in Loop: Header=BB189_82 Depth=1
	v_lshlrev_b64 v[4:5], 2, v[4:5]
	v_add_co_u32_e32 v6, vcc, s42, v4
	s_waitcnt lgkmcnt(0)
	v_add_u32_e32 v2, s38, v2
	v_addc_co_u32_e32 v7, vcc, v1, v5, vcc
	global_store_dword v[6:7], v2, off
	v_mov_b32_e32 v2, s37
	v_add_co_u32_e32 v4, vcc, s36, v4
	v_addc_co_u32_e32 v5, vcc, v2, v5, vcc
	v_add_u32_e32 v0, 0x400, v0
	v_cmp_le_i32_e32 vcc, s8, v0
	s_or_b64 s[6:7], vcc, s[6:7]
	global_store_dword v[4:5], v3, off
	s_andn2_b64 exec, exec, s[6:7]
	s_cbranch_execz .LBB189_89
.LBB189_82:                             ; =>This Loop Header: Depth=1
                                        ;     Child Loop BB189_84 Depth 2
                                        ;     Child Loop BB189_88 Depth 2
	v_lshl_add_u32 v2, v0, 2, 0
	ds_read2st64_b32 v[2:3], v2 offset1:128
	s_and_b64 vcc, exec, s[0:1]
	v_pk_mov_b32 v[4:5], s[4:5], s[4:5] op_sel:[0,1]
	s_mov_b32 s11, 0
	s_cbranch_vccnz .LBB189_86
; %bb.83:                               ;   in Loop: Header=BB189_82 Depth=1
	s_mov_b32 s12, 0
	v_pk_mov_b32 v[4:5], s[4:5], s[4:5] op_sel:[0,1]
.LBB189_84:                             ;   Parent Loop BB189_82 Depth=1
                                        ; =>  This Inner Loop Header: Depth=2
	v_mov_b32_e32 v12, s12
	ds_read2_b32 v[6:7], v12 offset1:1
	ds_read2_b32 v[8:9], v12 offset0:2 offset1:3
	ds_read2_b32 v[10:11], v12 offset0:4 offset1:5
	;; [unrolled: 1-line block ×3, first 2 shown]
	s_add_i32 s11, s11, 8
	s_waitcnt lgkmcnt(3)
	v_cmp_gt_i32_e32 vcc, v2, v6
	v_cndmask_b32_e64 v6, 0, 1, vcc
	v_cmp_gt_i32_e32 vcc, v2, v7
	v_cndmask_b32_e64 v7, 0, 1, vcc
	s_waitcnt lgkmcnt(2)
	v_cmp_gt_i32_e32 vcc, v2, v8
	v_cndmask_b32_e64 v8, 0, 1, vcc
	v_cmp_gt_i32_e32 vcc, v2, v9
	v_cndmask_b32_e64 v9, 0, 1, vcc
	;; [unrolled: 5-line block ×4, first 2 shown]
	v_add_co_u32_e32 v4, vcc, v4, v6
	v_addc_co_u32_e32 v5, vcc, 0, v5, vcc
	v_add_co_u32_e32 v4, vcc, v4, v7
	v_addc_co_u32_e32 v5, vcc, 0, v5, vcc
	;; [unrolled: 2-line block ×7, first 2 shown]
	s_add_i32 s12, s12, 32
	v_add_co_u32_e32 v4, vcc, v4, v13
	s_cmp_eq_u32 s10, s11
	v_addc_co_u32_e32 v5, vcc, 0, v5, vcc
	s_cbranch_scc0 .LBB189_84
; %bb.85:                               ;   in Loop: Header=BB189_82 Depth=1
	s_mov_b32 s11, s10
.LBB189_86:                             ;   in Loop: Header=BB189_82 Depth=1
	s_and_b64 vcc, exec, s[2:3]
	s_cbranch_vccnz .LBB189_81
; %bb.87:                               ;   in Loop: Header=BB189_82 Depth=1
	s_lshl_b32 s11, s11, 2
	s_add_i32 s11, s11, 0
	s_mov_b32 s12, s9
.LBB189_88:                             ;   Parent Loop BB189_82 Depth=1
                                        ; =>  This Inner Loop Header: Depth=2
	v_mov_b32_e32 v6, s11
	ds_read_b32 v6, v6
	s_add_i32 s11, s11, 4
	s_add_i32 s12, s12, -1
	s_cmp_lg_u32 s12, 0
	s_waitcnt lgkmcnt(0)
	v_cmp_gt_i32_e32 vcc, v2, v6
	v_cndmask_b32_e64 v6, 0, 1, vcc
	v_add_co_u32_e32 v4, vcc, v4, v6
	v_addc_co_u32_e32 v5, vcc, 0, v5, vcc
	s_cbranch_scc1 .LBB189_88
	s_branch .LBB189_81
.LBB189_89:
	s_endpgm
	.section	.rodata,"a",@progbits
	.p2align	6, 0x0
	.amdhsa_kernel _ZN9rocsparseL26csrgemm_fill_block_per_rowILj1024ELj64ELj8192ELj137ELj64ElifEEvT5_PKS1_S3_NS_24const_host_device_scalarIT6_EEPKT4_S3_PKS5_S9_S3_SB_S6_S9_S3_SB_S9_PS1_PS5_21rocsparse_index_base_SE_SE_SE_bbb
		.amdhsa_group_segment_fixed_size 0
		.amdhsa_private_segment_fixed_size 0
		.amdhsa_kernarg_size 156
		.amdhsa_user_sgpr_count 6
		.amdhsa_user_sgpr_private_segment_buffer 1
		.amdhsa_user_sgpr_dispatch_ptr 0
		.amdhsa_user_sgpr_queue_ptr 0
		.amdhsa_user_sgpr_kernarg_segment_ptr 1
		.amdhsa_user_sgpr_dispatch_id 0
		.amdhsa_user_sgpr_flat_scratch_init 0
		.amdhsa_user_sgpr_kernarg_preload_length 0
		.amdhsa_user_sgpr_kernarg_preload_offset 0
		.amdhsa_user_sgpr_private_segment_size 0
		.amdhsa_uses_dynamic_stack 0
		.amdhsa_system_sgpr_private_segment_wavefront_offset 0
		.amdhsa_system_sgpr_workgroup_id_x 1
		.amdhsa_system_sgpr_workgroup_id_y 0
		.amdhsa_system_sgpr_workgroup_id_z 0
		.amdhsa_system_sgpr_workgroup_info 0
		.amdhsa_system_vgpr_workitem_id 0
		.amdhsa_next_free_vgpr 22
		.amdhsa_next_free_sgpr 63
		.amdhsa_accum_offset 24
		.amdhsa_reserve_vcc 1
		.amdhsa_reserve_flat_scratch 0
		.amdhsa_float_round_mode_32 0
		.amdhsa_float_round_mode_16_64 0
		.amdhsa_float_denorm_mode_32 3
		.amdhsa_float_denorm_mode_16_64 3
		.amdhsa_dx10_clamp 1
		.amdhsa_ieee_mode 1
		.amdhsa_fp16_overflow 0
		.amdhsa_tg_split 0
		.amdhsa_exception_fp_ieee_invalid_op 0
		.amdhsa_exception_fp_denorm_src 0
		.amdhsa_exception_fp_ieee_div_zero 0
		.amdhsa_exception_fp_ieee_overflow 0
		.amdhsa_exception_fp_ieee_underflow 0
		.amdhsa_exception_fp_ieee_inexact 0
		.amdhsa_exception_int_div_zero 0
	.end_amdhsa_kernel
	.section	.text._ZN9rocsparseL26csrgemm_fill_block_per_rowILj1024ELj64ELj8192ELj137ELj64ElifEEvT5_PKS1_S3_NS_24const_host_device_scalarIT6_EEPKT4_S3_PKS5_S9_S3_SB_S6_S9_S3_SB_S9_PS1_PS5_21rocsparse_index_base_SE_SE_SE_bbb,"axG",@progbits,_ZN9rocsparseL26csrgemm_fill_block_per_rowILj1024ELj64ELj8192ELj137ELj64ElifEEvT5_PKS1_S3_NS_24const_host_device_scalarIT6_EEPKT4_S3_PKS5_S9_S3_SB_S6_S9_S3_SB_S9_PS1_PS5_21rocsparse_index_base_SE_SE_SE_bbb,comdat
.Lfunc_end189:
	.size	_ZN9rocsparseL26csrgemm_fill_block_per_rowILj1024ELj64ELj8192ELj137ELj64ElifEEvT5_PKS1_S3_NS_24const_host_device_scalarIT6_EEPKT4_S3_PKS5_S9_S3_SB_S6_S9_S3_SB_S9_PS1_PS5_21rocsparse_index_base_SE_SE_SE_bbb, .Lfunc_end189-_ZN9rocsparseL26csrgemm_fill_block_per_rowILj1024ELj64ELj8192ELj137ELj64ElifEEvT5_PKS1_S3_NS_24const_host_device_scalarIT6_EEPKT4_S3_PKS5_S9_S3_SB_S6_S9_S3_SB_S9_PS1_PS5_21rocsparse_index_base_SE_SE_SE_bbb
                                        ; -- End function
	.section	.AMDGPU.csdata,"",@progbits
; Kernel info:
; codeLenInByte = 3228
; NumSgprs: 67
; NumVgprs: 22
; NumAgprs: 0
; TotalNumVgprs: 22
; ScratchSize: 0
; MemoryBound: 0
; FloatMode: 240
; IeeeMode: 1
; LDSByteSize: 0 bytes/workgroup (compile time only)
; SGPRBlocks: 8
; VGPRBlocks: 2
; NumSGPRsForWavesPerEU: 67
; NumVGPRsForWavesPerEU: 22
; AccumOffset: 24
; Occupancy: 8
; WaveLimiterHint : 1
; COMPUTE_PGM_RSRC2:SCRATCH_EN: 0
; COMPUTE_PGM_RSRC2:USER_SGPR: 6
; COMPUTE_PGM_RSRC2:TRAP_HANDLER: 0
; COMPUTE_PGM_RSRC2:TGID_X_EN: 1
; COMPUTE_PGM_RSRC2:TGID_Y_EN: 0
; COMPUTE_PGM_RSRC2:TGID_Z_EN: 0
; COMPUTE_PGM_RSRC2:TIDIG_COMP_CNT: 0
; COMPUTE_PGM_RSRC3_GFX90A:ACCUM_OFFSET: 5
; COMPUTE_PGM_RSRC3_GFX90A:TG_SPLIT: 0
	.section	.text._ZN9rocsparseL26csrgemm_fill_block_per_rowILj1024ELj64ELj16384ELj137ELj32ElifEEvT5_PKS1_S3_NS_24const_host_device_scalarIT6_EEPKT4_S3_PKS5_S9_S3_SB_S6_S9_S3_SB_S9_PS1_PS5_21rocsparse_index_base_SE_SE_SE_bbb,"axG",@progbits,_ZN9rocsparseL26csrgemm_fill_block_per_rowILj1024ELj64ELj16384ELj137ELj32ElifEEvT5_PKS1_S3_NS_24const_host_device_scalarIT6_EEPKT4_S3_PKS5_S9_S3_SB_S6_S9_S3_SB_S9_PS1_PS5_21rocsparse_index_base_SE_SE_SE_bbb,comdat
	.globl	_ZN9rocsparseL26csrgemm_fill_block_per_rowILj1024ELj64ELj16384ELj137ELj32ElifEEvT5_PKS1_S3_NS_24const_host_device_scalarIT6_EEPKT4_S3_PKS5_S9_S3_SB_S6_S9_S3_SB_S9_PS1_PS5_21rocsparse_index_base_SE_SE_SE_bbb ; -- Begin function _ZN9rocsparseL26csrgemm_fill_block_per_rowILj1024ELj64ELj16384ELj137ELj32ElifEEvT5_PKS1_S3_NS_24const_host_device_scalarIT6_EEPKT4_S3_PKS5_S9_S3_SB_S6_S9_S3_SB_S9_PS1_PS5_21rocsparse_index_base_SE_SE_SE_bbb
	.p2align	8
	.type	_ZN9rocsparseL26csrgemm_fill_block_per_rowILj1024ELj64ELj16384ELj137ELj32ElifEEvT5_PKS1_S3_NS_24const_host_device_scalarIT6_EEPKT4_S3_PKS5_S9_S3_SB_S6_S9_S3_SB_S9_PS1_PS5_21rocsparse_index_base_SE_SE_SE_bbb,@function
_ZN9rocsparseL26csrgemm_fill_block_per_rowILj1024ELj64ELj16384ELj137ELj32ElifEEvT5_PKS1_S3_NS_24const_host_device_scalarIT6_EEPKT4_S3_PKS5_S9_S3_SB_S6_S9_S3_SB_S9_PS1_PS5_21rocsparse_index_base_SE_SE_SE_bbb: ; @_ZN9rocsparseL26csrgemm_fill_block_per_rowILj1024ELj64ELj16384ELj137ELj32ElifEEvT5_PKS1_S3_NS_24const_host_device_scalarIT6_EEPKT4_S3_PKS5_S9_S3_SB_S6_S9_S3_SB_S9_PS1_PS5_21rocsparse_index_base_SE_SE_SE_bbb
; %bb.0:
	s_load_dword s7, s[4:5], 0x98
	s_load_dwordx4 s[68:71], s[4:5], 0x88
	s_load_dwordx2 s[0:1], s[4:5], 0x18
	s_load_dwordx2 s[24:25], s[4:5], 0x50
	s_waitcnt lgkmcnt(0)
	s_bitcmp1_b32 s7, 0
	s_cselect_b64 s[2:3], -1, 0
	s_bitcmp1_b32 s7, 16
	s_cselect_b64 s[26:27], -1, 0
	s_xor_b64 s[8:9], s[2:3], -1
	s_or_b64 s[8:9], s[8:9], s[26:27]
	s_and_b64 vcc, exec, s[8:9]
	s_cbranch_vccnz .LBB190_2
; %bb.1:
	s_load_dword s0, s[0:1], 0x0
	s_waitcnt lgkmcnt(0)
	v_mov_b32_e32 v12, s0
	s_branch .LBB190_3
.LBB190_2:
	v_mov_b32_e32 v1, s0
	v_cndmask_b32_e64 v12, 0, v1, s[2:3]
.LBB190_3:
	s_load_dwordx4 s[8:11], s[4:5], 0x78
                                        ; implicit-def: $vgpr22 : SGPR spill to VGPR lane
	s_bitcmp1_b32 s7, 8
	s_cselect_b64 s[0:1], -1, 0
	s_xor_b64 s[28:29], s[0:1], -1
	s_or_b64 s[26:27], s[28:29], s[26:27]
	s_waitcnt lgkmcnt(0)
	v_writelane_b32 v22, s8, 0
	v_writelane_b32 v22, s9, 1
	v_writelane_b32 v22, s10, 2
	v_writelane_b32 v22, s11, 3
	s_load_dwordx8 s[8:15], s[4:5], 0x58
	s_and_b64 vcc, exec, s[26:27]
	s_waitcnt lgkmcnt(0)
	v_writelane_b32 v22, s8, 4
	v_writelane_b32 v22, s9, 5
	;; [unrolled: 1-line block ×8, first 2 shown]
	s_load_dwordx4 s[16:19], s[4:5], 0x40
	s_load_dwordx4 s[20:23], s[4:5], 0x8
	s_load_dwordx8 s[8:15], s[4:5], 0x20
	s_cbranch_vccnz .LBB190_5
; %bb.4:
	s_load_dword s7, s[24:25], 0x0
	s_waitcnt lgkmcnt(0)
	v_mov_b32_e32 v11, s7
	s_branch .LBB190_6
.LBB190_5:
	v_mov_b32_e32 v1, s24
	v_cndmask_b32_e64 v11, 0, v1, s[0:1]
.LBB190_6:
	s_load_dword s33, s[4:5], 0x0
	v_or_b32_e32 v1, 0xfffffc00, v0
	v_lshl_add_u32 v10, v0, 2, 0
	s_mov_b64 s[4:5], 0
	v_mov_b32_e32 v2, 0
	s_waitcnt lgkmcnt(0)
	v_mov_b32_e32 v3, s33
	s_movk_i32 s7, 0x3bff
	v_mov_b32_e32 v4, v10
	v_mov_b32_e32 v5, v1
.LBB190_7:                              ; =>This Inner Loop Header: Depth=1
	v_add_u32_e32 v5, 0x400, v5
	v_cmp_lt_u32_e32 vcc, s7, v5
	ds_write_b32 v4, v3
	v_add_u32_e32 v6, 0x10000, v4
	v_add_u32_e32 v4, 0x1000, v4
	s_or_b64 s[4:5], vcc, s[4:5]
	ds_write_b32 v6, v2
	s_andn2_b64 exec, exec, s[4:5]
	s_cbranch_execnz .LBB190_7
; %bb.8:
	s_or_b64 exec, exec, s[4:5]
	s_waitcnt lgkmcnt(0)
	s_barrier
	s_load_dword s4, s[20:21], 0x0
	s_mov_b32 s5, 0
	s_waitcnt lgkmcnt(0)
	s_add_i32 s4, s4, s6
	s_lshl_b64 s[4:5], s[4:5], 2
	s_add_u32 s4, s22, s4
	s_addc_u32 s5, s23, s5
	s_load_dword s4, s[4:5], 0x0
	s_and_b64 vcc, exec, s[2:3]
	s_waitcnt lgkmcnt(0)
	v_writelane_b32 v22, s4, 12
	v_writelane_b32 v22, s5, 13
	s_cbranch_vccz .LBB190_28
; %bb.9:
	v_readlane_b32 s2, v22, 12
	v_readlane_b32 s3, v22, 13
	s_mov_b32 s4, s2
	s_ashr_i32 s5, s2, 31
	v_writelane_b32 v22, s2, 12
	v_writelane_b32 v22, s3, 13
	s_lshl_b64 s[2:3], s[4:5], 3
	s_add_u32 s2, s8, s2
	s_addc_u32 s3, s9, s3
	s_load_dwordx4 s[4:7], s[2:3], 0x0
	v_lshrrev_b32_e32 v2, 6, v0
	v_subrev_co_u32_e32 v2, vcc, s68, v2
	s_waitcnt lgkmcnt(0)
	s_sub_u32 s2, s6, s68
	s_subb_u32 s3, s7, 0
	v_subb_co_u32_e64 v3, s[6:7], 0, 0, vcc
	v_mov_b32_e32 v4, s5
	v_add_co_u32_e32 v2, vcc, s4, v2
	v_addc_co_u32_e32 v3, vcc, v4, v3, vcc
	v_cmp_gt_i64_e32 vcc, s[2:3], v[2:3]
	s_and_saveexec_b64 s[4:5], vcc
	s_cbranch_execz .LBB190_27
; %bb.10:
	v_and_b32_e32 v4, 63, v0
	v_subrev_co_u32_e32 v13, vcc, s69, v4
	s_mov_b32 s8, 0
	v_subb_co_u32_e64 v14, s[6:7], 0, 0, vcc
	s_mov_b32 s36, s69
	s_mov_b64 s[6:7], 0
	v_mov_b32_e32 v15, s11
	v_mov_b32_e32 v16, s15
	;; [unrolled: 1-line block ×3, first 2 shown]
	s_movk_i32 s11, 0x89
	s_branch .LBB190_12
.LBB190_11:                             ;   in Loop: Header=BB190_12 Depth=1
	s_or_b64 exec, exec, s[8:9]
	v_add_co_u32_e32 v2, vcc, 16, v2
	v_addc_co_u32_e32 v3, vcc, 0, v3, vcc
	v_cmp_le_i64_e32 vcc, s[2:3], v[2:3]
	s_or_b64 s[6:7], vcc, s[6:7]
	s_andn2_b64 exec, exec, s[6:7]
	s_cbranch_execz .LBB190_27
.LBB190_12:                             ; =>This Loop Header: Depth=1
                                        ;     Child Loop BB190_15 Depth 2
                                        ;       Child Loop BB190_17 Depth 3
	v_lshlrev_b64 v[8:9], 2, v[2:3]
	v_add_co_u32_e32 v4, vcc, s10, v8
	v_addc_co_u32_e32 v5, vcc, v15, v9, vcc
	global_load_dword v4, v[4:5], off
	s_waitcnt vmcnt(0)
	v_subrev_u32_e32 v4, s68, v4
	v_ashrrev_i32_e32 v5, 31, v4
	v_lshlrev_b64 v[4:5], 3, v[4:5]
	v_add_co_u32_e32 v4, vcc, s14, v4
	v_addc_co_u32_e32 v5, vcc, v16, v5, vcc
	global_load_dwordx4 v[18:21], v[4:5], off
	s_waitcnt vmcnt(0)
	v_subrev_co_u32_e32 v4, vcc, s36, v20
	v_subb_co_u32_e32 v5, vcc, v21, v17, vcc
	v_add_co_u32_e32 v6, vcc, v18, v13
	v_addc_co_u32_e32 v7, vcc, v19, v14, vcc
	v_cmp_lt_i64_e32 vcc, v[6:7], v[4:5]
	s_and_saveexec_b64 s[8:9], vcc
	s_cbranch_execz .LBB190_11
; %bb.13:                               ;   in Loop: Header=BB190_12 Depth=1
	v_mov_b32_e32 v18, s13
	v_add_co_u32_e32 v8, vcc, s12, v8
	v_addc_co_u32_e32 v9, vcc, v18, v9, vcc
	global_load_dword v8, v[8:9], off
	s_mov_b64 s[20:21], 0
	s_waitcnt vmcnt(0)
	v_mul_f32_e32 v8, v12, v8
	s_branch .LBB190_15
.LBB190_14:                             ;   in Loop: Header=BB190_15 Depth=2
	s_or_b64 exec, exec, s[22:23]
	v_add_co_u32_e32 v6, vcc, 64, v6
	v_addc_co_u32_e32 v7, vcc, 0, v7, vcc
	v_cmp_ge_i64_e32 vcc, v[6:7], v[4:5]
	s_or_b64 s[20:21], vcc, s[20:21]
	s_andn2_b64 exec, exec, s[20:21]
	s_cbranch_execz .LBB190_11
.LBB190_15:                             ;   Parent Loop BB190_12 Depth=1
                                        ; =>  This Loop Header: Depth=2
                                        ;       Child Loop BB190_17 Depth 3
	v_lshlrev_b64 v[18:19], 2, v[6:7]
	v_mov_b32_e32 v9, s17
	v_add_co_u32_e32 v20, vcc, s16, v18
	v_addc_co_u32_e32 v21, vcc, v9, v19, vcc
	global_load_dword v9, v[20:21], off
	v_mov_b32_e32 v20, s19
	v_add_co_u32_e32 v18, vcc, s18, v18
	v_addc_co_u32_e32 v19, vcc, v20, v19, vcc
	global_load_dword v18, v[18:19], off
	s_mov_b64 s[22:23], 0
	s_waitcnt vmcnt(1)
	v_subrev_u32_e32 v9, s69, v9
	v_mul_lo_u32 v19, v9, s11
	v_and_b32_e32 v19, 0x3fff, v19
	s_waitcnt vmcnt(0)
	v_mul_f32_e32 v18, v8, v18
	s_branch .LBB190_17
.LBB190_16:                             ;   in Loop: Header=BB190_17 Depth=3
	s_or_b64 exec, exec, s[24:25]
	s_xor_b64 s[24:25], s[26:27], -1
	s_and_b64 s[24:25], exec, s[24:25]
	s_or_b64 s[22:23], s[24:25], s[22:23]
	s_andn2_b64 exec, exec, s[22:23]
	s_cbranch_execz .LBB190_14
.LBB190_17:                             ;   Parent Loop BB190_12 Depth=1
                                        ;     Parent Loop BB190_15 Depth=2
                                        ; =>    This Inner Loop Header: Depth=3
	v_lshl_add_u32 v20, v19, 2, 0
	ds_read_b32 v21, v20
                                        ; implicit-def: $sgpr26_sgpr27
	s_waitcnt lgkmcnt(0)
	v_cmp_ne_u32_e32 vcc, v21, v9
	s_and_saveexec_b64 s[24:25], vcc
	s_xor_b64 s[24:25], exec, s[24:25]
	s_cbranch_execz .LBB190_25
; %bb.18:                               ;   in Loop: Header=BB190_17 Depth=3
	v_cmp_ne_u32_e32 vcc, s33, v21
                                        ; implicit-def: $sgpr26_sgpr27
	s_and_saveexec_b64 s[28:29], vcc
	s_xor_b64 s[28:29], exec, s[28:29]
; %bb.19:                               ;   in Loop: Header=BB190_17 Depth=3
	v_add_u32_e32 v19, 1, v19
	v_and_b32_e32 v19, 0x3fff, v19
	s_mov_b64 s[26:27], -1
                                        ; implicit-def: $vgpr20
; %bb.20:                               ;   in Loop: Header=BB190_17 Depth=3
	s_andn2_saveexec_b64 s[28:29], s[28:29]
	s_cbranch_execz .LBB190_24
; %bb.21:                               ;   in Loop: Header=BB190_17 Depth=3
	v_mov_b32_e32 v21, s33
	ds_cmpst_rtn_b32 v21, v20, v21, v9
	s_mov_b64 s[30:31], -1
	s_waitcnt lgkmcnt(0)
	v_cmp_eq_u32_e32 vcc, s33, v21
	s_and_saveexec_b64 s[34:35], vcc
	s_cbranch_execz .LBB190_23
; %bb.22:                               ;   in Loop: Header=BB190_17 Depth=3
	v_add_u32_e32 v20, 0x10000, v20
	ds_add_f32 v20, v18
	s_xor_b64 s[30:31], exec, -1
.LBB190_23:                             ;   in Loop: Header=BB190_17 Depth=3
	s_or_b64 exec, exec, s[34:35]
	s_andn2_b64 s[26:27], s[26:27], exec
	s_and_b64 s[30:31], s[30:31], exec
	s_or_b64 s[26:27], s[26:27], s[30:31]
.LBB190_24:                             ;   in Loop: Header=BB190_17 Depth=3
	s_or_b64 exec, exec, s[28:29]
	s_and_b64 s[26:27], s[26:27], exec
                                        ; implicit-def: $vgpr20
.LBB190_25:                             ;   in Loop: Header=BB190_17 Depth=3
	s_andn2_saveexec_b64 s[24:25], s[24:25]
	s_cbranch_execz .LBB190_16
; %bb.26:                               ;   in Loop: Header=BB190_17 Depth=3
	v_add_u32_e32 v20, 0x10000, v20
	ds_add_f32 v20, v18
	s_andn2_b64 s[26:27], s[26:27], exec
	s_branch .LBB190_16
.LBB190_27:
	s_or_b64 exec, exec, s[4:5]
.LBB190_28:
	s_andn2_b64 vcc, exec, s[0:1]
	s_cbranch_vccnz .LBB190_45
; %bb.29:
	v_readlane_b32 s0, v22, 12
	v_readlane_b32 s1, v22, 13
	s_mov_b32 s2, s0
	s_ashr_i32 s3, s0, 31
	v_writelane_b32 v22, s0, 12
	v_writelane_b32 v22, s1, 13
	s_lshl_b64 s[0:1], s[2:3], 3
	v_readlane_b32 s4, v22, 4
	v_readlane_b32 s5, v22, 5
	s_add_u32 s0, s4, s0
	v_readlane_b32 s6, v22, 6
	v_readlane_b32 s7, v22, 7
	s_addc_u32 s1, s5, s1
	s_load_dwordx4 s[4:7], s[0:1], 0x0
	v_subrev_co_u32_e32 v2, vcc, s71, v0
	v_subb_co_u32_e64 v3, s[0:1], 0, 0, vcc
	s_waitcnt lgkmcnt(0)
	s_sub_u32 s0, s6, s71
	v_mov_b32_e32 v4, s5
	v_add_co_u32_e32 v2, vcc, s4, v2
	s_subb_u32 s1, s7, 0
	v_addc_co_u32_e32 v3, vcc, v4, v3, vcc
	v_cmp_gt_i64_e32 vcc, s[0:1], v[2:3]
	v_readlane_b32 s8, v22, 8
	v_readlane_b32 s9, v22, 9
	;; [unrolled: 1-line block ×4, first 2 shown]
	s_and_saveexec_b64 s[2:3], vcc
	s_cbranch_execz .LBB190_44
; %bb.30:
	v_readlane_b32 s8, v22, 4
	v_readlane_b32 s9, v22, 5
	;; [unrolled: 1-line block ×8, first 2 shown]
	s_mov_b64 s[6:7], s[10:11]
	s_mov_b64 s[8:9], s[12:13]
	;; [unrolled: 1-line block ×3, first 2 shown]
	v_mov_b32_e32 v4, s7
	v_mov_b32_e32 v5, s9
	s_movk_i32 s18, 0x89
	s_mov_b64 s[10:11], s[14:15]
	s_branch .LBB190_32
.LBB190_31:                             ;   in Loop: Header=BB190_32 Depth=1
	s_or_b64 exec, exec, s[6:7]
	v_add_co_u32_e32 v2, vcc, 0x400, v2
	v_addc_co_u32_e32 v3, vcc, 0, v3, vcc
	v_cmp_le_i64_e32 vcc, s[0:1], v[2:3]
	s_or_b64 s[4:5], vcc, s[4:5]
	s_andn2_b64 exec, exec, s[4:5]
	s_cbranch_execz .LBB190_44
.LBB190_32:                             ; =>This Loop Header: Depth=1
                                        ;     Child Loop BB190_34 Depth 2
	v_readlane_b32 s8, v22, 4
	v_readlane_b32 s10, v22, 6
	v_lshlrev_b64 v[6:7], 2, v[2:3]
	s_mov_b32 s6, s10
	v_readlane_b32 s12, v22, 8
	v_add_co_u32_e32 v8, vcc, s6, v6
	s_mov_b32 s8, s12
	v_addc_co_u32_e32 v9, vcc, v4, v7, vcc
	global_load_dword v8, v[8:9], off
	v_add_co_u32_e32 v6, vcc, s8, v6
	v_addc_co_u32_e32 v7, vcc, v5, v7, vcc
	global_load_dword v7, v[6:7], off
	s_mov_b64 s[6:7], 0
	v_readlane_b32 s9, v22, 5
	v_readlane_b32 s11, v22, 7
	;; [unrolled: 1-line block ×5, first 2 shown]
	s_waitcnt vmcnt(1)
	v_subrev_u32_e32 v6, s71, v8
	v_mul_lo_u32 v8, v6, s18
	v_and_b32_e32 v8, 0x3fff, v8
	s_waitcnt vmcnt(0)
	v_mul_f32_e32 v7, v11, v7
	s_branch .LBB190_34
.LBB190_33:                             ;   in Loop: Header=BB190_34 Depth=2
	s_or_b64 exec, exec, s[8:9]
	s_xor_b64 s[8:9], s[10:11], -1
	s_and_b64 s[8:9], exec, s[8:9]
	s_or_b64 s[6:7], s[8:9], s[6:7]
	s_andn2_b64 exec, exec, s[6:7]
	s_cbranch_execz .LBB190_31
.LBB190_34:                             ;   Parent Loop BB190_32 Depth=1
                                        ; =>  This Inner Loop Header: Depth=2
	v_lshl_add_u32 v9, v8, 2, 0
	ds_read_b32 v12, v9
                                        ; implicit-def: $sgpr10_sgpr11
	s_waitcnt lgkmcnt(0)
	v_cmp_ne_u32_e32 vcc, v12, v6
	s_and_saveexec_b64 s[8:9], vcc
	s_xor_b64 s[8:9], exec, s[8:9]
	s_cbranch_execz .LBB190_42
; %bb.35:                               ;   in Loop: Header=BB190_34 Depth=2
	v_cmp_ne_u32_e32 vcc, s33, v12
                                        ; implicit-def: $sgpr10_sgpr11
	s_and_saveexec_b64 s[12:13], vcc
	s_xor_b64 s[12:13], exec, s[12:13]
; %bb.36:                               ;   in Loop: Header=BB190_34 Depth=2
	v_add_u32_e32 v8, 1, v8
	v_and_b32_e32 v8, 0x3fff, v8
	s_mov_b64 s[10:11], -1
                                        ; implicit-def: $vgpr9
; %bb.37:                               ;   in Loop: Header=BB190_34 Depth=2
	s_andn2_saveexec_b64 s[12:13], s[12:13]
	s_cbranch_execz .LBB190_41
; %bb.38:                               ;   in Loop: Header=BB190_34 Depth=2
	v_mov_b32_e32 v12, s33
	ds_cmpst_rtn_b32 v12, v9, v12, v6
	s_mov_b64 s[14:15], -1
	s_waitcnt lgkmcnt(0)
	v_cmp_eq_u32_e32 vcc, s33, v12
	s_and_saveexec_b64 s[16:17], vcc
	s_cbranch_execz .LBB190_40
; %bb.39:                               ;   in Loop: Header=BB190_34 Depth=2
	v_add_u32_e32 v9, 0x10000, v9
	ds_add_f32 v9, v7
	s_xor_b64 s[14:15], exec, -1
.LBB190_40:                             ;   in Loop: Header=BB190_34 Depth=2
	s_or_b64 exec, exec, s[16:17]
	s_andn2_b64 s[10:11], s[10:11], exec
	s_and_b64 s[14:15], s[14:15], exec
	s_or_b64 s[10:11], s[10:11], s[14:15]
.LBB190_41:                             ;   in Loop: Header=BB190_34 Depth=2
	s_or_b64 exec, exec, s[12:13]
	s_and_b64 s[10:11], s[10:11], exec
                                        ; implicit-def: $vgpr9
.LBB190_42:                             ;   in Loop: Header=BB190_34 Depth=2
	s_andn2_saveexec_b64 s[8:9], s[8:9]
	s_cbranch_execz .LBB190_33
; %bb.43:                               ;   in Loop: Header=BB190_34 Depth=2
	v_add_u32_e32 v9, 0x10000, v9
	ds_add_f32 v9, v7
	s_andn2_b64 s[10:11], s[10:11], exec
	s_branch .LBB190_33
.LBB190_44:
	s_or_b64 exec, exec, s[2:3]
.LBB190_45:
	s_add_i32 s0, 0, 0x20000
	v_writelane_b32 v22, s0, 14
	s_add_i32 s60, 0, 0x20004
	v_writelane_b32 v22, s60, 15
	s_add_i32 s60, 0, 0x20008
	v_writelane_b32 v22, s60, 16
	s_add_i32 s60, 0, 0x2000c
	v_writelane_b32 v22, s60, 17
	s_add_i32 s60, 0, 0x20010
	v_writelane_b32 v22, s60, 18
	s_add_i32 s60, 0, 0x20014
	v_lshrrev_b32_e32 v5, 3, v0
	v_writelane_b32 v22, s60, 19
	s_add_i32 s60, 0, 0x20018
	v_mbcnt_lo_u32_b32 v2, -1, 0
	v_and_b32_e32 v5, 0x7c, v5
	v_writelane_b32 v22, s60, 20
	s_add_i32 s60, 0, 0x2001c
	v_mbcnt_hi_u32_b32 v2, -1, v2
	v_add_u32_e32 v5, s0, v5
	s_movk_i32 s0, 0x3ff
	v_writelane_b32 v22, s60, 21
	s_add_i32 s60, 0, 0x20020
	v_sub_u32_e32 v2, 63, v2
	v_cmp_eq_u32_e32 vcc, s0, v0
	s_movk_i32 s0, 0x5f
	s_movk_i32 s2, 0x7f
	;; [unrolled: 1-line block ×29, first 2 shown]
	v_writelane_b32 v22, s60, 22
	s_add_i32 s60, 0, 0x20024
	v_mov_b32_e32 v4, 0
	v_lshrrev_b64 v[2:3], v2, -1
	v_cmp_lt_u32_e64 s[0:1], s0, v0
	v_cmp_lt_u32_e64 s[2:3], s2, v0
	;; [unrolled: 1-line block ×29, first 2 shown]
	v_writelane_b32 v22, s60, 23
	s_add_i32 s88, 0, 0x20028
	s_add_i32 s89, 0, 0x2002c
	;; [unrolled: 1-line block ×22, first 2 shown]
	s_movk_i32 s85, 0x3bff
	v_cmp_lt_u32_e64 s[60:61], 31, v0
	v_cmp_lt_u32_e64 s[62:63], 63, v0
	s_mov_b64 s[68:69], 0
	s_waitcnt lgkmcnt(0)
	s_barrier
	s_branch .LBB190_47
.LBB190_46:                             ;   in Loop: Header=BB190_47 Depth=1
	s_or_b64 exec, exec, s[64:65]
	v_mov_b32_e32 v6, s84
	s_waitcnt lgkmcnt(0)
	s_barrier
	ds_read_b32 v6, v6
	v_add_u32_e32 v1, 0x400, v1
	v_cmp_lt_u32_e64 s[64:65], s85, v1
	s_or_b64 s[68:69], s[64:65], s[68:69]
	v_add_u32_e32 v10, 0x1000, v10
	s_waitcnt lgkmcnt(0)
	v_add_u32_e32 v4, v6, v4
	s_andn2_b64 exec, exec, s[68:69]
	s_cbranch_execz .LBB190_113
.LBB190_47:                             ; =>This Inner Loop Header: Depth=1
	ds_read_b32 v7, v10
	v_add_u32_e32 v6, 0x10000, v10
	ds_read_b32 v8, v6
	s_waitcnt lgkmcnt(0)
	s_barrier
	v_cmp_gt_i32_e64 s[64:65], s33, v7
	v_and_b32_e32 v9, s64, v2
	s_bcnt1_i32_b64 s78, s[64:65]
	v_and_b32_e32 v6, s65, v3
	v_bcnt_u32_b32 v9, v9, 0
	v_bcnt_u32_b32 v6, v6, v9
	v_mov_b32_e32 v9, s78
	ds_write_b32 v5, v9
	s_waitcnt lgkmcnt(0)
	s_barrier
	s_and_saveexec_b64 s[78:79], s[60:61]
	s_cbranch_execnz .LBB190_80
; %bb.48:                               ;   in Loop: Header=BB190_47 Depth=1
	s_or_b64 exec, exec, s[78:79]
	s_and_saveexec_b64 s[78:79], s[62:63]
	s_cbranch_execnz .LBB190_81
.LBB190_49:                             ;   in Loop: Header=BB190_47 Depth=1
	s_or_b64 exec, exec, s[78:79]
	s_and_saveexec_b64 s[78:79], s[0:1]
	s_cbranch_execnz .LBB190_82
.LBB190_50:                             ;   in Loop: Header=BB190_47 Depth=1
	s_or_b64 exec, exec, s[78:79]
	s_and_saveexec_b64 s[78:79], s[2:3]
	s_cbranch_execnz .LBB190_83
.LBB190_51:                             ;   in Loop: Header=BB190_47 Depth=1
	s_or_b64 exec, exec, s[78:79]
	s_and_saveexec_b64 s[78:79], s[4:5]
	s_cbranch_execnz .LBB190_84
.LBB190_52:                             ;   in Loop: Header=BB190_47 Depth=1
	s_or_b64 exec, exec, s[78:79]
	s_and_saveexec_b64 s[78:79], s[6:7]
	s_cbranch_execnz .LBB190_85
.LBB190_53:                             ;   in Loop: Header=BB190_47 Depth=1
	s_or_b64 exec, exec, s[78:79]
	s_and_saveexec_b64 s[78:79], s[8:9]
	s_cbranch_execnz .LBB190_86
.LBB190_54:                             ;   in Loop: Header=BB190_47 Depth=1
	s_or_b64 exec, exec, s[78:79]
	s_and_saveexec_b64 s[78:79], s[10:11]
	s_cbranch_execnz .LBB190_87
.LBB190_55:                             ;   in Loop: Header=BB190_47 Depth=1
	s_or_b64 exec, exec, s[78:79]
	s_and_saveexec_b64 s[78:79], s[12:13]
	s_cbranch_execnz .LBB190_88
.LBB190_56:                             ;   in Loop: Header=BB190_47 Depth=1
	s_or_b64 exec, exec, s[78:79]
	s_and_saveexec_b64 s[78:79], s[14:15]
	s_cbranch_execnz .LBB190_89
.LBB190_57:                             ;   in Loop: Header=BB190_47 Depth=1
	s_or_b64 exec, exec, s[78:79]
	s_and_saveexec_b64 s[78:79], s[16:17]
	s_cbranch_execnz .LBB190_90
.LBB190_58:                             ;   in Loop: Header=BB190_47 Depth=1
	s_or_b64 exec, exec, s[78:79]
	s_and_saveexec_b64 s[78:79], s[18:19]
	s_cbranch_execnz .LBB190_91
.LBB190_59:                             ;   in Loop: Header=BB190_47 Depth=1
	s_or_b64 exec, exec, s[78:79]
	s_and_saveexec_b64 s[78:79], s[20:21]
	s_cbranch_execnz .LBB190_92
.LBB190_60:                             ;   in Loop: Header=BB190_47 Depth=1
	s_or_b64 exec, exec, s[78:79]
	s_and_saveexec_b64 s[78:79], s[22:23]
	s_cbranch_execnz .LBB190_93
.LBB190_61:                             ;   in Loop: Header=BB190_47 Depth=1
	s_or_b64 exec, exec, s[78:79]
	s_and_saveexec_b64 s[78:79], s[24:25]
	s_cbranch_execnz .LBB190_94
.LBB190_62:                             ;   in Loop: Header=BB190_47 Depth=1
	s_or_b64 exec, exec, s[78:79]
	s_and_saveexec_b64 s[78:79], s[26:27]
	s_cbranch_execnz .LBB190_95
.LBB190_63:                             ;   in Loop: Header=BB190_47 Depth=1
	s_or_b64 exec, exec, s[78:79]
	s_and_saveexec_b64 s[78:79], s[28:29]
	s_cbranch_execnz .LBB190_96
.LBB190_64:                             ;   in Loop: Header=BB190_47 Depth=1
	s_or_b64 exec, exec, s[78:79]
	s_and_saveexec_b64 s[78:79], s[30:31]
	s_cbranch_execnz .LBB190_97
.LBB190_65:                             ;   in Loop: Header=BB190_47 Depth=1
	s_or_b64 exec, exec, s[78:79]
	s_and_saveexec_b64 s[78:79], s[34:35]
	s_cbranch_execnz .LBB190_98
.LBB190_66:                             ;   in Loop: Header=BB190_47 Depth=1
	s_or_b64 exec, exec, s[78:79]
	s_and_saveexec_b64 s[78:79], s[36:37]
	s_cbranch_execnz .LBB190_99
.LBB190_67:                             ;   in Loop: Header=BB190_47 Depth=1
	s_or_b64 exec, exec, s[78:79]
	s_and_saveexec_b64 s[78:79], s[38:39]
	s_cbranch_execnz .LBB190_100
.LBB190_68:                             ;   in Loop: Header=BB190_47 Depth=1
	s_or_b64 exec, exec, s[78:79]
	s_and_saveexec_b64 s[78:79], s[40:41]
	s_cbranch_execnz .LBB190_101
.LBB190_69:                             ;   in Loop: Header=BB190_47 Depth=1
	s_or_b64 exec, exec, s[78:79]
	s_and_saveexec_b64 s[78:79], s[42:43]
	s_cbranch_execnz .LBB190_102
.LBB190_70:                             ;   in Loop: Header=BB190_47 Depth=1
	s_or_b64 exec, exec, s[78:79]
	s_and_saveexec_b64 s[78:79], s[44:45]
	s_cbranch_execnz .LBB190_103
.LBB190_71:                             ;   in Loop: Header=BB190_47 Depth=1
	s_or_b64 exec, exec, s[78:79]
	s_and_saveexec_b64 s[78:79], s[46:47]
	s_cbranch_execnz .LBB190_104
.LBB190_72:                             ;   in Loop: Header=BB190_47 Depth=1
	s_or_b64 exec, exec, s[78:79]
	s_and_saveexec_b64 s[78:79], s[48:49]
	s_cbranch_execnz .LBB190_105
.LBB190_73:                             ;   in Loop: Header=BB190_47 Depth=1
	s_or_b64 exec, exec, s[78:79]
	s_and_saveexec_b64 s[78:79], s[50:51]
	s_cbranch_execnz .LBB190_106
.LBB190_74:                             ;   in Loop: Header=BB190_47 Depth=1
	s_or_b64 exec, exec, s[78:79]
	s_and_saveexec_b64 s[78:79], s[52:53]
	s_cbranch_execnz .LBB190_107
.LBB190_75:                             ;   in Loop: Header=BB190_47 Depth=1
	s_or_b64 exec, exec, s[78:79]
	s_and_saveexec_b64 s[78:79], s[54:55]
	s_cbranch_execnz .LBB190_108
.LBB190_76:                             ;   in Loop: Header=BB190_47 Depth=1
	s_or_b64 exec, exec, s[78:79]
	s_and_saveexec_b64 s[78:79], s[56:57]
	s_cbranch_execnz .LBB190_109
.LBB190_77:                             ;   in Loop: Header=BB190_47 Depth=1
	s_or_b64 exec, exec, s[78:79]
	s_and_saveexec_b64 s[78:79], s[58:59]
	s_cbranch_execnz .LBB190_110
.LBB190_78:                             ;   in Loop: Header=BB190_47 Depth=1
	s_or_b64 exec, exec, s[78:79]
	s_and_saveexec_b64 s[78:79], s[64:65]
	s_cbranch_execnz .LBB190_111
.LBB190_79:                             ;   in Loop: Header=BB190_47 Depth=1
	s_or_b64 exec, exec, s[78:79]
	s_and_saveexec_b64 s[64:65], vcc
	s_cbranch_execz .LBB190_46
	s_branch .LBB190_112
.LBB190_80:                             ;   in Loop: Header=BB190_47 Depth=1
	v_readlane_b32 s86, v22, 14
	v_mov_b32_e32 v9, s86
	ds_read_b32 v9, v9
	s_waitcnt lgkmcnt(0)
	v_add_u32_e32 v6, v9, v6
	s_or_b64 exec, exec, s[78:79]
	s_and_saveexec_b64 s[78:79], s[62:63]
	s_cbranch_execz .LBB190_49
.LBB190_81:                             ;   in Loop: Header=BB190_47 Depth=1
	v_readlane_b32 s86, v22, 15
	v_mov_b32_e32 v9, s86
	ds_read_b32 v9, v9
	s_waitcnt lgkmcnt(0)
	v_add_u32_e32 v6, v9, v6
	s_or_b64 exec, exec, s[78:79]
	s_and_saveexec_b64 s[78:79], s[0:1]
	s_cbranch_execz .LBB190_50
.LBB190_82:                             ;   in Loop: Header=BB190_47 Depth=1
	v_readlane_b32 s86, v22, 16
	v_mov_b32_e32 v9, s86
	ds_read_b32 v9, v9
	s_waitcnt lgkmcnt(0)
	v_add_u32_e32 v6, v9, v6
	s_or_b64 exec, exec, s[78:79]
	s_and_saveexec_b64 s[78:79], s[2:3]
	s_cbranch_execz .LBB190_51
.LBB190_83:                             ;   in Loop: Header=BB190_47 Depth=1
	v_readlane_b32 s86, v22, 17
	v_mov_b32_e32 v9, s86
	ds_read_b32 v9, v9
	s_waitcnt lgkmcnt(0)
	v_add_u32_e32 v6, v9, v6
	s_or_b64 exec, exec, s[78:79]
	s_and_saveexec_b64 s[78:79], s[4:5]
	s_cbranch_execz .LBB190_52
.LBB190_84:                             ;   in Loop: Header=BB190_47 Depth=1
	v_readlane_b32 s86, v22, 18
	v_mov_b32_e32 v9, s86
	ds_read_b32 v9, v9
	s_waitcnt lgkmcnt(0)
	v_add_u32_e32 v6, v9, v6
	s_or_b64 exec, exec, s[78:79]
	s_and_saveexec_b64 s[78:79], s[6:7]
	s_cbranch_execz .LBB190_53
.LBB190_85:                             ;   in Loop: Header=BB190_47 Depth=1
	v_readlane_b32 s86, v22, 19
	v_mov_b32_e32 v9, s86
	ds_read_b32 v9, v9
	s_waitcnt lgkmcnt(0)
	v_add_u32_e32 v6, v9, v6
	s_or_b64 exec, exec, s[78:79]
	s_and_saveexec_b64 s[78:79], s[8:9]
	s_cbranch_execz .LBB190_54
.LBB190_86:                             ;   in Loop: Header=BB190_47 Depth=1
	v_readlane_b32 s86, v22, 20
	v_mov_b32_e32 v9, s86
	ds_read_b32 v9, v9
	s_waitcnt lgkmcnt(0)
	v_add_u32_e32 v6, v9, v6
	s_or_b64 exec, exec, s[78:79]
	s_and_saveexec_b64 s[78:79], s[10:11]
	s_cbranch_execz .LBB190_55
.LBB190_87:                             ;   in Loop: Header=BB190_47 Depth=1
	v_readlane_b32 s86, v22, 21
	v_mov_b32_e32 v9, s86
	ds_read_b32 v9, v9
	s_waitcnt lgkmcnt(0)
	v_add_u32_e32 v6, v9, v6
	s_or_b64 exec, exec, s[78:79]
	s_and_saveexec_b64 s[78:79], s[12:13]
	s_cbranch_execz .LBB190_56
.LBB190_88:                             ;   in Loop: Header=BB190_47 Depth=1
	v_readlane_b32 s86, v22, 22
	v_mov_b32_e32 v9, s86
	ds_read_b32 v9, v9
	s_waitcnt lgkmcnt(0)
	v_add_u32_e32 v6, v9, v6
	s_or_b64 exec, exec, s[78:79]
	s_and_saveexec_b64 s[78:79], s[14:15]
	s_cbranch_execz .LBB190_57
.LBB190_89:                             ;   in Loop: Header=BB190_47 Depth=1
	v_readlane_b32 s86, v22, 23
	v_mov_b32_e32 v9, s86
	ds_read_b32 v9, v9
	s_waitcnt lgkmcnt(0)
	v_add_u32_e32 v6, v9, v6
	s_or_b64 exec, exec, s[78:79]
	s_and_saveexec_b64 s[78:79], s[16:17]
	s_cbranch_execz .LBB190_58
.LBB190_90:                             ;   in Loop: Header=BB190_47 Depth=1
	v_mov_b32_e32 v9, s88
	ds_read_b32 v9, v9
	s_waitcnt lgkmcnt(0)
	v_add_u32_e32 v6, v9, v6
	s_or_b64 exec, exec, s[78:79]
	s_and_saveexec_b64 s[78:79], s[18:19]
	s_cbranch_execz .LBB190_59
.LBB190_91:                             ;   in Loop: Header=BB190_47 Depth=1
	v_mov_b32_e32 v9, s89
	ds_read_b32 v9, v9
	s_waitcnt lgkmcnt(0)
	v_add_u32_e32 v6, v9, v6
	s_or_b64 exec, exec, s[78:79]
	s_and_saveexec_b64 s[78:79], s[20:21]
	s_cbranch_execz .LBB190_60
.LBB190_92:                             ;   in Loop: Header=BB190_47 Depth=1
	v_mov_b32_e32 v9, s90
	ds_read_b32 v9, v9
	s_waitcnt lgkmcnt(0)
	v_add_u32_e32 v6, v9, v6
	s_or_b64 exec, exec, s[78:79]
	s_and_saveexec_b64 s[78:79], s[22:23]
	s_cbranch_execz .LBB190_61
.LBB190_93:                             ;   in Loop: Header=BB190_47 Depth=1
	v_mov_b32_e32 v9, s91
	ds_read_b32 v9, v9
	s_waitcnt lgkmcnt(0)
	v_add_u32_e32 v6, v9, v6
	s_or_b64 exec, exec, s[78:79]
	s_and_saveexec_b64 s[78:79], s[24:25]
	s_cbranch_execz .LBB190_62
.LBB190_94:                             ;   in Loop: Header=BB190_47 Depth=1
	v_mov_b32_e32 v9, s92
	ds_read_b32 v9, v9
	s_waitcnt lgkmcnt(0)
	v_add_u32_e32 v6, v9, v6
	s_or_b64 exec, exec, s[78:79]
	s_and_saveexec_b64 s[78:79], s[26:27]
	s_cbranch_execz .LBB190_63
.LBB190_95:                             ;   in Loop: Header=BB190_47 Depth=1
	v_mov_b32_e32 v9, s93
	ds_read_b32 v9, v9
	s_waitcnt lgkmcnt(0)
	v_add_u32_e32 v6, v9, v6
	s_or_b64 exec, exec, s[78:79]
	s_and_saveexec_b64 s[78:79], s[28:29]
	s_cbranch_execz .LBB190_64
.LBB190_96:                             ;   in Loop: Header=BB190_47 Depth=1
	v_mov_b32_e32 v9, s94
	ds_read_b32 v9, v9
	s_waitcnt lgkmcnt(0)
	v_add_u32_e32 v6, v9, v6
	s_or_b64 exec, exec, s[78:79]
	s_and_saveexec_b64 s[78:79], s[30:31]
	s_cbranch_execz .LBB190_65
.LBB190_97:                             ;   in Loop: Header=BB190_47 Depth=1
	v_mov_b32_e32 v9, s95
	ds_read_b32 v9, v9
	s_waitcnt lgkmcnt(0)
	v_add_u32_e32 v6, v9, v6
	s_or_b64 exec, exec, s[78:79]
	s_and_saveexec_b64 s[78:79], s[34:35]
	s_cbranch_execz .LBB190_66
.LBB190_98:                             ;   in Loop: Header=BB190_47 Depth=1
	v_mov_b32_e32 v9, s76
	ds_read_b32 v9, v9
	s_waitcnt lgkmcnt(0)
	v_add_u32_e32 v6, v9, v6
	s_or_b64 exec, exec, s[78:79]
	s_and_saveexec_b64 s[78:79], s[36:37]
	s_cbranch_execz .LBB190_67
.LBB190_99:                             ;   in Loop: Header=BB190_47 Depth=1
	v_mov_b32_e32 v9, s66
	ds_read_b32 v9, v9
	s_waitcnt lgkmcnt(0)
	v_add_u32_e32 v6, v9, v6
	s_or_b64 exec, exec, s[78:79]
	s_and_saveexec_b64 s[78:79], s[38:39]
	s_cbranch_execz .LBB190_68
.LBB190_100:                            ;   in Loop: Header=BB190_47 Depth=1
	v_mov_b32_e32 v9, s67
	ds_read_b32 v9, v9
	s_waitcnt lgkmcnt(0)
	v_add_u32_e32 v6, v9, v6
	s_or_b64 exec, exec, s[78:79]
	s_and_saveexec_b64 s[78:79], s[40:41]
	s_cbranch_execz .LBB190_69
.LBB190_101:                            ;   in Loop: Header=BB190_47 Depth=1
	v_mov_b32_e32 v9, s72
	ds_read_b32 v9, v9
	s_waitcnt lgkmcnt(0)
	v_add_u32_e32 v6, v9, v6
	s_or_b64 exec, exec, s[78:79]
	s_and_saveexec_b64 s[78:79], s[42:43]
	s_cbranch_execz .LBB190_70
.LBB190_102:                            ;   in Loop: Header=BB190_47 Depth=1
	v_mov_b32_e32 v9, s73
	ds_read_b32 v9, v9
	s_waitcnt lgkmcnt(0)
	v_add_u32_e32 v6, v9, v6
	s_or_b64 exec, exec, s[78:79]
	s_and_saveexec_b64 s[78:79], s[44:45]
	s_cbranch_execz .LBB190_71
.LBB190_103:                            ;   in Loop: Header=BB190_47 Depth=1
	v_mov_b32_e32 v9, s74
	ds_read_b32 v9, v9
	s_waitcnt lgkmcnt(0)
	v_add_u32_e32 v6, v9, v6
	s_or_b64 exec, exec, s[78:79]
	s_and_saveexec_b64 s[78:79], s[46:47]
	s_cbranch_execz .LBB190_72
.LBB190_104:                            ;   in Loop: Header=BB190_47 Depth=1
	v_mov_b32_e32 v9, s75
	ds_read_b32 v9, v9
	s_waitcnt lgkmcnt(0)
	v_add_u32_e32 v6, v9, v6
	s_or_b64 exec, exec, s[78:79]
	s_and_saveexec_b64 s[78:79], s[48:49]
	s_cbranch_execz .LBB190_73
.LBB190_105:                            ;   in Loop: Header=BB190_47 Depth=1
	v_mov_b32_e32 v9, s71
	ds_read_b32 v9, v9
	s_waitcnt lgkmcnt(0)
	v_add_u32_e32 v6, v9, v6
	s_or_b64 exec, exec, s[78:79]
	s_and_saveexec_b64 s[78:79], s[50:51]
	s_cbranch_execz .LBB190_74
.LBB190_106:                            ;   in Loop: Header=BB190_47 Depth=1
	v_mov_b32_e32 v9, s77
	ds_read_b32 v9, v9
	s_waitcnt lgkmcnt(0)
	v_add_u32_e32 v6, v9, v6
	s_or_b64 exec, exec, s[78:79]
	s_and_saveexec_b64 s[78:79], s[52:53]
	s_cbranch_execz .LBB190_75
.LBB190_107:                            ;   in Loop: Header=BB190_47 Depth=1
	v_mov_b32_e32 v9, s80
	ds_read_b32 v9, v9
	s_waitcnt lgkmcnt(0)
	v_add_u32_e32 v6, v9, v6
	s_or_b64 exec, exec, s[78:79]
	s_and_saveexec_b64 s[78:79], s[54:55]
	s_cbranch_execz .LBB190_76
.LBB190_108:                            ;   in Loop: Header=BB190_47 Depth=1
	v_mov_b32_e32 v9, s81
	ds_read_b32 v9, v9
	s_waitcnt lgkmcnt(0)
	v_add_u32_e32 v6, v9, v6
	s_or_b64 exec, exec, s[78:79]
	s_and_saveexec_b64 s[78:79], s[56:57]
	s_cbranch_execz .LBB190_77
.LBB190_109:                            ;   in Loop: Header=BB190_47 Depth=1
	v_mov_b32_e32 v9, s82
	ds_read_b32 v9, v9
	s_waitcnt lgkmcnt(0)
	v_add_u32_e32 v6, v9, v6
	s_or_b64 exec, exec, s[78:79]
	s_and_saveexec_b64 s[78:79], s[58:59]
	s_cbranch_execz .LBB190_78
.LBB190_110:                            ;   in Loop: Header=BB190_47 Depth=1
	v_mov_b32_e32 v9, s83
	ds_read_b32 v9, v9
	s_waitcnt lgkmcnt(0)
	v_add_u32_e32 v6, v9, v6
	s_or_b64 exec, exec, s[78:79]
	s_and_saveexec_b64 s[78:79], s[64:65]
	s_cbranch_execz .LBB190_79
.LBB190_111:                            ;   in Loop: Header=BB190_47 Depth=1
	v_add3_u32 v9, v4, -1, v6
	v_lshl_add_u32 v9, v9, 2, 0
	v_add_u32_e32 v11, 0x10000, v9
	ds_write_b32 v9, v7
	ds_write_b32 v11, v8
	s_or_b64 exec, exec, s[78:79]
	s_and_saveexec_b64 s[64:65], vcc
	s_cbranch_execz .LBB190_46
.LBB190_112:                            ;   in Loop: Header=BB190_47 Depth=1
	v_mov_b32_e32 v7, s84
	ds_write_b32 v7, v6
	s_branch .LBB190_46
.LBB190_113:
	s_or_b64 exec, exec, s[68:69]
	v_readlane_b32 s0, v22, 12
	v_readlane_b32 s1, v22, 13
	;; [unrolled: 1-line block ×3, first 2 shown]
	s_ashr_i32 s1, s0, 31
	v_readlane_b32 s6, v22, 6
	v_readlane_b32 s7, v22, 7
	;; [unrolled: 1-line block ×4, first 2 shown]
	s_lshl_b64 s[0:1], s[0:1], 3
	s_mov_b64 s[6:7], s[10:11]
	s_add_u32 s0, s6, s0
	s_addc_u32 s1, s7, s1
	s_load_dwordx4 s[0:3], s[0:1], 0x0
	v_readlane_b32 s8, v22, 8
	v_readlane_b32 s5, v22, 5
	v_readlane_b32 s9, v22, 9
	s_waitcnt lgkmcnt(0)
	s_sub_i32 s8, s2, s0
	v_cmp_gt_i32_e32 vcc, s8, v0
	s_and_saveexec_b64 s[4:5], vcc
	s_cbranch_execz .LBB190_123
; %bb.114:
	s_sub_u32 s4, s0, s70
	s_subb_u32 s5, s1, 0
	s_and_b32 s9, s8, 7
	s_sub_i32 s0, s0, s2
	s_cmp_lt_u32 s0, -7
	s_cselect_b64 s[0:1], -1, 0
	s_and_b32 s10, s8, -8
	s_cmp_lg_u32 s9, 0
	v_cndmask_b32_e64 v1, 0, 1, s[0:1]
	s_cselect_b64 s[2:3], -1, 0
	v_cmp_ne_u32_e64 s[0:1], 1, v1
	v_cndmask_b32_e64 v1, 0, 1, s[2:3]
	s_mov_b64 s[6:7], 0
	v_cmp_ne_u32_e64 s[2:3], 1, v1
	s_branch .LBB190_116
.LBB190_115:                            ;   in Loop: Header=BB190_116 Depth=1
	v_readlane_b32 s12, v22, 0
	v_lshlrev_b64 v[2:3], 2, v[2:3]
	v_readlane_b32 s13, v22, 1
	s_waitcnt lgkmcnt(1)
	v_add_u32_e32 v6, s70, v4
	v_mov_b32_e32 v5, s13
	v_add_co_u32_e32 v4, vcc, s12, v2
	v_readlane_b32 s14, v22, 2
	v_readlane_b32 s15, v22, 3
	v_addc_co_u32_e32 v5, vcc, v5, v3, vcc
	global_store_dword v[4:5], v6, off
	v_mov_b32_e32 v4, s15
	v_add_co_u32_e32 v2, vcc, s14, v2
	v_addc_co_u32_e32 v3, vcc, v4, v3, vcc
	v_add_u32_e32 v0, 0x400, v0
	v_cmp_le_i32_e32 vcc, s8, v0
	s_or_b64 s[6:7], vcc, s[6:7]
	s_waitcnt lgkmcnt(0)
	global_store_dword v[2:3], v1, off
	s_andn2_b64 exec, exec, s[6:7]
	s_cbranch_execz .LBB190_123
.LBB190_116:                            ; =>This Loop Header: Depth=1
                                        ;     Child Loop BB190_118 Depth 2
                                        ;     Child Loop BB190_122 Depth 2
	v_lshl_add_u32 v1, v0, 2, 0
	v_add_u32_e32 v2, 0x10000, v1
	ds_read_b32 v4, v1
	ds_read_b32 v1, v2
	s_and_b64 vcc, exec, s[0:1]
	v_pk_mov_b32 v[2:3], s[4:5], s[4:5] op_sel:[0,1]
	s_mov_b32 s11, 0
	s_cbranch_vccnz .LBB190_120
; %bb.117:                              ;   in Loop: Header=BB190_116 Depth=1
	s_mov_b32 s12, 0
	v_pk_mov_b32 v[2:3], s[4:5], s[4:5] op_sel:[0,1]
.LBB190_118:                            ;   Parent Loop BB190_116 Depth=1
                                        ; =>  This Inner Loop Header: Depth=2
	v_mov_b32_e32 v5, s12
	ds_read2_b32 v[6:7], v5 offset1:1
	ds_read2_b32 v[8:9], v5 offset0:2 offset1:3
	ds_read2_b32 v[10:11], v5 offset0:4 offset1:5
	;; [unrolled: 1-line block ×3, first 2 shown]
	s_add_i32 s11, s11, 8
	s_waitcnt lgkmcnt(3)
	v_cmp_gt_i32_e32 vcc, v4, v6
	v_cndmask_b32_e64 v5, 0, 1, vcc
	v_cmp_gt_i32_e32 vcc, v4, v7
	v_cndmask_b32_e64 v6, 0, 1, vcc
	s_waitcnt lgkmcnt(2)
	v_cmp_gt_i32_e32 vcc, v4, v8
	v_cndmask_b32_e64 v7, 0, 1, vcc
	v_cmp_gt_i32_e32 vcc, v4, v9
	v_cndmask_b32_e64 v8, 0, 1, vcc
	;; [unrolled: 5-line block ×4, first 2 shown]
	v_add_co_u32_e32 v2, vcc, v2, v5
	v_addc_co_u32_e32 v3, vcc, 0, v3, vcc
	v_add_co_u32_e32 v2, vcc, v2, v6
	v_addc_co_u32_e32 v3, vcc, 0, v3, vcc
	;; [unrolled: 2-line block ×7, first 2 shown]
	s_add_i32 s12, s12, 32
	v_add_co_u32_e32 v2, vcc, v2, v12
	s_cmp_eq_u32 s10, s11
	v_addc_co_u32_e32 v3, vcc, 0, v3, vcc
	s_cbranch_scc0 .LBB190_118
; %bb.119:                              ;   in Loop: Header=BB190_116 Depth=1
	s_mov_b32 s11, s10
.LBB190_120:                            ;   in Loop: Header=BB190_116 Depth=1
	s_and_b64 vcc, exec, s[2:3]
	s_cbranch_vccnz .LBB190_115
; %bb.121:                              ;   in Loop: Header=BB190_116 Depth=1
	s_lshl_b32 s11, s11, 2
	s_add_i32 s11, s11, 0
	s_mov_b32 s12, s9
.LBB190_122:                            ;   Parent Loop BB190_116 Depth=1
                                        ; =>  This Inner Loop Header: Depth=2
	v_mov_b32_e32 v5, s11
	ds_read_b32 v5, v5
	s_add_i32 s11, s11, 4
	s_add_i32 s12, s12, -1
	s_cmp_lg_u32 s12, 0
	s_waitcnt lgkmcnt(0)
	v_cmp_gt_i32_e32 vcc, v4, v5
	v_cndmask_b32_e64 v5, 0, 1, vcc
	v_add_co_u32_e32 v2, vcc, v2, v5
	v_addc_co_u32_e32 v3, vcc, 0, v3, vcc
	s_cbranch_scc1 .LBB190_122
	s_branch .LBB190_115
.LBB190_123:
	s_endpgm
	.section	.rodata,"a",@progbits
	.p2align	6, 0x0
	.amdhsa_kernel _ZN9rocsparseL26csrgemm_fill_block_per_rowILj1024ELj64ELj16384ELj137ELj32ElifEEvT5_PKS1_S3_NS_24const_host_device_scalarIT6_EEPKT4_S3_PKS5_S9_S3_SB_S6_S9_S3_SB_S9_PS1_PS5_21rocsparse_index_base_SE_SE_SE_bbb
		.amdhsa_group_segment_fixed_size 0
		.amdhsa_private_segment_fixed_size 0
		.amdhsa_kernarg_size 156
		.amdhsa_user_sgpr_count 6
		.amdhsa_user_sgpr_private_segment_buffer 1
		.amdhsa_user_sgpr_dispatch_ptr 0
		.amdhsa_user_sgpr_queue_ptr 0
		.amdhsa_user_sgpr_kernarg_segment_ptr 1
		.amdhsa_user_sgpr_dispatch_id 0
		.amdhsa_user_sgpr_flat_scratch_init 0
		.amdhsa_user_sgpr_kernarg_preload_length 0
		.amdhsa_user_sgpr_kernarg_preload_offset 0
		.amdhsa_user_sgpr_private_segment_size 0
		.amdhsa_uses_dynamic_stack 0
		.amdhsa_system_sgpr_private_segment_wavefront_offset 0
		.amdhsa_system_sgpr_workgroup_id_x 1
		.amdhsa_system_sgpr_workgroup_id_y 0
		.amdhsa_system_sgpr_workgroup_id_z 0
		.amdhsa_system_sgpr_workgroup_info 0
		.amdhsa_system_vgpr_workitem_id 0
		.amdhsa_next_free_vgpr 23
		.amdhsa_next_free_sgpr 96
		.amdhsa_accum_offset 24
		.amdhsa_reserve_vcc 1
		.amdhsa_reserve_flat_scratch 0
		.amdhsa_float_round_mode_32 0
		.amdhsa_float_round_mode_16_64 0
		.amdhsa_float_denorm_mode_32 3
		.amdhsa_float_denorm_mode_16_64 3
		.amdhsa_dx10_clamp 1
		.amdhsa_ieee_mode 1
		.amdhsa_fp16_overflow 0
		.amdhsa_tg_split 0
		.amdhsa_exception_fp_ieee_invalid_op 0
		.amdhsa_exception_fp_denorm_src 0
		.amdhsa_exception_fp_ieee_div_zero 0
		.amdhsa_exception_fp_ieee_overflow 0
		.amdhsa_exception_fp_ieee_underflow 0
		.amdhsa_exception_fp_ieee_inexact 0
		.amdhsa_exception_int_div_zero 0
	.end_amdhsa_kernel
	.section	.text._ZN9rocsparseL26csrgemm_fill_block_per_rowILj1024ELj64ELj16384ELj137ELj32ElifEEvT5_PKS1_S3_NS_24const_host_device_scalarIT6_EEPKT4_S3_PKS5_S9_S3_SB_S6_S9_S3_SB_S9_PS1_PS5_21rocsparse_index_base_SE_SE_SE_bbb,"axG",@progbits,_ZN9rocsparseL26csrgemm_fill_block_per_rowILj1024ELj64ELj16384ELj137ELj32ElifEEvT5_PKS1_S3_NS_24const_host_device_scalarIT6_EEPKT4_S3_PKS5_S9_S3_SB_S6_S9_S3_SB_S9_PS1_PS5_21rocsparse_index_base_SE_SE_SE_bbb,comdat
.Lfunc_end190:
	.size	_ZN9rocsparseL26csrgemm_fill_block_per_rowILj1024ELj64ELj16384ELj137ELj32ElifEEvT5_PKS1_S3_NS_24const_host_device_scalarIT6_EEPKT4_S3_PKS5_S9_S3_SB_S6_S9_S3_SB_S9_PS1_PS5_21rocsparse_index_base_SE_SE_SE_bbb, .Lfunc_end190-_ZN9rocsparseL26csrgemm_fill_block_per_rowILj1024ELj64ELj16384ELj137ELj32ElifEEvT5_PKS1_S3_NS_24const_host_device_scalarIT6_EEPKT4_S3_PKS5_S9_S3_SB_S6_S9_S3_SB_S9_PS1_PS5_21rocsparse_index_base_SE_SE_SE_bbb
                                        ; -- End function
	.section	.AMDGPU.csdata,"",@progbits
; Kernel info:
; codeLenInByte = 4964
; NumSgprs: 100
; NumVgprs: 23
; NumAgprs: 0
; TotalNumVgprs: 23
; ScratchSize: 0
; MemoryBound: 0
; FloatMode: 240
; IeeeMode: 1
; LDSByteSize: 0 bytes/workgroup (compile time only)
; SGPRBlocks: 12
; VGPRBlocks: 2
; NumSGPRsForWavesPerEU: 100
; NumVGPRsForWavesPerEU: 23
; AccumOffset: 24
; Occupancy: 8
; WaveLimiterHint : 1
; COMPUTE_PGM_RSRC2:SCRATCH_EN: 0
; COMPUTE_PGM_RSRC2:USER_SGPR: 6
; COMPUTE_PGM_RSRC2:TRAP_HANDLER: 0
; COMPUTE_PGM_RSRC2:TGID_X_EN: 1
; COMPUTE_PGM_RSRC2:TGID_Y_EN: 0
; COMPUTE_PGM_RSRC2:TGID_Z_EN: 0
; COMPUTE_PGM_RSRC2:TIDIG_COMP_CNT: 0
; COMPUTE_PGM_RSRC3_GFX90A:ACCUM_OFFSET: 5
; COMPUTE_PGM_RSRC3_GFX90A:TG_SPLIT: 0
	.section	.text._ZN9rocsparseL26csrgemm_fill_block_per_rowILj1024ELj64ELj16384ELj137ELj64ElifEEvT5_PKS1_S3_NS_24const_host_device_scalarIT6_EEPKT4_S3_PKS5_S9_S3_SB_S6_S9_S3_SB_S9_PS1_PS5_21rocsparse_index_base_SE_SE_SE_bbb,"axG",@progbits,_ZN9rocsparseL26csrgemm_fill_block_per_rowILj1024ELj64ELj16384ELj137ELj64ElifEEvT5_PKS1_S3_NS_24const_host_device_scalarIT6_EEPKT4_S3_PKS5_S9_S3_SB_S6_S9_S3_SB_S9_PS1_PS5_21rocsparse_index_base_SE_SE_SE_bbb,comdat
	.globl	_ZN9rocsparseL26csrgemm_fill_block_per_rowILj1024ELj64ELj16384ELj137ELj64ElifEEvT5_PKS1_S3_NS_24const_host_device_scalarIT6_EEPKT4_S3_PKS5_S9_S3_SB_S6_S9_S3_SB_S9_PS1_PS5_21rocsparse_index_base_SE_SE_SE_bbb ; -- Begin function _ZN9rocsparseL26csrgemm_fill_block_per_rowILj1024ELj64ELj16384ELj137ELj64ElifEEvT5_PKS1_S3_NS_24const_host_device_scalarIT6_EEPKT4_S3_PKS5_S9_S3_SB_S6_S9_S3_SB_S9_PS1_PS5_21rocsparse_index_base_SE_SE_SE_bbb
	.p2align	8
	.type	_ZN9rocsparseL26csrgemm_fill_block_per_rowILj1024ELj64ELj16384ELj137ELj64ElifEEvT5_PKS1_S3_NS_24const_host_device_scalarIT6_EEPKT4_S3_PKS5_S9_S3_SB_S6_S9_S3_SB_S9_PS1_PS5_21rocsparse_index_base_SE_SE_SE_bbb,@function
_ZN9rocsparseL26csrgemm_fill_block_per_rowILj1024ELj64ELj16384ELj137ELj64ElifEEvT5_PKS1_S3_NS_24const_host_device_scalarIT6_EEPKT4_S3_PKS5_S9_S3_SB_S6_S9_S3_SB_S9_PS1_PS5_21rocsparse_index_base_SE_SE_SE_bbb: ; @_ZN9rocsparseL26csrgemm_fill_block_per_rowILj1024ELj64ELj16384ELj137ELj64ElifEEvT5_PKS1_S3_NS_24const_host_device_scalarIT6_EEPKT4_S3_PKS5_S9_S3_SB_S6_S9_S3_SB_S9_PS1_PS5_21rocsparse_index_base_SE_SE_SE_bbb
; %bb.0:
	s_load_dword s7, s[4:5], 0x98
	s_load_dwordx4 s[44:47], s[4:5], 0x88
	s_load_dwordx2 s[0:1], s[4:5], 0x18
	s_load_dwordx2 s[24:25], s[4:5], 0x50
	s_waitcnt lgkmcnt(0)
	s_bitcmp1_b32 s7, 0
	s_cselect_b64 s[2:3], -1, 0
	s_bitcmp1_b32 s7, 16
	s_cselect_b64 s[26:27], -1, 0
	s_xor_b64 s[8:9], s[2:3], -1
	s_or_b64 s[8:9], s[8:9], s[26:27]
	s_and_b64 vcc, exec, s[8:9]
	s_cbranch_vccnz .LBB191_2
; %bb.1:
	s_load_dword s0, s[0:1], 0x0
	s_waitcnt lgkmcnt(0)
	v_mov_b32_e32 v13, s0
	s_branch .LBB191_3
.LBB191_2:
	v_mov_b32_e32 v1, s0
	v_cndmask_b32_e64 v13, 0, v1, s[2:3]
.LBB191_3:
	s_load_dwordx4 s[48:51], s[4:5], 0x78
	s_load_dwordx8 s[36:43], s[4:5], 0x58
	s_load_dwordx4 s[16:19], s[4:5], 0x40
	s_load_dwordx4 s[20:23], s[4:5], 0x8
	s_load_dwordx8 s[8:15], s[4:5], 0x20
	s_bitcmp1_b32 s7, 8
	s_cselect_b64 s[0:1], -1, 0
	s_xor_b64 s[28:29], s[0:1], -1
	s_or_b64 s[26:27], s[28:29], s[26:27]
	s_and_b64 vcc, exec, s[26:27]
	s_cbranch_vccnz .LBB191_5
; %bb.4:
	s_load_dword s7, s[24:25], 0x0
	s_waitcnt lgkmcnt(0)
	v_mov_b32_e32 v11, s7
	s_branch .LBB191_6
.LBB191_5:
	v_mov_b32_e32 v1, s24
	v_cndmask_b32_e64 v11, 0, v1, s[0:1]
.LBB191_6:
	s_load_dword s33, s[4:5], 0x0
	v_or_b32_e32 v1, 0xfffffc00, v0
	v_lshl_add_u32 v10, v0, 2, 0
	s_mov_b64 s[4:5], 0
	v_mov_b32_e32 v2, 0
	s_waitcnt lgkmcnt(0)
	v_mov_b32_e32 v3, s33
	s_movk_i32 s7, 0x3bff
	v_mov_b32_e32 v4, v10
	v_mov_b32_e32 v5, v1
.LBB191_7:                              ; =>This Inner Loop Header: Depth=1
	v_add_u32_e32 v5, 0x400, v5
	v_cmp_lt_u32_e32 vcc, s7, v5
	ds_write_b32 v4, v3
	v_add_u32_e32 v6, 0x10000, v4
	v_add_u32_e32 v4, 0x1000, v4
	s_or_b64 s[4:5], vcc, s[4:5]
	ds_write_b32 v6, v2
	s_andn2_b64 exec, exec, s[4:5]
	s_cbranch_execnz .LBB191_7
; %bb.8:
	s_or_b64 exec, exec, s[4:5]
	s_waitcnt lgkmcnt(0)
	s_barrier
	s_load_dword s4, s[20:21], 0x0
	s_mov_b32 s5, 0
	v_lshrrev_b32_e32 v12, 6, v0
	s_waitcnt lgkmcnt(0)
	s_add_i32 s4, s4, s6
	s_lshl_b64 s[4:5], s[4:5], 2
	s_add_u32 s4, s22, s4
	s_addc_u32 s5, s23, s5
	s_load_dword s34, s[4:5], 0x0
	s_and_b64 vcc, exec, s[2:3]
	s_cbranch_vccz .LBB191_28
; %bb.9:
	s_waitcnt lgkmcnt(0)
	s_ashr_i32 s35, s34, 31
	s_lshl_b64 s[2:3], s[34:35], 3
	s_add_u32 s2, s8, s2
	s_addc_u32 s3, s9, s3
	s_load_dwordx4 s[4:7], s[2:3], 0x0
	v_subrev_co_u32_e32 v2, vcc, s44, v12
	v_subb_co_u32_e64 v3, s[2:3], 0, 0, vcc
	s_waitcnt lgkmcnt(0)
	s_sub_u32 s2, s6, s44
	v_mov_b32_e32 v4, s5
	v_add_co_u32_e32 v2, vcc, s4, v2
	s_subb_u32 s3, s7, 0
	v_addc_co_u32_e32 v3, vcc, v4, v3, vcc
	v_cmp_gt_i64_e32 vcc, s[2:3], v[2:3]
	s_and_saveexec_b64 s[4:5], vcc
	s_cbranch_execz .LBB191_27
; %bb.10:
	v_and_b32_e32 v4, 63, v0
	v_subrev_co_u32_e32 v14, vcc, s45, v4
	s_mov_b32 s8, 0
	v_subb_co_u32_e64 v15, s[6:7], 0, 0, vcc
	s_mov_b32 s35, s45
	s_mov_b64 s[6:7], 0
	v_mov_b32_e32 v16, s11
	v_mov_b32_e32 v17, s15
	;; [unrolled: 1-line block ×3, first 2 shown]
	s_movk_i32 s11, 0x89
	s_branch .LBB191_12
.LBB191_11:                             ;   in Loop: Header=BB191_12 Depth=1
	s_or_b64 exec, exec, s[8:9]
	v_add_co_u32_e32 v2, vcc, 16, v2
	v_addc_co_u32_e32 v3, vcc, 0, v3, vcc
	v_cmp_le_i64_e32 vcc, s[2:3], v[2:3]
	s_or_b64 s[6:7], vcc, s[6:7]
	s_andn2_b64 exec, exec, s[6:7]
	s_cbranch_execz .LBB191_27
.LBB191_12:                             ; =>This Loop Header: Depth=1
                                        ;     Child Loop BB191_15 Depth 2
                                        ;       Child Loop BB191_17 Depth 3
	v_lshlrev_b64 v[8:9], 2, v[2:3]
	v_add_co_u32_e32 v4, vcc, s10, v8
	v_addc_co_u32_e32 v5, vcc, v16, v9, vcc
	global_load_dword v4, v[4:5], off
	s_waitcnt vmcnt(0)
	v_subrev_u32_e32 v4, s44, v4
	v_ashrrev_i32_e32 v5, 31, v4
	v_lshlrev_b64 v[4:5], 3, v[4:5]
	v_add_co_u32_e32 v4, vcc, s14, v4
	v_addc_co_u32_e32 v5, vcc, v17, v5, vcc
	global_load_dwordx4 v[20:23], v[4:5], off
	s_waitcnt vmcnt(0)
	v_subrev_co_u32_e32 v4, vcc, s35, v22
	v_subb_co_u32_e32 v5, vcc, v23, v18, vcc
	v_add_co_u32_e32 v6, vcc, v20, v14
	v_addc_co_u32_e32 v7, vcc, v21, v15, vcc
	v_cmp_lt_i64_e32 vcc, v[6:7], v[4:5]
	s_and_saveexec_b64 s[8:9], vcc
	s_cbranch_execz .LBB191_11
; %bb.13:                               ;   in Loop: Header=BB191_12 Depth=1
	v_mov_b32_e32 v19, s13
	v_add_co_u32_e32 v8, vcc, s12, v8
	v_addc_co_u32_e32 v9, vcc, v19, v9, vcc
	global_load_dword v8, v[8:9], off
	s_mov_b64 s[20:21], 0
	s_waitcnt vmcnt(0)
	v_mul_f32_e32 v8, v13, v8
	s_branch .LBB191_15
.LBB191_14:                             ;   in Loop: Header=BB191_15 Depth=2
	s_or_b64 exec, exec, s[22:23]
	v_add_co_u32_e32 v6, vcc, 64, v6
	v_addc_co_u32_e32 v7, vcc, 0, v7, vcc
	v_cmp_ge_i64_e32 vcc, v[6:7], v[4:5]
	s_or_b64 s[20:21], vcc, s[20:21]
	s_andn2_b64 exec, exec, s[20:21]
	s_cbranch_execz .LBB191_11
.LBB191_15:                             ;   Parent Loop BB191_12 Depth=1
                                        ; =>  This Loop Header: Depth=2
                                        ;       Child Loop BB191_17 Depth 3
	v_lshlrev_b64 v[20:21], 2, v[6:7]
	v_mov_b32_e32 v9, s17
	v_add_co_u32_e32 v22, vcc, s16, v20
	v_addc_co_u32_e32 v23, vcc, v9, v21, vcc
	global_load_dword v9, v[22:23], off
	v_mov_b32_e32 v19, s19
	v_add_co_u32_e32 v20, vcc, s18, v20
	v_addc_co_u32_e32 v21, vcc, v19, v21, vcc
	global_load_dword v19, v[20:21], off
	s_mov_b64 s[22:23], 0
	s_waitcnt vmcnt(1)
	v_subrev_u32_e32 v9, s45, v9
	v_mul_lo_u32 v20, v9, s11
	v_and_b32_e32 v20, 0x3fff, v20
	s_waitcnt vmcnt(0)
	v_mul_f32_e32 v19, v8, v19
	s_branch .LBB191_17
.LBB191_16:                             ;   in Loop: Header=BB191_17 Depth=3
	s_or_b64 exec, exec, s[24:25]
	s_xor_b64 s[24:25], s[26:27], -1
	s_and_b64 s[24:25], exec, s[24:25]
	s_or_b64 s[22:23], s[24:25], s[22:23]
	s_andn2_b64 exec, exec, s[22:23]
	s_cbranch_execz .LBB191_14
.LBB191_17:                             ;   Parent Loop BB191_12 Depth=1
                                        ;     Parent Loop BB191_15 Depth=2
                                        ; =>    This Inner Loop Header: Depth=3
	v_lshl_add_u32 v21, v20, 2, 0
	ds_read_b32 v22, v21
                                        ; implicit-def: $sgpr26_sgpr27
	s_waitcnt lgkmcnt(0)
	v_cmp_ne_u32_e32 vcc, v22, v9
	s_and_saveexec_b64 s[24:25], vcc
	s_xor_b64 s[24:25], exec, s[24:25]
	s_cbranch_execz .LBB191_25
; %bb.18:                               ;   in Loop: Header=BB191_17 Depth=3
	v_cmp_ne_u32_e32 vcc, s33, v22
                                        ; implicit-def: $sgpr26_sgpr27
	s_and_saveexec_b64 s[28:29], vcc
	s_xor_b64 s[28:29], exec, s[28:29]
; %bb.19:                               ;   in Loop: Header=BB191_17 Depth=3
	v_add_u32_e32 v20, 1, v20
	v_and_b32_e32 v20, 0x3fff, v20
	s_mov_b64 s[26:27], -1
                                        ; implicit-def: $vgpr21
; %bb.20:                               ;   in Loop: Header=BB191_17 Depth=3
	s_andn2_saveexec_b64 s[28:29], s[28:29]
	s_cbranch_execz .LBB191_24
; %bb.21:                               ;   in Loop: Header=BB191_17 Depth=3
	v_mov_b32_e32 v22, s33
	ds_cmpst_rtn_b32 v22, v21, v22, v9
	s_mov_b64 s[30:31], -1
	s_waitcnt lgkmcnt(0)
	v_cmp_eq_u32_e32 vcc, s33, v22
	s_and_saveexec_b64 s[52:53], vcc
	s_cbranch_execz .LBB191_23
; %bb.22:                               ;   in Loop: Header=BB191_17 Depth=3
	v_add_u32_e32 v21, 0x10000, v21
	ds_add_f32 v21, v19
	s_xor_b64 s[30:31], exec, -1
.LBB191_23:                             ;   in Loop: Header=BB191_17 Depth=3
	s_or_b64 exec, exec, s[52:53]
	s_andn2_b64 s[26:27], s[26:27], exec
	s_and_b64 s[30:31], s[30:31], exec
	s_or_b64 s[26:27], s[26:27], s[30:31]
.LBB191_24:                             ;   in Loop: Header=BB191_17 Depth=3
	s_or_b64 exec, exec, s[28:29]
	s_and_b64 s[26:27], s[26:27], exec
                                        ; implicit-def: $vgpr21
.LBB191_25:                             ;   in Loop: Header=BB191_17 Depth=3
	s_andn2_saveexec_b64 s[24:25], s[24:25]
	s_cbranch_execz .LBB191_16
; %bb.26:                               ;   in Loop: Header=BB191_17 Depth=3
	v_add_u32_e32 v21, 0x10000, v21
	ds_add_f32 v21, v19
	s_andn2_b64 s[26:27], s[26:27], exec
	s_branch .LBB191_16
.LBB191_27:
	s_or_b64 exec, exec, s[4:5]
.LBB191_28:
	s_andn2_b64 vcc, exec, s[0:1]
	s_cbranch_vccnz .LBB191_45
; %bb.29:
	s_waitcnt lgkmcnt(0)
	s_ashr_i32 s35, s34, 31
	s_lshl_b64 s[0:1], s[34:35], 3
	s_add_u32 s0, s36, s0
	s_addc_u32 s1, s37, s1
	s_load_dwordx4 s[4:7], s[0:1], 0x0
	v_subrev_co_u32_e32 v2, vcc, s47, v0
	v_subb_co_u32_e64 v3, s[0:1], 0, 0, vcc
	s_waitcnt lgkmcnt(0)
	s_sub_u32 s0, s6, s47
	v_mov_b32_e32 v4, s5
	v_add_co_u32_e32 v2, vcc, s4, v2
	s_subb_u32 s1, s7, 0
	v_addc_co_u32_e32 v3, vcc, v4, v3, vcc
	v_cmp_gt_i64_e32 vcc, s[0:1], v[2:3]
	s_and_saveexec_b64 s[2:3], vcc
	s_cbranch_execz .LBB191_44
; %bb.30:
	s_mov_b64 s[4:5], 0
	v_mov_b32_e32 v4, s39
	v_mov_b32_e32 v5, s41
	s_movk_i32 s18, 0x89
	s_branch .LBB191_32
.LBB191_31:                             ;   in Loop: Header=BB191_32 Depth=1
	s_or_b64 exec, exec, s[6:7]
	v_add_co_u32_e32 v2, vcc, 0x400, v2
	v_addc_co_u32_e32 v3, vcc, 0, v3, vcc
	v_cmp_le_i64_e32 vcc, s[0:1], v[2:3]
	s_or_b64 s[4:5], vcc, s[4:5]
	s_andn2_b64 exec, exec, s[4:5]
	s_cbranch_execz .LBB191_44
.LBB191_32:                             ; =>This Loop Header: Depth=1
                                        ;     Child Loop BB191_34 Depth 2
	v_lshlrev_b64 v[6:7], 2, v[2:3]
	v_add_co_u32_e32 v8, vcc, s38, v6
	v_addc_co_u32_e32 v9, vcc, v4, v7, vcc
	global_load_dword v8, v[8:9], off
	v_add_co_u32_e32 v6, vcc, s40, v6
	v_addc_co_u32_e32 v7, vcc, v5, v7, vcc
	global_load_dword v7, v[6:7], off
	s_mov_b64 s[6:7], 0
	s_waitcnt vmcnt(1)
	v_subrev_u32_e32 v6, s47, v8
	v_mul_lo_u32 v8, v6, s18
	v_and_b32_e32 v8, 0x3fff, v8
	s_waitcnt vmcnt(0)
	v_mul_f32_e32 v7, v11, v7
	s_branch .LBB191_34
.LBB191_33:                             ;   in Loop: Header=BB191_34 Depth=2
	s_or_b64 exec, exec, s[8:9]
	s_xor_b64 s[8:9], s[10:11], -1
	s_and_b64 s[8:9], exec, s[8:9]
	s_or_b64 s[6:7], s[8:9], s[6:7]
	s_andn2_b64 exec, exec, s[6:7]
	s_cbranch_execz .LBB191_31
.LBB191_34:                             ;   Parent Loop BB191_32 Depth=1
                                        ; =>  This Inner Loop Header: Depth=2
	v_lshl_add_u32 v9, v8, 2, 0
	ds_read_b32 v13, v9
                                        ; implicit-def: $sgpr10_sgpr11
	s_waitcnt lgkmcnt(0)
	v_cmp_ne_u32_e32 vcc, v13, v6
	s_and_saveexec_b64 s[8:9], vcc
	s_xor_b64 s[8:9], exec, s[8:9]
	s_cbranch_execz .LBB191_42
; %bb.35:                               ;   in Loop: Header=BB191_34 Depth=2
	v_cmp_ne_u32_e32 vcc, s33, v13
                                        ; implicit-def: $sgpr10_sgpr11
	s_and_saveexec_b64 s[12:13], vcc
	s_xor_b64 s[12:13], exec, s[12:13]
; %bb.36:                               ;   in Loop: Header=BB191_34 Depth=2
	v_add_u32_e32 v8, 1, v8
	v_and_b32_e32 v8, 0x3fff, v8
	s_mov_b64 s[10:11], -1
                                        ; implicit-def: $vgpr9
; %bb.37:                               ;   in Loop: Header=BB191_34 Depth=2
	s_andn2_saveexec_b64 s[12:13], s[12:13]
	s_cbranch_execz .LBB191_41
; %bb.38:                               ;   in Loop: Header=BB191_34 Depth=2
	v_mov_b32_e32 v13, s33
	ds_cmpst_rtn_b32 v13, v9, v13, v6
	s_mov_b64 s[14:15], -1
	s_waitcnt lgkmcnt(0)
	v_cmp_eq_u32_e32 vcc, s33, v13
	s_and_saveexec_b64 s[16:17], vcc
	s_cbranch_execz .LBB191_40
; %bb.39:                               ;   in Loop: Header=BB191_34 Depth=2
	v_add_u32_e32 v9, 0x10000, v9
	ds_add_f32 v9, v7
	s_xor_b64 s[14:15], exec, -1
.LBB191_40:                             ;   in Loop: Header=BB191_34 Depth=2
	s_or_b64 exec, exec, s[16:17]
	s_andn2_b64 s[10:11], s[10:11], exec
	s_and_b64 s[14:15], s[14:15], exec
	s_or_b64 s[10:11], s[10:11], s[14:15]
.LBB191_41:                             ;   in Loop: Header=BB191_34 Depth=2
	s_or_b64 exec, exec, s[12:13]
	s_and_b64 s[10:11], s[10:11], exec
                                        ; implicit-def: $vgpr9
.LBB191_42:                             ;   in Loop: Header=BB191_34 Depth=2
	s_andn2_saveexec_b64 s[8:9], s[8:9]
	s_cbranch_execz .LBB191_33
; %bb.43:                               ;   in Loop: Header=BB191_34 Depth=2
	v_add_u32_e32 v9, 0x10000, v9
	ds_add_f32 v9, v7
	s_andn2_b64 s[10:11], s[10:11], exec
	s_branch .LBB191_33
.LBB191_44:
	s_or_b64 exec, exec, s[2:3]
.LBB191_45:
	v_mbcnt_lo_u32_b32 v2, -1, 0
	v_mbcnt_hi_u32_b32 v2, -1, v2
	v_sub_u32_e32 v2, 63, v2
	s_add_i32 s35, 0, 0x20000
	s_movk_i32 s0, 0x3ff
	s_movk_i32 s2, 0x7f
	;; [unrolled: 1-line block ×15, first 2 shown]
	s_add_i32 s61, 0, 0x2003c
	v_mov_b32_e32 v4, 0
	v_lshrrev_b64 v[2:3], v2, -1
	v_lshl_add_u32 v5, v12, 2, s35
	v_cmp_eq_u32_e32 vcc, s0, v0
	v_cmp_lt_u32_e64 s[0:1], 63, v0
	v_cmp_lt_u32_e64 s[2:3], s2, v0
	;; [unrolled: 1-line block ×15, first 2 shown]
	s_mov_b64 s[36:37], 0
	s_add_i32 s40, 0, 0x20004
	s_add_i32 s41, 0, 0x20008
	s_add_i32 s44, 0, 0x2000c
	s_add_i32 s45, 0, 0x20010
	s_add_i32 s47, 0, 0x20014
	s_add_i32 s52, 0, 0x20018
	s_add_i32 s53, 0, 0x2001c
	s_add_i32 s54, 0, 0x20020
	s_add_i32 s55, 0, 0x20024
	s_add_i32 s56, 0, 0x20028
	s_add_i32 s57, 0, 0x2002c
	s_add_i32 s58, 0, 0x20030
	s_add_i32 s59, 0, 0x20034
	s_add_i32 s60, 0, 0x20038
	v_mov_b32_e32 v6, s61
	s_movk_i32 s62, 0x3bff
	s_waitcnt lgkmcnt(0)
	s_barrier
	s_branch .LBB191_47
.LBB191_46:                             ;   in Loop: Header=BB191_47 Depth=1
	s_or_b64 exec, exec, s[30:31]
	s_waitcnt lgkmcnt(0)
	s_barrier
	ds_read_b32 v7, v6
	v_add_u32_e32 v1, 0x400, v1
	v_cmp_lt_u32_e64 s[30:31], s62, v1
	s_or_b64 s[36:37], s[30:31], s[36:37]
	v_add_u32_e32 v10, 0x1000, v10
	s_waitcnt lgkmcnt(0)
	v_add_u32_e32 v4, v7, v4
	s_andn2_b64 exec, exec, s[36:37]
	s_cbranch_execz .LBB191_81
.LBB191_47:                             ; =>This Inner Loop Header: Depth=1
	ds_read_b32 v8, v10
	v_add_u32_e32 v7, 0x10000, v10
	ds_read_b32 v9, v7
	s_waitcnt lgkmcnt(0)
	s_barrier
	v_cmp_gt_i32_e64 s[30:31], s33, v8
	v_and_b32_e32 v11, s30, v2
	s_bcnt1_i32_b64 s38, s[30:31]
	v_and_b32_e32 v7, s31, v3
	v_bcnt_u32_b32 v11, v11, 0
	v_bcnt_u32_b32 v7, v7, v11
	v_mov_b32_e32 v11, s38
	ds_write_b32 v5, v11
	s_waitcnt lgkmcnt(0)
	s_barrier
	s_and_saveexec_b64 s[38:39], s[0:1]
	s_cbranch_execnz .LBB191_64
; %bb.48:                               ;   in Loop: Header=BB191_47 Depth=1
	s_or_b64 exec, exec, s[38:39]
	s_and_saveexec_b64 s[38:39], s[2:3]
	s_cbranch_execnz .LBB191_65
.LBB191_49:                             ;   in Loop: Header=BB191_47 Depth=1
	s_or_b64 exec, exec, s[38:39]
	s_and_saveexec_b64 s[38:39], s[4:5]
	s_cbranch_execnz .LBB191_66
.LBB191_50:                             ;   in Loop: Header=BB191_47 Depth=1
	s_or_b64 exec, exec, s[38:39]
	s_and_saveexec_b64 s[38:39], s[6:7]
	s_cbranch_execnz .LBB191_67
.LBB191_51:                             ;   in Loop: Header=BB191_47 Depth=1
	s_or_b64 exec, exec, s[38:39]
	s_and_saveexec_b64 s[38:39], s[8:9]
	s_cbranch_execnz .LBB191_68
.LBB191_52:                             ;   in Loop: Header=BB191_47 Depth=1
	s_or_b64 exec, exec, s[38:39]
	s_and_saveexec_b64 s[38:39], s[10:11]
	s_cbranch_execnz .LBB191_69
.LBB191_53:                             ;   in Loop: Header=BB191_47 Depth=1
	s_or_b64 exec, exec, s[38:39]
	s_and_saveexec_b64 s[38:39], s[12:13]
	s_cbranch_execnz .LBB191_70
.LBB191_54:                             ;   in Loop: Header=BB191_47 Depth=1
	s_or_b64 exec, exec, s[38:39]
	s_and_saveexec_b64 s[38:39], s[14:15]
	s_cbranch_execnz .LBB191_71
.LBB191_55:                             ;   in Loop: Header=BB191_47 Depth=1
	s_or_b64 exec, exec, s[38:39]
	s_and_saveexec_b64 s[38:39], s[16:17]
	s_cbranch_execnz .LBB191_72
.LBB191_56:                             ;   in Loop: Header=BB191_47 Depth=1
	s_or_b64 exec, exec, s[38:39]
	s_and_saveexec_b64 s[38:39], s[18:19]
	s_cbranch_execnz .LBB191_73
.LBB191_57:                             ;   in Loop: Header=BB191_47 Depth=1
	s_or_b64 exec, exec, s[38:39]
	s_and_saveexec_b64 s[38:39], s[20:21]
	s_cbranch_execnz .LBB191_74
.LBB191_58:                             ;   in Loop: Header=BB191_47 Depth=1
	s_or_b64 exec, exec, s[38:39]
	s_and_saveexec_b64 s[38:39], s[22:23]
	s_cbranch_execnz .LBB191_75
.LBB191_59:                             ;   in Loop: Header=BB191_47 Depth=1
	s_or_b64 exec, exec, s[38:39]
	s_and_saveexec_b64 s[38:39], s[24:25]
	s_cbranch_execnz .LBB191_76
.LBB191_60:                             ;   in Loop: Header=BB191_47 Depth=1
	s_or_b64 exec, exec, s[38:39]
	s_and_saveexec_b64 s[38:39], s[26:27]
	s_cbranch_execnz .LBB191_77
.LBB191_61:                             ;   in Loop: Header=BB191_47 Depth=1
	s_or_b64 exec, exec, s[38:39]
	s_and_saveexec_b64 s[38:39], s[28:29]
	s_cbranch_execnz .LBB191_78
.LBB191_62:                             ;   in Loop: Header=BB191_47 Depth=1
	s_or_b64 exec, exec, s[38:39]
	s_and_saveexec_b64 s[38:39], s[30:31]
	s_cbranch_execnz .LBB191_79
.LBB191_63:                             ;   in Loop: Header=BB191_47 Depth=1
	s_or_b64 exec, exec, s[38:39]
	s_and_saveexec_b64 s[30:31], vcc
	s_cbranch_execz .LBB191_46
	s_branch .LBB191_80
.LBB191_64:                             ;   in Loop: Header=BB191_47 Depth=1
	v_mov_b32_e32 v11, s35
	ds_read_b32 v11, v11
	s_waitcnt lgkmcnt(0)
	v_add_u32_e32 v7, v11, v7
	s_or_b64 exec, exec, s[38:39]
	s_and_saveexec_b64 s[38:39], s[2:3]
	s_cbranch_execz .LBB191_49
.LBB191_65:                             ;   in Loop: Header=BB191_47 Depth=1
	v_mov_b32_e32 v11, s40
	ds_read_b32 v11, v11
	s_waitcnt lgkmcnt(0)
	v_add_u32_e32 v7, v11, v7
	s_or_b64 exec, exec, s[38:39]
	s_and_saveexec_b64 s[38:39], s[4:5]
	s_cbranch_execz .LBB191_50
.LBB191_66:                             ;   in Loop: Header=BB191_47 Depth=1
	v_mov_b32_e32 v11, s41
	ds_read_b32 v11, v11
	s_waitcnt lgkmcnt(0)
	v_add_u32_e32 v7, v11, v7
	s_or_b64 exec, exec, s[38:39]
	s_and_saveexec_b64 s[38:39], s[6:7]
	s_cbranch_execz .LBB191_51
.LBB191_67:                             ;   in Loop: Header=BB191_47 Depth=1
	v_mov_b32_e32 v11, s44
	ds_read_b32 v11, v11
	s_waitcnt lgkmcnt(0)
	v_add_u32_e32 v7, v11, v7
	s_or_b64 exec, exec, s[38:39]
	s_and_saveexec_b64 s[38:39], s[8:9]
	s_cbranch_execz .LBB191_52
.LBB191_68:                             ;   in Loop: Header=BB191_47 Depth=1
	v_mov_b32_e32 v11, s45
	ds_read_b32 v11, v11
	s_waitcnt lgkmcnt(0)
	v_add_u32_e32 v7, v11, v7
	s_or_b64 exec, exec, s[38:39]
	s_and_saveexec_b64 s[38:39], s[10:11]
	s_cbranch_execz .LBB191_53
.LBB191_69:                             ;   in Loop: Header=BB191_47 Depth=1
	v_mov_b32_e32 v11, s47
	ds_read_b32 v11, v11
	s_waitcnt lgkmcnt(0)
	v_add_u32_e32 v7, v11, v7
	s_or_b64 exec, exec, s[38:39]
	s_and_saveexec_b64 s[38:39], s[12:13]
	s_cbranch_execz .LBB191_54
.LBB191_70:                             ;   in Loop: Header=BB191_47 Depth=1
	v_mov_b32_e32 v11, s52
	ds_read_b32 v11, v11
	s_waitcnt lgkmcnt(0)
	v_add_u32_e32 v7, v11, v7
	s_or_b64 exec, exec, s[38:39]
	s_and_saveexec_b64 s[38:39], s[14:15]
	s_cbranch_execz .LBB191_55
.LBB191_71:                             ;   in Loop: Header=BB191_47 Depth=1
	v_mov_b32_e32 v11, s53
	ds_read_b32 v11, v11
	s_waitcnt lgkmcnt(0)
	v_add_u32_e32 v7, v11, v7
	s_or_b64 exec, exec, s[38:39]
	s_and_saveexec_b64 s[38:39], s[16:17]
	s_cbranch_execz .LBB191_56
.LBB191_72:                             ;   in Loop: Header=BB191_47 Depth=1
	v_mov_b32_e32 v11, s54
	ds_read_b32 v11, v11
	s_waitcnt lgkmcnt(0)
	v_add_u32_e32 v7, v11, v7
	s_or_b64 exec, exec, s[38:39]
	s_and_saveexec_b64 s[38:39], s[18:19]
	s_cbranch_execz .LBB191_57
.LBB191_73:                             ;   in Loop: Header=BB191_47 Depth=1
	v_mov_b32_e32 v11, s55
	ds_read_b32 v11, v11
	s_waitcnt lgkmcnt(0)
	v_add_u32_e32 v7, v11, v7
	s_or_b64 exec, exec, s[38:39]
	s_and_saveexec_b64 s[38:39], s[20:21]
	s_cbranch_execz .LBB191_58
.LBB191_74:                             ;   in Loop: Header=BB191_47 Depth=1
	v_mov_b32_e32 v11, s56
	ds_read_b32 v11, v11
	s_waitcnt lgkmcnt(0)
	v_add_u32_e32 v7, v11, v7
	s_or_b64 exec, exec, s[38:39]
	s_and_saveexec_b64 s[38:39], s[22:23]
	s_cbranch_execz .LBB191_59
.LBB191_75:                             ;   in Loop: Header=BB191_47 Depth=1
	v_mov_b32_e32 v11, s57
	ds_read_b32 v11, v11
	s_waitcnt lgkmcnt(0)
	v_add_u32_e32 v7, v11, v7
	s_or_b64 exec, exec, s[38:39]
	s_and_saveexec_b64 s[38:39], s[24:25]
	s_cbranch_execz .LBB191_60
.LBB191_76:                             ;   in Loop: Header=BB191_47 Depth=1
	v_mov_b32_e32 v11, s58
	ds_read_b32 v11, v11
	s_waitcnt lgkmcnt(0)
	v_add_u32_e32 v7, v11, v7
	s_or_b64 exec, exec, s[38:39]
	s_and_saveexec_b64 s[38:39], s[26:27]
	s_cbranch_execz .LBB191_61
.LBB191_77:                             ;   in Loop: Header=BB191_47 Depth=1
	v_mov_b32_e32 v11, s59
	ds_read_b32 v11, v11
	s_waitcnt lgkmcnt(0)
	v_add_u32_e32 v7, v11, v7
	s_or_b64 exec, exec, s[38:39]
	s_and_saveexec_b64 s[38:39], s[28:29]
	s_cbranch_execz .LBB191_62
.LBB191_78:                             ;   in Loop: Header=BB191_47 Depth=1
	v_mov_b32_e32 v11, s60
	ds_read_b32 v11, v11
	s_waitcnt lgkmcnt(0)
	v_add_u32_e32 v7, v11, v7
	s_or_b64 exec, exec, s[38:39]
	s_and_saveexec_b64 s[38:39], s[30:31]
	s_cbranch_execz .LBB191_63
.LBB191_79:                             ;   in Loop: Header=BB191_47 Depth=1
	v_add3_u32 v11, v4, -1, v7
	v_lshl_add_u32 v11, v11, 2, 0
	v_add_u32_e32 v12, 0x10000, v11
	ds_write_b32 v11, v8
	ds_write_b32 v12, v9
	s_or_b64 exec, exec, s[38:39]
	s_and_saveexec_b64 s[30:31], vcc
	s_cbranch_execz .LBB191_46
.LBB191_80:                             ;   in Loop: Header=BB191_47 Depth=1
	v_mov_b32_e32 v8, s61
	ds_write_b32 v8, v7
	s_branch .LBB191_46
.LBB191_81:
	s_or_b64 exec, exec, s[36:37]
	s_ashr_i32 s35, s34, 31
	s_lshl_b64 s[0:1], s[34:35], 3
	s_add_u32 s0, s42, s0
	s_addc_u32 s1, s43, s1
	s_load_dwordx4 s[0:3], s[0:1], 0x0
	s_waitcnt lgkmcnt(0)
	s_sub_i32 s8, s2, s0
	v_cmp_gt_i32_e32 vcc, s8, v0
	s_and_saveexec_b64 s[4:5], vcc
	s_cbranch_execz .LBB191_91
; %bb.82:
	s_sub_u32 s4, s0, s46
	s_subb_u32 s5, s1, 0
	s_and_b32 s9, s8, 7
	s_sub_i32 s0, s0, s2
	s_cmp_lt_u32 s0, -7
	s_cselect_b64 s[0:1], -1, 0
	s_and_b32 s10, s8, -8
	s_cmp_lg_u32 s9, 0
	v_cndmask_b32_e64 v1, 0, 1, s[0:1]
	s_cselect_b64 s[2:3], -1, 0
	v_cmp_ne_u32_e64 s[0:1], 1, v1
	v_cndmask_b32_e64 v1, 0, 1, s[2:3]
	s_mov_b64 s[6:7], 0
	v_cmp_ne_u32_e64 s[2:3], 1, v1
	s_branch .LBB191_84
.LBB191_83:                             ;   in Loop: Header=BB191_84 Depth=1
	v_lshlrev_b64 v[2:3], 2, v[2:3]
	s_waitcnt lgkmcnt(1)
	v_add_u32_e32 v6, s46, v4
	v_mov_b32_e32 v5, s49
	v_add_co_u32_e32 v4, vcc, s48, v2
	v_addc_co_u32_e32 v5, vcc, v5, v3, vcc
	global_store_dword v[4:5], v6, off
	v_mov_b32_e32 v4, s51
	v_add_co_u32_e32 v2, vcc, s50, v2
	v_addc_co_u32_e32 v3, vcc, v4, v3, vcc
	v_add_u32_e32 v0, 0x400, v0
	v_cmp_le_i32_e32 vcc, s8, v0
	s_or_b64 s[6:7], vcc, s[6:7]
	s_waitcnt lgkmcnt(0)
	global_store_dword v[2:3], v1, off
	s_andn2_b64 exec, exec, s[6:7]
	s_cbranch_execz .LBB191_91
.LBB191_84:                             ; =>This Loop Header: Depth=1
                                        ;     Child Loop BB191_86 Depth 2
                                        ;     Child Loop BB191_90 Depth 2
	v_lshl_add_u32 v1, v0, 2, 0
	v_add_u32_e32 v2, 0x10000, v1
	ds_read_b32 v4, v1
	ds_read_b32 v1, v2
	s_and_b64 vcc, exec, s[0:1]
	v_pk_mov_b32 v[2:3], s[4:5], s[4:5] op_sel:[0,1]
	s_mov_b32 s11, 0
	s_cbranch_vccnz .LBB191_88
; %bb.85:                               ;   in Loop: Header=BB191_84 Depth=1
	s_mov_b32 s12, 0
	v_pk_mov_b32 v[2:3], s[4:5], s[4:5] op_sel:[0,1]
.LBB191_86:                             ;   Parent Loop BB191_84 Depth=1
                                        ; =>  This Inner Loop Header: Depth=2
	v_mov_b32_e32 v5, s12
	ds_read2_b32 v[6:7], v5 offset1:1
	ds_read2_b32 v[8:9], v5 offset0:2 offset1:3
	ds_read2_b32 v[10:11], v5 offset0:4 offset1:5
	;; [unrolled: 1-line block ×3, first 2 shown]
	s_add_i32 s11, s11, 8
	s_waitcnt lgkmcnt(3)
	v_cmp_gt_i32_e32 vcc, v4, v6
	v_cndmask_b32_e64 v5, 0, 1, vcc
	v_cmp_gt_i32_e32 vcc, v4, v7
	v_cndmask_b32_e64 v6, 0, 1, vcc
	s_waitcnt lgkmcnt(2)
	v_cmp_gt_i32_e32 vcc, v4, v8
	v_cndmask_b32_e64 v7, 0, 1, vcc
	v_cmp_gt_i32_e32 vcc, v4, v9
	v_cndmask_b32_e64 v8, 0, 1, vcc
	s_waitcnt lgkmcnt(1)
	v_cmp_gt_i32_e32 vcc, v4, v10
	v_cndmask_b32_e64 v9, 0, 1, vcc
	v_cmp_gt_i32_e32 vcc, v4, v11
	v_cndmask_b32_e64 v10, 0, 1, vcc
	s_waitcnt lgkmcnt(0)
	v_cmp_gt_i32_e32 vcc, v4, v12
	v_cndmask_b32_e64 v11, 0, 1, vcc
	v_cmp_gt_i32_e32 vcc, v4, v13
	v_cndmask_b32_e64 v12, 0, 1, vcc
	v_add_co_u32_e32 v2, vcc, v2, v5
	v_addc_co_u32_e32 v3, vcc, 0, v3, vcc
	v_add_co_u32_e32 v2, vcc, v2, v6
	v_addc_co_u32_e32 v3, vcc, 0, v3, vcc
	;; [unrolled: 2-line block ×7, first 2 shown]
	s_add_i32 s12, s12, 32
	v_add_co_u32_e32 v2, vcc, v2, v12
	s_cmp_eq_u32 s10, s11
	v_addc_co_u32_e32 v3, vcc, 0, v3, vcc
	s_cbranch_scc0 .LBB191_86
; %bb.87:                               ;   in Loop: Header=BB191_84 Depth=1
	s_mov_b32 s11, s10
.LBB191_88:                             ;   in Loop: Header=BB191_84 Depth=1
	s_and_b64 vcc, exec, s[2:3]
	s_cbranch_vccnz .LBB191_83
; %bb.89:                               ;   in Loop: Header=BB191_84 Depth=1
	s_lshl_b32 s11, s11, 2
	s_add_i32 s11, s11, 0
	s_mov_b32 s12, s9
.LBB191_90:                             ;   Parent Loop BB191_84 Depth=1
                                        ; =>  This Inner Loop Header: Depth=2
	v_mov_b32_e32 v5, s11
	ds_read_b32 v5, v5
	s_add_i32 s11, s11, 4
	s_add_i32 s12, s12, -1
	s_cmp_lg_u32 s12, 0
	s_waitcnt lgkmcnt(0)
	v_cmp_gt_i32_e32 vcc, v4, v5
	v_cndmask_b32_e64 v5, 0, 1, vcc
	v_add_co_u32_e32 v2, vcc, v2, v5
	v_addc_co_u32_e32 v3, vcc, 0, v3, vcc
	s_cbranch_scc1 .LBB191_90
	s_branch .LBB191_83
.LBB191_91:
	s_endpgm
	.section	.rodata,"a",@progbits
	.p2align	6, 0x0
	.amdhsa_kernel _ZN9rocsparseL26csrgemm_fill_block_per_rowILj1024ELj64ELj16384ELj137ELj64ElifEEvT5_PKS1_S3_NS_24const_host_device_scalarIT6_EEPKT4_S3_PKS5_S9_S3_SB_S6_S9_S3_SB_S9_PS1_PS5_21rocsparse_index_base_SE_SE_SE_bbb
		.amdhsa_group_segment_fixed_size 0
		.amdhsa_private_segment_fixed_size 0
		.amdhsa_kernarg_size 156
		.amdhsa_user_sgpr_count 6
		.amdhsa_user_sgpr_private_segment_buffer 1
		.amdhsa_user_sgpr_dispatch_ptr 0
		.amdhsa_user_sgpr_queue_ptr 0
		.amdhsa_user_sgpr_kernarg_segment_ptr 1
		.amdhsa_user_sgpr_dispatch_id 0
		.amdhsa_user_sgpr_flat_scratch_init 0
		.amdhsa_user_sgpr_kernarg_preload_length 0
		.amdhsa_user_sgpr_kernarg_preload_offset 0
		.amdhsa_user_sgpr_private_segment_size 0
		.amdhsa_uses_dynamic_stack 0
		.amdhsa_system_sgpr_private_segment_wavefront_offset 0
		.amdhsa_system_sgpr_workgroup_id_x 1
		.amdhsa_system_sgpr_workgroup_id_y 0
		.amdhsa_system_sgpr_workgroup_id_z 0
		.amdhsa_system_sgpr_workgroup_info 0
		.amdhsa_system_vgpr_workitem_id 0
		.amdhsa_next_free_vgpr 24
		.amdhsa_next_free_sgpr 63
		.amdhsa_accum_offset 24
		.amdhsa_reserve_vcc 1
		.amdhsa_reserve_flat_scratch 0
		.amdhsa_float_round_mode_32 0
		.amdhsa_float_round_mode_16_64 0
		.amdhsa_float_denorm_mode_32 3
		.amdhsa_float_denorm_mode_16_64 3
		.amdhsa_dx10_clamp 1
		.amdhsa_ieee_mode 1
		.amdhsa_fp16_overflow 0
		.amdhsa_tg_split 0
		.amdhsa_exception_fp_ieee_invalid_op 0
		.amdhsa_exception_fp_denorm_src 0
		.amdhsa_exception_fp_ieee_div_zero 0
		.amdhsa_exception_fp_ieee_overflow 0
		.amdhsa_exception_fp_ieee_underflow 0
		.amdhsa_exception_fp_ieee_inexact 0
		.amdhsa_exception_int_div_zero 0
	.end_amdhsa_kernel
	.section	.text._ZN9rocsparseL26csrgemm_fill_block_per_rowILj1024ELj64ELj16384ELj137ELj64ElifEEvT5_PKS1_S3_NS_24const_host_device_scalarIT6_EEPKT4_S3_PKS5_S9_S3_SB_S6_S9_S3_SB_S9_PS1_PS5_21rocsparse_index_base_SE_SE_SE_bbb,"axG",@progbits,_ZN9rocsparseL26csrgemm_fill_block_per_rowILj1024ELj64ELj16384ELj137ELj64ElifEEvT5_PKS1_S3_NS_24const_host_device_scalarIT6_EEPKT4_S3_PKS5_S9_S3_SB_S6_S9_S3_SB_S9_PS1_PS5_21rocsparse_index_base_SE_SE_SE_bbb,comdat
.Lfunc_end191:
	.size	_ZN9rocsparseL26csrgemm_fill_block_per_rowILj1024ELj64ELj16384ELj137ELj64ElifEEvT5_PKS1_S3_NS_24const_host_device_scalarIT6_EEPKT4_S3_PKS5_S9_S3_SB_S6_S9_S3_SB_S9_PS1_PS5_21rocsparse_index_base_SE_SE_SE_bbb, .Lfunc_end191-_ZN9rocsparseL26csrgemm_fill_block_per_rowILj1024ELj64ELj16384ELj137ELj64ElifEEvT5_PKS1_S3_NS_24const_host_device_scalarIT6_EEPKT4_S3_PKS5_S9_S3_SB_S6_S9_S3_SB_S9_PS1_PS5_21rocsparse_index_base_SE_SE_SE_bbb
                                        ; -- End function
	.section	.AMDGPU.csdata,"",@progbits
; Kernel info:
; codeLenInByte = 3260
; NumSgprs: 67
; NumVgprs: 24
; NumAgprs: 0
; TotalNumVgprs: 24
; ScratchSize: 0
; MemoryBound: 0
; FloatMode: 240
; IeeeMode: 1
; LDSByteSize: 0 bytes/workgroup (compile time only)
; SGPRBlocks: 8
; VGPRBlocks: 2
; NumSGPRsForWavesPerEU: 67
; NumVGPRsForWavesPerEU: 24
; AccumOffset: 24
; Occupancy: 8
; WaveLimiterHint : 1
; COMPUTE_PGM_RSRC2:SCRATCH_EN: 0
; COMPUTE_PGM_RSRC2:USER_SGPR: 6
; COMPUTE_PGM_RSRC2:TRAP_HANDLER: 0
; COMPUTE_PGM_RSRC2:TGID_X_EN: 1
; COMPUTE_PGM_RSRC2:TGID_Y_EN: 0
; COMPUTE_PGM_RSRC2:TGID_Z_EN: 0
; COMPUTE_PGM_RSRC2:TIDIG_COMP_CNT: 0
; COMPUTE_PGM_RSRC3_GFX90A:ACCUM_OFFSET: 5
; COMPUTE_PGM_RSRC3_GFX90A:TG_SPLIT: 0
	.section	.text._ZN9rocsparseL26csrgemm_fill_block_per_rowILj1024ELj64ELj32768ELj137ELj32ElifEEvT5_PKS1_S3_NS_24const_host_device_scalarIT6_EEPKT4_S3_PKS5_S9_S3_SB_S6_S9_S3_SB_S9_PS1_PS5_21rocsparse_index_base_SE_SE_SE_bbb,"axG",@progbits,_ZN9rocsparseL26csrgemm_fill_block_per_rowILj1024ELj64ELj32768ELj137ELj32ElifEEvT5_PKS1_S3_NS_24const_host_device_scalarIT6_EEPKT4_S3_PKS5_S9_S3_SB_S6_S9_S3_SB_S9_PS1_PS5_21rocsparse_index_base_SE_SE_SE_bbb,comdat
	.globl	_ZN9rocsparseL26csrgemm_fill_block_per_rowILj1024ELj64ELj32768ELj137ELj32ElifEEvT5_PKS1_S3_NS_24const_host_device_scalarIT6_EEPKT4_S3_PKS5_S9_S3_SB_S6_S9_S3_SB_S9_PS1_PS5_21rocsparse_index_base_SE_SE_SE_bbb ; -- Begin function _ZN9rocsparseL26csrgemm_fill_block_per_rowILj1024ELj64ELj32768ELj137ELj32ElifEEvT5_PKS1_S3_NS_24const_host_device_scalarIT6_EEPKT4_S3_PKS5_S9_S3_SB_S6_S9_S3_SB_S9_PS1_PS5_21rocsparse_index_base_SE_SE_SE_bbb
	.p2align	8
	.type	_ZN9rocsparseL26csrgemm_fill_block_per_rowILj1024ELj64ELj32768ELj137ELj32ElifEEvT5_PKS1_S3_NS_24const_host_device_scalarIT6_EEPKT4_S3_PKS5_S9_S3_SB_S6_S9_S3_SB_S9_PS1_PS5_21rocsparse_index_base_SE_SE_SE_bbb,@function
_ZN9rocsparseL26csrgemm_fill_block_per_rowILj1024ELj64ELj32768ELj137ELj32ElifEEvT5_PKS1_S3_NS_24const_host_device_scalarIT6_EEPKT4_S3_PKS5_S9_S3_SB_S6_S9_S3_SB_S9_PS1_PS5_21rocsparse_index_base_SE_SE_SE_bbb: ; @_ZN9rocsparseL26csrgemm_fill_block_per_rowILj1024ELj64ELj32768ELj137ELj32ElifEEvT5_PKS1_S3_NS_24const_host_device_scalarIT6_EEPKT4_S3_PKS5_S9_S3_SB_S6_S9_S3_SB_S9_PS1_PS5_21rocsparse_index_base_SE_SE_SE_bbb
; %bb.0:
	s_load_dword s7, s[4:5], 0x98
	s_load_dwordx4 s[68:71], s[4:5], 0x88
	s_load_dwordx2 s[0:1], s[4:5], 0x18
	s_load_dwordx2 s[24:25], s[4:5], 0x50
	s_waitcnt lgkmcnt(0)
	s_bitcmp1_b32 s7, 0
	s_cselect_b64 s[2:3], -1, 0
	s_bitcmp1_b32 s7, 16
	s_cselect_b64 s[26:27], -1, 0
	s_xor_b64 s[8:9], s[2:3], -1
	s_or_b64 s[8:9], s[8:9], s[26:27]
	s_and_b64 vcc, exec, s[8:9]
	s_cbranch_vccnz .LBB192_2
; %bb.1:
	s_load_dword s0, s[0:1], 0x0
	s_waitcnt lgkmcnt(0)
	v_mov_b32_e32 v12, s0
	s_branch .LBB192_3
.LBB192_2:
	v_mov_b32_e32 v1, s0
	v_cndmask_b32_e64 v12, 0, v1, s[2:3]
.LBB192_3:
	s_load_dwordx4 s[8:11], s[4:5], 0x78
                                        ; implicit-def: $vgpr22 : SGPR spill to VGPR lane
	s_bitcmp1_b32 s7, 8
	s_cselect_b64 s[0:1], -1, 0
	s_xor_b64 s[28:29], s[0:1], -1
	s_or_b64 s[26:27], s[28:29], s[26:27]
	s_waitcnt lgkmcnt(0)
	v_writelane_b32 v22, s8, 0
	v_writelane_b32 v22, s9, 1
	;; [unrolled: 1-line block ×4, first 2 shown]
	s_load_dwordx8 s[8:15], s[4:5], 0x58
	s_and_b64 vcc, exec, s[26:27]
	s_waitcnt lgkmcnt(0)
	v_writelane_b32 v22, s8, 4
	v_writelane_b32 v22, s9, 5
	;; [unrolled: 1-line block ×8, first 2 shown]
	s_load_dwordx4 s[16:19], s[4:5], 0x40
	s_load_dwordx4 s[20:23], s[4:5], 0x8
	s_load_dwordx8 s[8:15], s[4:5], 0x20
	s_cbranch_vccnz .LBB192_5
; %bb.4:
	s_load_dword s7, s[24:25], 0x0
	s_waitcnt lgkmcnt(0)
	v_mov_b32_e32 v11, s7
	s_branch .LBB192_6
.LBB192_5:
	v_mov_b32_e32 v1, s24
	v_cndmask_b32_e64 v11, 0, v1, s[0:1]
.LBB192_6:
	s_load_dword s33, s[4:5], 0x0
	v_or_b32_e32 v1, 0xfffffc00, v0
	v_lshl_add_u32 v10, v0, 2, 0
	s_mov_b64 s[4:5], 0
	v_mov_b32_e32 v2, 0
	s_waitcnt lgkmcnt(0)
	v_mov_b32_e32 v3, s33
	s_movk_i32 s7, 0x7bff
	v_mov_b32_e32 v4, v10
	v_mov_b32_e32 v5, v1
.LBB192_7:                              ; =>This Inner Loop Header: Depth=1
	v_add_u32_e32 v5, 0x400, v5
	v_cmp_lt_u32_e32 vcc, s7, v5
	ds_write_b32 v4, v3
	v_add_u32_e32 v6, 0x20000, v4
	v_add_u32_e32 v4, 0x1000, v4
	s_or_b64 s[4:5], vcc, s[4:5]
	ds_write_b32 v6, v2
	s_andn2_b64 exec, exec, s[4:5]
	s_cbranch_execnz .LBB192_7
; %bb.8:
	s_or_b64 exec, exec, s[4:5]
	s_waitcnt lgkmcnt(0)
	s_barrier
	s_load_dword s4, s[20:21], 0x0
	s_mov_b32 s5, 0
	s_waitcnt lgkmcnt(0)
	s_add_i32 s4, s4, s6
	s_lshl_b64 s[4:5], s[4:5], 2
	s_add_u32 s4, s22, s4
	s_addc_u32 s5, s23, s5
	s_load_dword s4, s[4:5], 0x0
	s_and_b64 vcc, exec, s[2:3]
	s_waitcnt lgkmcnt(0)
	v_writelane_b32 v22, s4, 12
	v_writelane_b32 v22, s5, 13
	s_cbranch_vccz .LBB192_28
; %bb.9:
	v_readlane_b32 s2, v22, 12
	v_readlane_b32 s3, v22, 13
	s_mov_b32 s4, s2
	s_ashr_i32 s5, s2, 31
	v_writelane_b32 v22, s2, 12
	v_writelane_b32 v22, s3, 13
	s_lshl_b64 s[2:3], s[4:5], 3
	s_add_u32 s2, s8, s2
	s_addc_u32 s3, s9, s3
	s_load_dwordx4 s[4:7], s[2:3], 0x0
	v_lshrrev_b32_e32 v2, 6, v0
	v_subrev_co_u32_e32 v2, vcc, s68, v2
	s_waitcnt lgkmcnt(0)
	s_sub_u32 s2, s6, s68
	s_subb_u32 s3, s7, 0
	v_subb_co_u32_e64 v3, s[6:7], 0, 0, vcc
	v_mov_b32_e32 v4, s5
	v_add_co_u32_e32 v2, vcc, s4, v2
	v_addc_co_u32_e32 v3, vcc, v4, v3, vcc
	v_cmp_gt_i64_e32 vcc, s[2:3], v[2:3]
	s_and_saveexec_b64 s[4:5], vcc
	s_cbranch_execz .LBB192_27
; %bb.10:
	v_and_b32_e32 v4, 63, v0
	v_subrev_co_u32_e32 v13, vcc, s69, v4
	s_mov_b32 s8, 0
	v_subb_co_u32_e64 v14, s[6:7], 0, 0, vcc
	s_mov_b32 s36, s69
	s_mov_b64 s[6:7], 0
	v_mov_b32_e32 v15, s11
	v_mov_b32_e32 v16, s15
	;; [unrolled: 1-line block ×3, first 2 shown]
	s_movk_i32 s11, 0x89
	s_branch .LBB192_12
.LBB192_11:                             ;   in Loop: Header=BB192_12 Depth=1
	s_or_b64 exec, exec, s[8:9]
	v_add_co_u32_e32 v2, vcc, 16, v2
	v_addc_co_u32_e32 v3, vcc, 0, v3, vcc
	v_cmp_le_i64_e32 vcc, s[2:3], v[2:3]
	s_or_b64 s[6:7], vcc, s[6:7]
	s_andn2_b64 exec, exec, s[6:7]
	s_cbranch_execz .LBB192_27
.LBB192_12:                             ; =>This Loop Header: Depth=1
                                        ;     Child Loop BB192_15 Depth 2
                                        ;       Child Loop BB192_17 Depth 3
	v_lshlrev_b64 v[8:9], 2, v[2:3]
	v_add_co_u32_e32 v4, vcc, s10, v8
	v_addc_co_u32_e32 v5, vcc, v15, v9, vcc
	global_load_dword v4, v[4:5], off
	s_waitcnt vmcnt(0)
	v_subrev_u32_e32 v4, s68, v4
	v_ashrrev_i32_e32 v5, 31, v4
	v_lshlrev_b64 v[4:5], 3, v[4:5]
	v_add_co_u32_e32 v4, vcc, s14, v4
	v_addc_co_u32_e32 v5, vcc, v16, v5, vcc
	global_load_dwordx4 v[18:21], v[4:5], off
	s_waitcnt vmcnt(0)
	v_subrev_co_u32_e32 v4, vcc, s36, v20
	v_subb_co_u32_e32 v5, vcc, v21, v17, vcc
	v_add_co_u32_e32 v6, vcc, v18, v13
	v_addc_co_u32_e32 v7, vcc, v19, v14, vcc
	v_cmp_lt_i64_e32 vcc, v[6:7], v[4:5]
	s_and_saveexec_b64 s[8:9], vcc
	s_cbranch_execz .LBB192_11
; %bb.13:                               ;   in Loop: Header=BB192_12 Depth=1
	v_mov_b32_e32 v18, s13
	v_add_co_u32_e32 v8, vcc, s12, v8
	v_addc_co_u32_e32 v9, vcc, v18, v9, vcc
	global_load_dword v8, v[8:9], off
	s_mov_b64 s[20:21], 0
	s_waitcnt vmcnt(0)
	v_mul_f32_e32 v8, v12, v8
	s_branch .LBB192_15
.LBB192_14:                             ;   in Loop: Header=BB192_15 Depth=2
	s_or_b64 exec, exec, s[22:23]
	v_add_co_u32_e32 v6, vcc, 64, v6
	v_addc_co_u32_e32 v7, vcc, 0, v7, vcc
	v_cmp_ge_i64_e32 vcc, v[6:7], v[4:5]
	s_or_b64 s[20:21], vcc, s[20:21]
	s_andn2_b64 exec, exec, s[20:21]
	s_cbranch_execz .LBB192_11
.LBB192_15:                             ;   Parent Loop BB192_12 Depth=1
                                        ; =>  This Loop Header: Depth=2
                                        ;       Child Loop BB192_17 Depth 3
	v_lshlrev_b64 v[18:19], 2, v[6:7]
	v_mov_b32_e32 v9, s17
	v_add_co_u32_e32 v20, vcc, s16, v18
	v_addc_co_u32_e32 v21, vcc, v9, v19, vcc
	global_load_dword v9, v[20:21], off
	v_mov_b32_e32 v20, s19
	v_add_co_u32_e32 v18, vcc, s18, v18
	v_addc_co_u32_e32 v19, vcc, v20, v19, vcc
	global_load_dword v18, v[18:19], off
	s_mov_b64 s[22:23], 0
	s_waitcnt vmcnt(1)
	v_subrev_u32_e32 v9, s69, v9
	v_mul_lo_u32 v19, v9, s11
	v_and_b32_e32 v19, 0x7fff, v19
	s_waitcnt vmcnt(0)
	v_mul_f32_e32 v18, v8, v18
	s_branch .LBB192_17
.LBB192_16:                             ;   in Loop: Header=BB192_17 Depth=3
	s_or_b64 exec, exec, s[24:25]
	s_xor_b64 s[24:25], s[26:27], -1
	s_and_b64 s[24:25], exec, s[24:25]
	s_or_b64 s[22:23], s[24:25], s[22:23]
	s_andn2_b64 exec, exec, s[22:23]
	s_cbranch_execz .LBB192_14
.LBB192_17:                             ;   Parent Loop BB192_12 Depth=1
                                        ;     Parent Loop BB192_15 Depth=2
                                        ; =>    This Inner Loop Header: Depth=3
	v_lshl_add_u32 v20, v19, 2, 0
	ds_read_b32 v21, v20
                                        ; implicit-def: $sgpr26_sgpr27
	s_waitcnt lgkmcnt(0)
	v_cmp_ne_u32_e32 vcc, v21, v9
	s_and_saveexec_b64 s[24:25], vcc
	s_xor_b64 s[24:25], exec, s[24:25]
	s_cbranch_execz .LBB192_25
; %bb.18:                               ;   in Loop: Header=BB192_17 Depth=3
	v_cmp_ne_u32_e32 vcc, s33, v21
                                        ; implicit-def: $sgpr26_sgpr27
	s_and_saveexec_b64 s[28:29], vcc
	s_xor_b64 s[28:29], exec, s[28:29]
; %bb.19:                               ;   in Loop: Header=BB192_17 Depth=3
	v_add_u32_e32 v19, 1, v19
	v_and_b32_e32 v19, 0x7fff, v19
	s_mov_b64 s[26:27], -1
                                        ; implicit-def: $vgpr20
; %bb.20:                               ;   in Loop: Header=BB192_17 Depth=3
	s_andn2_saveexec_b64 s[28:29], s[28:29]
	s_cbranch_execz .LBB192_24
; %bb.21:                               ;   in Loop: Header=BB192_17 Depth=3
	v_mov_b32_e32 v21, s33
	ds_cmpst_rtn_b32 v21, v20, v21, v9
	s_mov_b64 s[30:31], -1
	s_waitcnt lgkmcnt(0)
	v_cmp_eq_u32_e32 vcc, s33, v21
	s_and_saveexec_b64 s[34:35], vcc
	s_cbranch_execz .LBB192_23
; %bb.22:                               ;   in Loop: Header=BB192_17 Depth=3
	v_add_u32_e32 v20, 0x20000, v20
	ds_add_f32 v20, v18
	s_xor_b64 s[30:31], exec, -1
.LBB192_23:                             ;   in Loop: Header=BB192_17 Depth=3
	s_or_b64 exec, exec, s[34:35]
	s_andn2_b64 s[26:27], s[26:27], exec
	s_and_b64 s[30:31], s[30:31], exec
	s_or_b64 s[26:27], s[26:27], s[30:31]
.LBB192_24:                             ;   in Loop: Header=BB192_17 Depth=3
	s_or_b64 exec, exec, s[28:29]
	s_and_b64 s[26:27], s[26:27], exec
                                        ; implicit-def: $vgpr20
.LBB192_25:                             ;   in Loop: Header=BB192_17 Depth=3
	s_andn2_saveexec_b64 s[24:25], s[24:25]
	s_cbranch_execz .LBB192_16
; %bb.26:                               ;   in Loop: Header=BB192_17 Depth=3
	v_add_u32_e32 v20, 0x20000, v20
	ds_add_f32 v20, v18
	s_andn2_b64 s[26:27], s[26:27], exec
	s_branch .LBB192_16
.LBB192_27:
	s_or_b64 exec, exec, s[4:5]
.LBB192_28:
	s_andn2_b64 vcc, exec, s[0:1]
	s_cbranch_vccnz .LBB192_45
; %bb.29:
	v_readlane_b32 s0, v22, 12
	v_readlane_b32 s1, v22, 13
	s_mov_b32 s2, s0
	s_ashr_i32 s3, s0, 31
	v_writelane_b32 v22, s0, 12
	v_writelane_b32 v22, s1, 13
	s_lshl_b64 s[0:1], s[2:3], 3
	v_readlane_b32 s4, v22, 4
	v_readlane_b32 s5, v22, 5
	s_add_u32 s0, s4, s0
	v_readlane_b32 s6, v22, 6
	v_readlane_b32 s7, v22, 7
	s_addc_u32 s1, s5, s1
	s_load_dwordx4 s[4:7], s[0:1], 0x0
	v_subrev_co_u32_e32 v2, vcc, s71, v0
	v_subb_co_u32_e64 v3, s[0:1], 0, 0, vcc
	s_waitcnt lgkmcnt(0)
	s_sub_u32 s0, s6, s71
	v_mov_b32_e32 v4, s5
	v_add_co_u32_e32 v2, vcc, s4, v2
	s_subb_u32 s1, s7, 0
	v_addc_co_u32_e32 v3, vcc, v4, v3, vcc
	v_cmp_gt_i64_e32 vcc, s[0:1], v[2:3]
	v_readlane_b32 s8, v22, 8
	v_readlane_b32 s9, v22, 9
	;; [unrolled: 1-line block ×4, first 2 shown]
	s_and_saveexec_b64 s[2:3], vcc
	s_cbranch_execz .LBB192_44
; %bb.30:
	v_readlane_b32 s8, v22, 4
	v_readlane_b32 s9, v22, 5
	;; [unrolled: 1-line block ×8, first 2 shown]
	s_mov_b64 s[6:7], s[10:11]
	s_mov_b64 s[8:9], s[12:13]
	;; [unrolled: 1-line block ×3, first 2 shown]
	v_mov_b32_e32 v4, s7
	v_mov_b32_e32 v5, s9
	s_movk_i32 s18, 0x89
	s_mov_b64 s[10:11], s[14:15]
	s_branch .LBB192_32
.LBB192_31:                             ;   in Loop: Header=BB192_32 Depth=1
	s_or_b64 exec, exec, s[6:7]
	v_add_co_u32_e32 v2, vcc, 0x400, v2
	v_addc_co_u32_e32 v3, vcc, 0, v3, vcc
	v_cmp_le_i64_e32 vcc, s[0:1], v[2:3]
	s_or_b64 s[4:5], vcc, s[4:5]
	s_andn2_b64 exec, exec, s[4:5]
	s_cbranch_execz .LBB192_44
.LBB192_32:                             ; =>This Loop Header: Depth=1
                                        ;     Child Loop BB192_34 Depth 2
	v_readlane_b32 s8, v22, 4
	v_readlane_b32 s10, v22, 6
	v_lshlrev_b64 v[6:7], 2, v[2:3]
	s_mov_b32 s6, s10
	v_readlane_b32 s12, v22, 8
	v_add_co_u32_e32 v8, vcc, s6, v6
	s_mov_b32 s8, s12
	v_addc_co_u32_e32 v9, vcc, v4, v7, vcc
	global_load_dword v8, v[8:9], off
	v_add_co_u32_e32 v6, vcc, s8, v6
	v_addc_co_u32_e32 v7, vcc, v5, v7, vcc
	global_load_dword v7, v[6:7], off
	s_mov_b64 s[6:7], 0
	v_readlane_b32 s9, v22, 5
	v_readlane_b32 s11, v22, 7
	;; [unrolled: 1-line block ×5, first 2 shown]
	s_waitcnt vmcnt(1)
	v_subrev_u32_e32 v6, s71, v8
	v_mul_lo_u32 v8, v6, s18
	v_and_b32_e32 v8, 0x7fff, v8
	s_waitcnt vmcnt(0)
	v_mul_f32_e32 v7, v11, v7
	s_branch .LBB192_34
.LBB192_33:                             ;   in Loop: Header=BB192_34 Depth=2
	s_or_b64 exec, exec, s[8:9]
	s_xor_b64 s[8:9], s[10:11], -1
	s_and_b64 s[8:9], exec, s[8:9]
	s_or_b64 s[6:7], s[8:9], s[6:7]
	s_andn2_b64 exec, exec, s[6:7]
	s_cbranch_execz .LBB192_31
.LBB192_34:                             ;   Parent Loop BB192_32 Depth=1
                                        ; =>  This Inner Loop Header: Depth=2
	v_lshl_add_u32 v9, v8, 2, 0
	ds_read_b32 v12, v9
                                        ; implicit-def: $sgpr10_sgpr11
	s_waitcnt lgkmcnt(0)
	v_cmp_ne_u32_e32 vcc, v12, v6
	s_and_saveexec_b64 s[8:9], vcc
	s_xor_b64 s[8:9], exec, s[8:9]
	s_cbranch_execz .LBB192_42
; %bb.35:                               ;   in Loop: Header=BB192_34 Depth=2
	v_cmp_ne_u32_e32 vcc, s33, v12
                                        ; implicit-def: $sgpr10_sgpr11
	s_and_saveexec_b64 s[12:13], vcc
	s_xor_b64 s[12:13], exec, s[12:13]
; %bb.36:                               ;   in Loop: Header=BB192_34 Depth=2
	v_add_u32_e32 v8, 1, v8
	v_and_b32_e32 v8, 0x7fff, v8
	s_mov_b64 s[10:11], -1
                                        ; implicit-def: $vgpr9
; %bb.37:                               ;   in Loop: Header=BB192_34 Depth=2
	s_andn2_saveexec_b64 s[12:13], s[12:13]
	s_cbranch_execz .LBB192_41
; %bb.38:                               ;   in Loop: Header=BB192_34 Depth=2
	v_mov_b32_e32 v12, s33
	ds_cmpst_rtn_b32 v12, v9, v12, v6
	s_mov_b64 s[14:15], -1
	s_waitcnt lgkmcnt(0)
	v_cmp_eq_u32_e32 vcc, s33, v12
	s_and_saveexec_b64 s[16:17], vcc
	s_cbranch_execz .LBB192_40
; %bb.39:                               ;   in Loop: Header=BB192_34 Depth=2
	v_add_u32_e32 v9, 0x20000, v9
	ds_add_f32 v9, v7
	s_xor_b64 s[14:15], exec, -1
.LBB192_40:                             ;   in Loop: Header=BB192_34 Depth=2
	s_or_b64 exec, exec, s[16:17]
	s_andn2_b64 s[10:11], s[10:11], exec
	s_and_b64 s[14:15], s[14:15], exec
	s_or_b64 s[10:11], s[10:11], s[14:15]
.LBB192_41:                             ;   in Loop: Header=BB192_34 Depth=2
	s_or_b64 exec, exec, s[12:13]
	s_and_b64 s[10:11], s[10:11], exec
                                        ; implicit-def: $vgpr9
.LBB192_42:                             ;   in Loop: Header=BB192_34 Depth=2
	s_andn2_saveexec_b64 s[8:9], s[8:9]
	s_cbranch_execz .LBB192_33
; %bb.43:                               ;   in Loop: Header=BB192_34 Depth=2
	v_add_u32_e32 v9, 0x20000, v9
	ds_add_f32 v9, v7
	s_andn2_b64 s[10:11], s[10:11], exec
	s_branch .LBB192_33
.LBB192_44:
	s_or_b64 exec, exec, s[2:3]
.LBB192_45:
	s_add_i32 s0, 0, 0x40000
	v_writelane_b32 v22, s0, 14
	s_add_i32 s60, 0, 0x40004
	v_writelane_b32 v22, s60, 15
	;; [unrolled: 2-line block ×5, first 2 shown]
	s_add_i32 s60, 0, 0x40014
	v_lshrrev_b32_e32 v5, 3, v0
	v_writelane_b32 v22, s60, 19
	s_add_i32 s60, 0, 0x40018
	v_mbcnt_lo_u32_b32 v2, -1, 0
	v_and_b32_e32 v5, 0x7c, v5
	v_writelane_b32 v22, s60, 20
	s_add_i32 s60, 0, 0x4001c
	v_mbcnt_hi_u32_b32 v2, -1, v2
	v_add_u32_e32 v5, s0, v5
	s_movk_i32 s0, 0x3ff
	v_writelane_b32 v22, s60, 21
	s_add_i32 s60, 0, 0x40020
	v_sub_u32_e32 v2, 63, v2
	v_cmp_eq_u32_e32 vcc, s0, v0
	s_movk_i32 s0, 0x5f
	s_movk_i32 s2, 0x7f
	;; [unrolled: 1-line block ×29, first 2 shown]
	v_writelane_b32 v22, s60, 22
	s_add_i32 s60, 0, 0x40024
	v_mov_b32_e32 v4, 0
	v_lshrrev_b64 v[2:3], v2, -1
	v_cmp_lt_u32_e64 s[0:1], s0, v0
	v_cmp_lt_u32_e64 s[2:3], s2, v0
	;; [unrolled: 1-line block ×29, first 2 shown]
	v_writelane_b32 v22, s60, 23
	s_add_i32 s88, 0, 0x40028
	s_add_i32 s89, 0, 0x4002c
	;; [unrolled: 1-line block ×22, first 2 shown]
	s_movk_i32 s85, 0x7bff
	v_cmp_lt_u32_e64 s[60:61], 31, v0
	v_cmp_lt_u32_e64 s[62:63], 63, v0
	s_mov_b64 s[68:69], 0
	s_waitcnt lgkmcnt(0)
	s_barrier
	s_branch .LBB192_47
.LBB192_46:                             ;   in Loop: Header=BB192_47 Depth=1
	s_or_b64 exec, exec, s[64:65]
	v_mov_b32_e32 v6, s84
	s_waitcnt lgkmcnt(0)
	s_barrier
	ds_read_b32 v6, v6
	v_add_u32_e32 v1, 0x400, v1
	v_cmp_lt_u32_e64 s[64:65], s85, v1
	s_or_b64 s[68:69], s[64:65], s[68:69]
	v_add_u32_e32 v10, 0x1000, v10
	s_waitcnt lgkmcnt(0)
	v_add_u32_e32 v4, v6, v4
	s_andn2_b64 exec, exec, s[68:69]
	s_cbranch_execz .LBB192_113
.LBB192_47:                             ; =>This Inner Loop Header: Depth=1
	ds_read_b32 v7, v10
	v_add_u32_e32 v6, 0x20000, v10
	ds_read_b32 v8, v6
	s_waitcnt lgkmcnt(0)
	s_barrier
	v_cmp_gt_i32_e64 s[64:65], s33, v7
	v_and_b32_e32 v9, s64, v2
	s_bcnt1_i32_b64 s78, s[64:65]
	v_and_b32_e32 v6, s65, v3
	v_bcnt_u32_b32 v9, v9, 0
	v_bcnt_u32_b32 v6, v6, v9
	v_mov_b32_e32 v9, s78
	ds_write_b32 v5, v9
	s_waitcnt lgkmcnt(0)
	s_barrier
	s_and_saveexec_b64 s[78:79], s[60:61]
	s_cbranch_execnz .LBB192_80
; %bb.48:                               ;   in Loop: Header=BB192_47 Depth=1
	s_or_b64 exec, exec, s[78:79]
	s_and_saveexec_b64 s[78:79], s[62:63]
	s_cbranch_execnz .LBB192_81
.LBB192_49:                             ;   in Loop: Header=BB192_47 Depth=1
	s_or_b64 exec, exec, s[78:79]
	s_and_saveexec_b64 s[78:79], s[0:1]
	s_cbranch_execnz .LBB192_82
.LBB192_50:                             ;   in Loop: Header=BB192_47 Depth=1
	s_or_b64 exec, exec, s[78:79]
	s_and_saveexec_b64 s[78:79], s[2:3]
	s_cbranch_execnz .LBB192_83
.LBB192_51:                             ;   in Loop: Header=BB192_47 Depth=1
	s_or_b64 exec, exec, s[78:79]
	s_and_saveexec_b64 s[78:79], s[4:5]
	s_cbranch_execnz .LBB192_84
.LBB192_52:                             ;   in Loop: Header=BB192_47 Depth=1
	s_or_b64 exec, exec, s[78:79]
	s_and_saveexec_b64 s[78:79], s[6:7]
	s_cbranch_execnz .LBB192_85
.LBB192_53:                             ;   in Loop: Header=BB192_47 Depth=1
	s_or_b64 exec, exec, s[78:79]
	s_and_saveexec_b64 s[78:79], s[8:9]
	s_cbranch_execnz .LBB192_86
.LBB192_54:                             ;   in Loop: Header=BB192_47 Depth=1
	s_or_b64 exec, exec, s[78:79]
	s_and_saveexec_b64 s[78:79], s[10:11]
	s_cbranch_execnz .LBB192_87
.LBB192_55:                             ;   in Loop: Header=BB192_47 Depth=1
	s_or_b64 exec, exec, s[78:79]
	s_and_saveexec_b64 s[78:79], s[12:13]
	s_cbranch_execnz .LBB192_88
.LBB192_56:                             ;   in Loop: Header=BB192_47 Depth=1
	s_or_b64 exec, exec, s[78:79]
	s_and_saveexec_b64 s[78:79], s[14:15]
	s_cbranch_execnz .LBB192_89
.LBB192_57:                             ;   in Loop: Header=BB192_47 Depth=1
	s_or_b64 exec, exec, s[78:79]
	s_and_saveexec_b64 s[78:79], s[16:17]
	s_cbranch_execnz .LBB192_90
.LBB192_58:                             ;   in Loop: Header=BB192_47 Depth=1
	s_or_b64 exec, exec, s[78:79]
	s_and_saveexec_b64 s[78:79], s[18:19]
	s_cbranch_execnz .LBB192_91
.LBB192_59:                             ;   in Loop: Header=BB192_47 Depth=1
	s_or_b64 exec, exec, s[78:79]
	s_and_saveexec_b64 s[78:79], s[20:21]
	s_cbranch_execnz .LBB192_92
.LBB192_60:                             ;   in Loop: Header=BB192_47 Depth=1
	s_or_b64 exec, exec, s[78:79]
	s_and_saveexec_b64 s[78:79], s[22:23]
	s_cbranch_execnz .LBB192_93
.LBB192_61:                             ;   in Loop: Header=BB192_47 Depth=1
	s_or_b64 exec, exec, s[78:79]
	s_and_saveexec_b64 s[78:79], s[24:25]
	s_cbranch_execnz .LBB192_94
.LBB192_62:                             ;   in Loop: Header=BB192_47 Depth=1
	s_or_b64 exec, exec, s[78:79]
	s_and_saveexec_b64 s[78:79], s[26:27]
	s_cbranch_execnz .LBB192_95
.LBB192_63:                             ;   in Loop: Header=BB192_47 Depth=1
	s_or_b64 exec, exec, s[78:79]
	s_and_saveexec_b64 s[78:79], s[28:29]
	s_cbranch_execnz .LBB192_96
.LBB192_64:                             ;   in Loop: Header=BB192_47 Depth=1
	s_or_b64 exec, exec, s[78:79]
	s_and_saveexec_b64 s[78:79], s[30:31]
	s_cbranch_execnz .LBB192_97
.LBB192_65:                             ;   in Loop: Header=BB192_47 Depth=1
	s_or_b64 exec, exec, s[78:79]
	s_and_saveexec_b64 s[78:79], s[34:35]
	s_cbranch_execnz .LBB192_98
.LBB192_66:                             ;   in Loop: Header=BB192_47 Depth=1
	s_or_b64 exec, exec, s[78:79]
	s_and_saveexec_b64 s[78:79], s[36:37]
	s_cbranch_execnz .LBB192_99
.LBB192_67:                             ;   in Loop: Header=BB192_47 Depth=1
	s_or_b64 exec, exec, s[78:79]
	s_and_saveexec_b64 s[78:79], s[38:39]
	s_cbranch_execnz .LBB192_100
.LBB192_68:                             ;   in Loop: Header=BB192_47 Depth=1
	s_or_b64 exec, exec, s[78:79]
	s_and_saveexec_b64 s[78:79], s[40:41]
	s_cbranch_execnz .LBB192_101
.LBB192_69:                             ;   in Loop: Header=BB192_47 Depth=1
	s_or_b64 exec, exec, s[78:79]
	s_and_saveexec_b64 s[78:79], s[42:43]
	s_cbranch_execnz .LBB192_102
.LBB192_70:                             ;   in Loop: Header=BB192_47 Depth=1
	s_or_b64 exec, exec, s[78:79]
	s_and_saveexec_b64 s[78:79], s[44:45]
	s_cbranch_execnz .LBB192_103
.LBB192_71:                             ;   in Loop: Header=BB192_47 Depth=1
	s_or_b64 exec, exec, s[78:79]
	s_and_saveexec_b64 s[78:79], s[46:47]
	s_cbranch_execnz .LBB192_104
.LBB192_72:                             ;   in Loop: Header=BB192_47 Depth=1
	s_or_b64 exec, exec, s[78:79]
	s_and_saveexec_b64 s[78:79], s[48:49]
	s_cbranch_execnz .LBB192_105
.LBB192_73:                             ;   in Loop: Header=BB192_47 Depth=1
	s_or_b64 exec, exec, s[78:79]
	s_and_saveexec_b64 s[78:79], s[50:51]
	s_cbranch_execnz .LBB192_106
.LBB192_74:                             ;   in Loop: Header=BB192_47 Depth=1
	s_or_b64 exec, exec, s[78:79]
	s_and_saveexec_b64 s[78:79], s[52:53]
	s_cbranch_execnz .LBB192_107
.LBB192_75:                             ;   in Loop: Header=BB192_47 Depth=1
	s_or_b64 exec, exec, s[78:79]
	s_and_saveexec_b64 s[78:79], s[54:55]
	s_cbranch_execnz .LBB192_108
.LBB192_76:                             ;   in Loop: Header=BB192_47 Depth=1
	s_or_b64 exec, exec, s[78:79]
	s_and_saveexec_b64 s[78:79], s[56:57]
	s_cbranch_execnz .LBB192_109
.LBB192_77:                             ;   in Loop: Header=BB192_47 Depth=1
	s_or_b64 exec, exec, s[78:79]
	s_and_saveexec_b64 s[78:79], s[58:59]
	s_cbranch_execnz .LBB192_110
.LBB192_78:                             ;   in Loop: Header=BB192_47 Depth=1
	s_or_b64 exec, exec, s[78:79]
	s_and_saveexec_b64 s[78:79], s[64:65]
	s_cbranch_execnz .LBB192_111
.LBB192_79:                             ;   in Loop: Header=BB192_47 Depth=1
	s_or_b64 exec, exec, s[78:79]
	s_and_saveexec_b64 s[64:65], vcc
	s_cbranch_execz .LBB192_46
	s_branch .LBB192_112
.LBB192_80:                             ;   in Loop: Header=BB192_47 Depth=1
	v_readlane_b32 s86, v22, 14
	v_mov_b32_e32 v9, s86
	ds_read_b32 v9, v9
	s_waitcnt lgkmcnt(0)
	v_add_u32_e32 v6, v9, v6
	s_or_b64 exec, exec, s[78:79]
	s_and_saveexec_b64 s[78:79], s[62:63]
	s_cbranch_execz .LBB192_49
.LBB192_81:                             ;   in Loop: Header=BB192_47 Depth=1
	v_readlane_b32 s86, v22, 15
	v_mov_b32_e32 v9, s86
	ds_read_b32 v9, v9
	s_waitcnt lgkmcnt(0)
	v_add_u32_e32 v6, v9, v6
	s_or_b64 exec, exec, s[78:79]
	s_and_saveexec_b64 s[78:79], s[0:1]
	s_cbranch_execz .LBB192_50
.LBB192_82:                             ;   in Loop: Header=BB192_47 Depth=1
	v_readlane_b32 s86, v22, 16
	v_mov_b32_e32 v9, s86
	ds_read_b32 v9, v9
	s_waitcnt lgkmcnt(0)
	v_add_u32_e32 v6, v9, v6
	s_or_b64 exec, exec, s[78:79]
	s_and_saveexec_b64 s[78:79], s[2:3]
	s_cbranch_execz .LBB192_51
.LBB192_83:                             ;   in Loop: Header=BB192_47 Depth=1
	v_readlane_b32 s86, v22, 17
	v_mov_b32_e32 v9, s86
	ds_read_b32 v9, v9
	s_waitcnt lgkmcnt(0)
	v_add_u32_e32 v6, v9, v6
	s_or_b64 exec, exec, s[78:79]
	s_and_saveexec_b64 s[78:79], s[4:5]
	s_cbranch_execz .LBB192_52
.LBB192_84:                             ;   in Loop: Header=BB192_47 Depth=1
	v_readlane_b32 s86, v22, 18
	v_mov_b32_e32 v9, s86
	ds_read_b32 v9, v9
	s_waitcnt lgkmcnt(0)
	v_add_u32_e32 v6, v9, v6
	s_or_b64 exec, exec, s[78:79]
	s_and_saveexec_b64 s[78:79], s[6:7]
	s_cbranch_execz .LBB192_53
.LBB192_85:                             ;   in Loop: Header=BB192_47 Depth=1
	v_readlane_b32 s86, v22, 19
	v_mov_b32_e32 v9, s86
	ds_read_b32 v9, v9
	s_waitcnt lgkmcnt(0)
	v_add_u32_e32 v6, v9, v6
	s_or_b64 exec, exec, s[78:79]
	s_and_saveexec_b64 s[78:79], s[8:9]
	s_cbranch_execz .LBB192_54
.LBB192_86:                             ;   in Loop: Header=BB192_47 Depth=1
	v_readlane_b32 s86, v22, 20
	v_mov_b32_e32 v9, s86
	ds_read_b32 v9, v9
	s_waitcnt lgkmcnt(0)
	v_add_u32_e32 v6, v9, v6
	s_or_b64 exec, exec, s[78:79]
	s_and_saveexec_b64 s[78:79], s[10:11]
	s_cbranch_execz .LBB192_55
.LBB192_87:                             ;   in Loop: Header=BB192_47 Depth=1
	v_readlane_b32 s86, v22, 21
	v_mov_b32_e32 v9, s86
	ds_read_b32 v9, v9
	s_waitcnt lgkmcnt(0)
	v_add_u32_e32 v6, v9, v6
	s_or_b64 exec, exec, s[78:79]
	s_and_saveexec_b64 s[78:79], s[12:13]
	s_cbranch_execz .LBB192_56
.LBB192_88:                             ;   in Loop: Header=BB192_47 Depth=1
	v_readlane_b32 s86, v22, 22
	v_mov_b32_e32 v9, s86
	ds_read_b32 v9, v9
	s_waitcnt lgkmcnt(0)
	v_add_u32_e32 v6, v9, v6
	s_or_b64 exec, exec, s[78:79]
	s_and_saveexec_b64 s[78:79], s[14:15]
	s_cbranch_execz .LBB192_57
.LBB192_89:                             ;   in Loop: Header=BB192_47 Depth=1
	v_readlane_b32 s86, v22, 23
	v_mov_b32_e32 v9, s86
	ds_read_b32 v9, v9
	s_waitcnt lgkmcnt(0)
	v_add_u32_e32 v6, v9, v6
	s_or_b64 exec, exec, s[78:79]
	s_and_saveexec_b64 s[78:79], s[16:17]
	s_cbranch_execz .LBB192_58
.LBB192_90:                             ;   in Loop: Header=BB192_47 Depth=1
	v_mov_b32_e32 v9, s88
	ds_read_b32 v9, v9
	s_waitcnt lgkmcnt(0)
	v_add_u32_e32 v6, v9, v6
	s_or_b64 exec, exec, s[78:79]
	s_and_saveexec_b64 s[78:79], s[18:19]
	s_cbranch_execz .LBB192_59
.LBB192_91:                             ;   in Loop: Header=BB192_47 Depth=1
	v_mov_b32_e32 v9, s89
	ds_read_b32 v9, v9
	s_waitcnt lgkmcnt(0)
	v_add_u32_e32 v6, v9, v6
	s_or_b64 exec, exec, s[78:79]
	s_and_saveexec_b64 s[78:79], s[20:21]
	s_cbranch_execz .LBB192_60
.LBB192_92:                             ;   in Loop: Header=BB192_47 Depth=1
	v_mov_b32_e32 v9, s90
	ds_read_b32 v9, v9
	s_waitcnt lgkmcnt(0)
	v_add_u32_e32 v6, v9, v6
	s_or_b64 exec, exec, s[78:79]
	s_and_saveexec_b64 s[78:79], s[22:23]
	s_cbranch_execz .LBB192_61
.LBB192_93:                             ;   in Loop: Header=BB192_47 Depth=1
	v_mov_b32_e32 v9, s91
	ds_read_b32 v9, v9
	s_waitcnt lgkmcnt(0)
	v_add_u32_e32 v6, v9, v6
	s_or_b64 exec, exec, s[78:79]
	s_and_saveexec_b64 s[78:79], s[24:25]
	s_cbranch_execz .LBB192_62
.LBB192_94:                             ;   in Loop: Header=BB192_47 Depth=1
	v_mov_b32_e32 v9, s92
	ds_read_b32 v9, v9
	s_waitcnt lgkmcnt(0)
	v_add_u32_e32 v6, v9, v6
	s_or_b64 exec, exec, s[78:79]
	s_and_saveexec_b64 s[78:79], s[26:27]
	s_cbranch_execz .LBB192_63
.LBB192_95:                             ;   in Loop: Header=BB192_47 Depth=1
	v_mov_b32_e32 v9, s93
	ds_read_b32 v9, v9
	s_waitcnt lgkmcnt(0)
	v_add_u32_e32 v6, v9, v6
	s_or_b64 exec, exec, s[78:79]
	s_and_saveexec_b64 s[78:79], s[28:29]
	s_cbranch_execz .LBB192_64
.LBB192_96:                             ;   in Loop: Header=BB192_47 Depth=1
	v_mov_b32_e32 v9, s94
	ds_read_b32 v9, v9
	s_waitcnt lgkmcnt(0)
	v_add_u32_e32 v6, v9, v6
	s_or_b64 exec, exec, s[78:79]
	s_and_saveexec_b64 s[78:79], s[30:31]
	s_cbranch_execz .LBB192_65
.LBB192_97:                             ;   in Loop: Header=BB192_47 Depth=1
	v_mov_b32_e32 v9, s95
	ds_read_b32 v9, v9
	s_waitcnt lgkmcnt(0)
	v_add_u32_e32 v6, v9, v6
	s_or_b64 exec, exec, s[78:79]
	s_and_saveexec_b64 s[78:79], s[34:35]
	s_cbranch_execz .LBB192_66
.LBB192_98:                             ;   in Loop: Header=BB192_47 Depth=1
	v_mov_b32_e32 v9, s76
	ds_read_b32 v9, v9
	s_waitcnt lgkmcnt(0)
	v_add_u32_e32 v6, v9, v6
	s_or_b64 exec, exec, s[78:79]
	s_and_saveexec_b64 s[78:79], s[36:37]
	s_cbranch_execz .LBB192_67
.LBB192_99:                             ;   in Loop: Header=BB192_47 Depth=1
	v_mov_b32_e32 v9, s66
	ds_read_b32 v9, v9
	s_waitcnt lgkmcnt(0)
	v_add_u32_e32 v6, v9, v6
	s_or_b64 exec, exec, s[78:79]
	s_and_saveexec_b64 s[78:79], s[38:39]
	s_cbranch_execz .LBB192_68
.LBB192_100:                            ;   in Loop: Header=BB192_47 Depth=1
	v_mov_b32_e32 v9, s67
	ds_read_b32 v9, v9
	s_waitcnt lgkmcnt(0)
	v_add_u32_e32 v6, v9, v6
	s_or_b64 exec, exec, s[78:79]
	s_and_saveexec_b64 s[78:79], s[40:41]
	s_cbranch_execz .LBB192_69
.LBB192_101:                            ;   in Loop: Header=BB192_47 Depth=1
	v_mov_b32_e32 v9, s72
	ds_read_b32 v9, v9
	s_waitcnt lgkmcnt(0)
	v_add_u32_e32 v6, v9, v6
	s_or_b64 exec, exec, s[78:79]
	s_and_saveexec_b64 s[78:79], s[42:43]
	s_cbranch_execz .LBB192_70
.LBB192_102:                            ;   in Loop: Header=BB192_47 Depth=1
	v_mov_b32_e32 v9, s73
	ds_read_b32 v9, v9
	s_waitcnt lgkmcnt(0)
	v_add_u32_e32 v6, v9, v6
	s_or_b64 exec, exec, s[78:79]
	s_and_saveexec_b64 s[78:79], s[44:45]
	s_cbranch_execz .LBB192_71
.LBB192_103:                            ;   in Loop: Header=BB192_47 Depth=1
	v_mov_b32_e32 v9, s74
	ds_read_b32 v9, v9
	s_waitcnt lgkmcnt(0)
	v_add_u32_e32 v6, v9, v6
	s_or_b64 exec, exec, s[78:79]
	s_and_saveexec_b64 s[78:79], s[46:47]
	s_cbranch_execz .LBB192_72
.LBB192_104:                            ;   in Loop: Header=BB192_47 Depth=1
	v_mov_b32_e32 v9, s75
	ds_read_b32 v9, v9
	s_waitcnt lgkmcnt(0)
	v_add_u32_e32 v6, v9, v6
	s_or_b64 exec, exec, s[78:79]
	s_and_saveexec_b64 s[78:79], s[48:49]
	s_cbranch_execz .LBB192_73
.LBB192_105:                            ;   in Loop: Header=BB192_47 Depth=1
	v_mov_b32_e32 v9, s71
	ds_read_b32 v9, v9
	s_waitcnt lgkmcnt(0)
	v_add_u32_e32 v6, v9, v6
	s_or_b64 exec, exec, s[78:79]
	s_and_saveexec_b64 s[78:79], s[50:51]
	s_cbranch_execz .LBB192_74
.LBB192_106:                            ;   in Loop: Header=BB192_47 Depth=1
	v_mov_b32_e32 v9, s77
	ds_read_b32 v9, v9
	s_waitcnt lgkmcnt(0)
	v_add_u32_e32 v6, v9, v6
	s_or_b64 exec, exec, s[78:79]
	s_and_saveexec_b64 s[78:79], s[52:53]
	s_cbranch_execz .LBB192_75
.LBB192_107:                            ;   in Loop: Header=BB192_47 Depth=1
	v_mov_b32_e32 v9, s80
	ds_read_b32 v9, v9
	s_waitcnt lgkmcnt(0)
	v_add_u32_e32 v6, v9, v6
	s_or_b64 exec, exec, s[78:79]
	s_and_saveexec_b64 s[78:79], s[54:55]
	s_cbranch_execz .LBB192_76
.LBB192_108:                            ;   in Loop: Header=BB192_47 Depth=1
	v_mov_b32_e32 v9, s81
	ds_read_b32 v9, v9
	s_waitcnt lgkmcnt(0)
	v_add_u32_e32 v6, v9, v6
	s_or_b64 exec, exec, s[78:79]
	s_and_saveexec_b64 s[78:79], s[56:57]
	s_cbranch_execz .LBB192_77
.LBB192_109:                            ;   in Loop: Header=BB192_47 Depth=1
	v_mov_b32_e32 v9, s82
	ds_read_b32 v9, v9
	s_waitcnt lgkmcnt(0)
	v_add_u32_e32 v6, v9, v6
	s_or_b64 exec, exec, s[78:79]
	s_and_saveexec_b64 s[78:79], s[58:59]
	s_cbranch_execz .LBB192_78
.LBB192_110:                            ;   in Loop: Header=BB192_47 Depth=1
	v_mov_b32_e32 v9, s83
	ds_read_b32 v9, v9
	s_waitcnt lgkmcnt(0)
	v_add_u32_e32 v6, v9, v6
	s_or_b64 exec, exec, s[78:79]
	s_and_saveexec_b64 s[78:79], s[64:65]
	s_cbranch_execz .LBB192_79
.LBB192_111:                            ;   in Loop: Header=BB192_47 Depth=1
	v_add3_u32 v9, v4, -1, v6
	v_lshl_add_u32 v9, v9, 2, 0
	v_add_u32_e32 v11, 0x20000, v9
	ds_write_b32 v9, v7
	ds_write_b32 v11, v8
	s_or_b64 exec, exec, s[78:79]
	s_and_saveexec_b64 s[64:65], vcc
	s_cbranch_execz .LBB192_46
.LBB192_112:                            ;   in Loop: Header=BB192_47 Depth=1
	v_mov_b32_e32 v7, s84
	ds_write_b32 v7, v6
	s_branch .LBB192_46
.LBB192_113:
	s_or_b64 exec, exec, s[68:69]
	v_readlane_b32 s0, v22, 12
	v_readlane_b32 s1, v22, 13
	;; [unrolled: 1-line block ×3, first 2 shown]
	s_ashr_i32 s1, s0, 31
	v_readlane_b32 s6, v22, 6
	v_readlane_b32 s7, v22, 7
	;; [unrolled: 1-line block ×4, first 2 shown]
	s_lshl_b64 s[0:1], s[0:1], 3
	s_mov_b64 s[6:7], s[10:11]
	s_add_u32 s0, s6, s0
	s_addc_u32 s1, s7, s1
	s_load_dwordx4 s[0:3], s[0:1], 0x0
	v_readlane_b32 s8, v22, 8
	v_readlane_b32 s5, v22, 5
	;; [unrolled: 1-line block ×3, first 2 shown]
	s_waitcnt lgkmcnt(0)
	s_sub_i32 s8, s2, s0
	v_cmp_gt_i32_e32 vcc, s8, v0
	s_and_saveexec_b64 s[4:5], vcc
	s_cbranch_execz .LBB192_123
; %bb.114:
	s_sub_u32 s4, s0, s70
	s_subb_u32 s5, s1, 0
	s_and_b32 s9, s8, 7
	s_sub_i32 s0, s0, s2
	s_cmp_lt_u32 s0, -7
	s_cselect_b64 s[0:1], -1, 0
	s_and_b32 s10, s8, -8
	s_cmp_lg_u32 s9, 0
	v_cndmask_b32_e64 v1, 0, 1, s[0:1]
	s_cselect_b64 s[2:3], -1, 0
	v_cmp_ne_u32_e64 s[0:1], 1, v1
	v_cndmask_b32_e64 v1, 0, 1, s[2:3]
	s_mov_b64 s[6:7], 0
	v_cmp_ne_u32_e64 s[2:3], 1, v1
	s_branch .LBB192_116
.LBB192_115:                            ;   in Loop: Header=BB192_116 Depth=1
	v_readlane_b32 s12, v22, 0
	v_lshlrev_b64 v[2:3], 2, v[2:3]
	v_readlane_b32 s13, v22, 1
	s_waitcnt lgkmcnt(1)
	v_add_u32_e32 v6, s70, v4
	v_mov_b32_e32 v5, s13
	v_add_co_u32_e32 v4, vcc, s12, v2
	v_readlane_b32 s14, v22, 2
	v_readlane_b32 s15, v22, 3
	v_addc_co_u32_e32 v5, vcc, v5, v3, vcc
	global_store_dword v[4:5], v6, off
	v_mov_b32_e32 v4, s15
	v_add_co_u32_e32 v2, vcc, s14, v2
	v_addc_co_u32_e32 v3, vcc, v4, v3, vcc
	v_add_u32_e32 v0, 0x400, v0
	v_cmp_le_i32_e32 vcc, s8, v0
	s_or_b64 s[6:7], vcc, s[6:7]
	s_waitcnt lgkmcnt(0)
	global_store_dword v[2:3], v1, off
	s_andn2_b64 exec, exec, s[6:7]
	s_cbranch_execz .LBB192_123
.LBB192_116:                            ; =>This Loop Header: Depth=1
                                        ;     Child Loop BB192_118 Depth 2
                                        ;     Child Loop BB192_122 Depth 2
	v_lshl_add_u32 v1, v0, 2, 0
	v_add_u32_e32 v2, 0x20000, v1
	ds_read_b32 v4, v1
	ds_read_b32 v1, v2
	s_and_b64 vcc, exec, s[0:1]
	v_pk_mov_b32 v[2:3], s[4:5], s[4:5] op_sel:[0,1]
	s_mov_b32 s11, 0
	s_cbranch_vccnz .LBB192_120
; %bb.117:                              ;   in Loop: Header=BB192_116 Depth=1
	s_mov_b32 s12, 0
	v_pk_mov_b32 v[2:3], s[4:5], s[4:5] op_sel:[0,1]
.LBB192_118:                            ;   Parent Loop BB192_116 Depth=1
                                        ; =>  This Inner Loop Header: Depth=2
	v_mov_b32_e32 v5, s12
	ds_read2_b32 v[6:7], v5 offset1:1
	ds_read2_b32 v[8:9], v5 offset0:2 offset1:3
	ds_read2_b32 v[10:11], v5 offset0:4 offset1:5
	;; [unrolled: 1-line block ×3, first 2 shown]
	s_add_i32 s11, s11, 8
	s_waitcnt lgkmcnt(3)
	v_cmp_gt_i32_e32 vcc, v4, v6
	v_cndmask_b32_e64 v5, 0, 1, vcc
	v_cmp_gt_i32_e32 vcc, v4, v7
	v_cndmask_b32_e64 v6, 0, 1, vcc
	s_waitcnt lgkmcnt(2)
	v_cmp_gt_i32_e32 vcc, v4, v8
	v_cndmask_b32_e64 v7, 0, 1, vcc
	v_cmp_gt_i32_e32 vcc, v4, v9
	v_cndmask_b32_e64 v8, 0, 1, vcc
	s_waitcnt lgkmcnt(1)
	v_cmp_gt_i32_e32 vcc, v4, v10
	v_cndmask_b32_e64 v9, 0, 1, vcc
	v_cmp_gt_i32_e32 vcc, v4, v11
	v_cndmask_b32_e64 v10, 0, 1, vcc
	s_waitcnt lgkmcnt(0)
	v_cmp_gt_i32_e32 vcc, v4, v12
	v_cndmask_b32_e64 v11, 0, 1, vcc
	v_cmp_gt_i32_e32 vcc, v4, v13
	v_cndmask_b32_e64 v12, 0, 1, vcc
	v_add_co_u32_e32 v2, vcc, v2, v5
	v_addc_co_u32_e32 v3, vcc, 0, v3, vcc
	v_add_co_u32_e32 v2, vcc, v2, v6
	v_addc_co_u32_e32 v3, vcc, 0, v3, vcc
	;; [unrolled: 2-line block ×7, first 2 shown]
	s_add_i32 s12, s12, 32
	v_add_co_u32_e32 v2, vcc, v2, v12
	s_cmp_eq_u32 s10, s11
	v_addc_co_u32_e32 v3, vcc, 0, v3, vcc
	s_cbranch_scc0 .LBB192_118
; %bb.119:                              ;   in Loop: Header=BB192_116 Depth=1
	s_mov_b32 s11, s10
.LBB192_120:                            ;   in Loop: Header=BB192_116 Depth=1
	s_and_b64 vcc, exec, s[2:3]
	s_cbranch_vccnz .LBB192_115
; %bb.121:                              ;   in Loop: Header=BB192_116 Depth=1
	s_lshl_b32 s11, s11, 2
	s_add_i32 s11, s11, 0
	s_mov_b32 s12, s9
.LBB192_122:                            ;   Parent Loop BB192_116 Depth=1
                                        ; =>  This Inner Loop Header: Depth=2
	v_mov_b32_e32 v5, s11
	ds_read_b32 v5, v5
	s_add_i32 s11, s11, 4
	s_add_i32 s12, s12, -1
	s_cmp_lg_u32 s12, 0
	s_waitcnt lgkmcnt(0)
	v_cmp_gt_i32_e32 vcc, v4, v5
	v_cndmask_b32_e64 v5, 0, 1, vcc
	v_add_co_u32_e32 v2, vcc, v2, v5
	v_addc_co_u32_e32 v3, vcc, 0, v3, vcc
	s_cbranch_scc1 .LBB192_122
	s_branch .LBB192_115
.LBB192_123:
	s_endpgm
	.section	.rodata,"a",@progbits
	.p2align	6, 0x0
	.amdhsa_kernel _ZN9rocsparseL26csrgemm_fill_block_per_rowILj1024ELj64ELj32768ELj137ELj32ElifEEvT5_PKS1_S3_NS_24const_host_device_scalarIT6_EEPKT4_S3_PKS5_S9_S3_SB_S6_S9_S3_SB_S9_PS1_PS5_21rocsparse_index_base_SE_SE_SE_bbb
		.amdhsa_group_segment_fixed_size 0
		.amdhsa_private_segment_fixed_size 0
		.amdhsa_kernarg_size 156
		.amdhsa_user_sgpr_count 6
		.amdhsa_user_sgpr_private_segment_buffer 1
		.amdhsa_user_sgpr_dispatch_ptr 0
		.amdhsa_user_sgpr_queue_ptr 0
		.amdhsa_user_sgpr_kernarg_segment_ptr 1
		.amdhsa_user_sgpr_dispatch_id 0
		.amdhsa_user_sgpr_flat_scratch_init 0
		.amdhsa_user_sgpr_kernarg_preload_length 0
		.amdhsa_user_sgpr_kernarg_preload_offset 0
		.amdhsa_user_sgpr_private_segment_size 0
		.amdhsa_uses_dynamic_stack 0
		.amdhsa_system_sgpr_private_segment_wavefront_offset 0
		.amdhsa_system_sgpr_workgroup_id_x 1
		.amdhsa_system_sgpr_workgroup_id_y 0
		.amdhsa_system_sgpr_workgroup_id_z 0
		.amdhsa_system_sgpr_workgroup_info 0
		.amdhsa_system_vgpr_workitem_id 0
		.amdhsa_next_free_vgpr 23
		.amdhsa_next_free_sgpr 96
		.amdhsa_accum_offset 24
		.amdhsa_reserve_vcc 1
		.amdhsa_reserve_flat_scratch 0
		.amdhsa_float_round_mode_32 0
		.amdhsa_float_round_mode_16_64 0
		.amdhsa_float_denorm_mode_32 3
		.amdhsa_float_denorm_mode_16_64 3
		.amdhsa_dx10_clamp 1
		.amdhsa_ieee_mode 1
		.amdhsa_fp16_overflow 0
		.amdhsa_tg_split 0
		.amdhsa_exception_fp_ieee_invalid_op 0
		.amdhsa_exception_fp_denorm_src 0
		.amdhsa_exception_fp_ieee_div_zero 0
		.amdhsa_exception_fp_ieee_overflow 0
		.amdhsa_exception_fp_ieee_underflow 0
		.amdhsa_exception_fp_ieee_inexact 0
		.amdhsa_exception_int_div_zero 0
	.end_amdhsa_kernel
	.section	.text._ZN9rocsparseL26csrgemm_fill_block_per_rowILj1024ELj64ELj32768ELj137ELj32ElifEEvT5_PKS1_S3_NS_24const_host_device_scalarIT6_EEPKT4_S3_PKS5_S9_S3_SB_S6_S9_S3_SB_S9_PS1_PS5_21rocsparse_index_base_SE_SE_SE_bbb,"axG",@progbits,_ZN9rocsparseL26csrgemm_fill_block_per_rowILj1024ELj64ELj32768ELj137ELj32ElifEEvT5_PKS1_S3_NS_24const_host_device_scalarIT6_EEPKT4_S3_PKS5_S9_S3_SB_S6_S9_S3_SB_S9_PS1_PS5_21rocsparse_index_base_SE_SE_SE_bbb,comdat
.Lfunc_end192:
	.size	_ZN9rocsparseL26csrgemm_fill_block_per_rowILj1024ELj64ELj32768ELj137ELj32ElifEEvT5_PKS1_S3_NS_24const_host_device_scalarIT6_EEPKT4_S3_PKS5_S9_S3_SB_S6_S9_S3_SB_S9_PS1_PS5_21rocsparse_index_base_SE_SE_SE_bbb, .Lfunc_end192-_ZN9rocsparseL26csrgemm_fill_block_per_rowILj1024ELj64ELj32768ELj137ELj32ElifEEvT5_PKS1_S3_NS_24const_host_device_scalarIT6_EEPKT4_S3_PKS5_S9_S3_SB_S6_S9_S3_SB_S9_PS1_PS5_21rocsparse_index_base_SE_SE_SE_bbb
                                        ; -- End function
	.section	.AMDGPU.csdata,"",@progbits
; Kernel info:
; codeLenInByte = 4964
; NumSgprs: 100
; NumVgprs: 23
; NumAgprs: 0
; TotalNumVgprs: 23
; ScratchSize: 0
; MemoryBound: 0
; FloatMode: 240
; IeeeMode: 1
; LDSByteSize: 0 bytes/workgroup (compile time only)
; SGPRBlocks: 12
; VGPRBlocks: 2
; NumSGPRsForWavesPerEU: 100
; NumVGPRsForWavesPerEU: 23
; AccumOffset: 24
; Occupancy: 8
; WaveLimiterHint : 1
; COMPUTE_PGM_RSRC2:SCRATCH_EN: 0
; COMPUTE_PGM_RSRC2:USER_SGPR: 6
; COMPUTE_PGM_RSRC2:TRAP_HANDLER: 0
; COMPUTE_PGM_RSRC2:TGID_X_EN: 1
; COMPUTE_PGM_RSRC2:TGID_Y_EN: 0
; COMPUTE_PGM_RSRC2:TGID_Z_EN: 0
; COMPUTE_PGM_RSRC2:TIDIG_COMP_CNT: 0
; COMPUTE_PGM_RSRC3_GFX90A:ACCUM_OFFSET: 5
; COMPUTE_PGM_RSRC3_GFX90A:TG_SPLIT: 0
	.section	.text._ZN9rocsparseL26csrgemm_fill_block_per_rowILj1024ELj64ELj32768ELj137ELj64ElifEEvT5_PKS1_S3_NS_24const_host_device_scalarIT6_EEPKT4_S3_PKS5_S9_S3_SB_S6_S9_S3_SB_S9_PS1_PS5_21rocsparse_index_base_SE_SE_SE_bbb,"axG",@progbits,_ZN9rocsparseL26csrgemm_fill_block_per_rowILj1024ELj64ELj32768ELj137ELj64ElifEEvT5_PKS1_S3_NS_24const_host_device_scalarIT6_EEPKT4_S3_PKS5_S9_S3_SB_S6_S9_S3_SB_S9_PS1_PS5_21rocsparse_index_base_SE_SE_SE_bbb,comdat
	.globl	_ZN9rocsparseL26csrgemm_fill_block_per_rowILj1024ELj64ELj32768ELj137ELj64ElifEEvT5_PKS1_S3_NS_24const_host_device_scalarIT6_EEPKT4_S3_PKS5_S9_S3_SB_S6_S9_S3_SB_S9_PS1_PS5_21rocsparse_index_base_SE_SE_SE_bbb ; -- Begin function _ZN9rocsparseL26csrgemm_fill_block_per_rowILj1024ELj64ELj32768ELj137ELj64ElifEEvT5_PKS1_S3_NS_24const_host_device_scalarIT6_EEPKT4_S3_PKS5_S9_S3_SB_S6_S9_S3_SB_S9_PS1_PS5_21rocsparse_index_base_SE_SE_SE_bbb
	.p2align	8
	.type	_ZN9rocsparseL26csrgemm_fill_block_per_rowILj1024ELj64ELj32768ELj137ELj64ElifEEvT5_PKS1_S3_NS_24const_host_device_scalarIT6_EEPKT4_S3_PKS5_S9_S3_SB_S6_S9_S3_SB_S9_PS1_PS5_21rocsparse_index_base_SE_SE_SE_bbb,@function
_ZN9rocsparseL26csrgemm_fill_block_per_rowILj1024ELj64ELj32768ELj137ELj64ElifEEvT5_PKS1_S3_NS_24const_host_device_scalarIT6_EEPKT4_S3_PKS5_S9_S3_SB_S6_S9_S3_SB_S9_PS1_PS5_21rocsparse_index_base_SE_SE_SE_bbb: ; @_ZN9rocsparseL26csrgemm_fill_block_per_rowILj1024ELj64ELj32768ELj137ELj64ElifEEvT5_PKS1_S3_NS_24const_host_device_scalarIT6_EEPKT4_S3_PKS5_S9_S3_SB_S6_S9_S3_SB_S9_PS1_PS5_21rocsparse_index_base_SE_SE_SE_bbb
; %bb.0:
	s_load_dword s7, s[4:5], 0x98
	s_load_dwordx4 s[44:47], s[4:5], 0x88
	s_load_dwordx2 s[0:1], s[4:5], 0x18
	s_load_dwordx2 s[24:25], s[4:5], 0x50
	s_waitcnt lgkmcnt(0)
	s_bitcmp1_b32 s7, 0
	s_cselect_b64 s[2:3], -1, 0
	s_bitcmp1_b32 s7, 16
	s_cselect_b64 s[26:27], -1, 0
	s_xor_b64 s[8:9], s[2:3], -1
	s_or_b64 s[8:9], s[8:9], s[26:27]
	s_and_b64 vcc, exec, s[8:9]
	s_cbranch_vccnz .LBB193_2
; %bb.1:
	s_load_dword s0, s[0:1], 0x0
	s_waitcnt lgkmcnt(0)
	v_mov_b32_e32 v13, s0
	s_branch .LBB193_3
.LBB193_2:
	v_mov_b32_e32 v1, s0
	v_cndmask_b32_e64 v13, 0, v1, s[2:3]
.LBB193_3:
	s_load_dwordx4 s[48:51], s[4:5], 0x78
	s_load_dwordx8 s[36:43], s[4:5], 0x58
	s_load_dwordx4 s[16:19], s[4:5], 0x40
	s_load_dwordx4 s[20:23], s[4:5], 0x8
	s_load_dwordx8 s[8:15], s[4:5], 0x20
	s_bitcmp1_b32 s7, 8
	s_cselect_b64 s[0:1], -1, 0
	s_xor_b64 s[28:29], s[0:1], -1
	s_or_b64 s[26:27], s[28:29], s[26:27]
	s_and_b64 vcc, exec, s[26:27]
	s_cbranch_vccnz .LBB193_5
; %bb.4:
	s_load_dword s7, s[24:25], 0x0
	s_waitcnt lgkmcnt(0)
	v_mov_b32_e32 v11, s7
	s_branch .LBB193_6
.LBB193_5:
	v_mov_b32_e32 v1, s24
	v_cndmask_b32_e64 v11, 0, v1, s[0:1]
.LBB193_6:
	s_load_dword s33, s[4:5], 0x0
	v_or_b32_e32 v1, 0xfffffc00, v0
	v_lshl_add_u32 v10, v0, 2, 0
	s_mov_b64 s[4:5], 0
	v_mov_b32_e32 v2, 0
	s_waitcnt lgkmcnt(0)
	v_mov_b32_e32 v3, s33
	s_movk_i32 s7, 0x7bff
	v_mov_b32_e32 v4, v10
	v_mov_b32_e32 v5, v1
.LBB193_7:                              ; =>This Inner Loop Header: Depth=1
	v_add_u32_e32 v5, 0x400, v5
	v_cmp_lt_u32_e32 vcc, s7, v5
	ds_write_b32 v4, v3
	v_add_u32_e32 v6, 0x20000, v4
	v_add_u32_e32 v4, 0x1000, v4
	s_or_b64 s[4:5], vcc, s[4:5]
	ds_write_b32 v6, v2
	s_andn2_b64 exec, exec, s[4:5]
	s_cbranch_execnz .LBB193_7
; %bb.8:
	s_or_b64 exec, exec, s[4:5]
	s_waitcnt lgkmcnt(0)
	s_barrier
	s_load_dword s4, s[20:21], 0x0
	s_mov_b32 s5, 0
	v_lshrrev_b32_e32 v12, 6, v0
	s_waitcnt lgkmcnt(0)
	s_add_i32 s4, s4, s6
	s_lshl_b64 s[4:5], s[4:5], 2
	s_add_u32 s4, s22, s4
	s_addc_u32 s5, s23, s5
	s_load_dword s34, s[4:5], 0x0
	s_and_b64 vcc, exec, s[2:3]
	s_cbranch_vccz .LBB193_28
; %bb.9:
	s_waitcnt lgkmcnt(0)
	s_ashr_i32 s35, s34, 31
	s_lshl_b64 s[2:3], s[34:35], 3
	s_add_u32 s2, s8, s2
	s_addc_u32 s3, s9, s3
	s_load_dwordx4 s[4:7], s[2:3], 0x0
	v_subrev_co_u32_e32 v2, vcc, s44, v12
	v_subb_co_u32_e64 v3, s[2:3], 0, 0, vcc
	s_waitcnt lgkmcnt(0)
	s_sub_u32 s2, s6, s44
	v_mov_b32_e32 v4, s5
	v_add_co_u32_e32 v2, vcc, s4, v2
	s_subb_u32 s3, s7, 0
	v_addc_co_u32_e32 v3, vcc, v4, v3, vcc
	v_cmp_gt_i64_e32 vcc, s[2:3], v[2:3]
	s_and_saveexec_b64 s[4:5], vcc
	s_cbranch_execz .LBB193_27
; %bb.10:
	v_and_b32_e32 v4, 63, v0
	v_subrev_co_u32_e32 v14, vcc, s45, v4
	s_mov_b32 s8, 0
	v_subb_co_u32_e64 v15, s[6:7], 0, 0, vcc
	s_mov_b32 s35, s45
	s_mov_b64 s[6:7], 0
	v_mov_b32_e32 v16, s11
	v_mov_b32_e32 v17, s15
	;; [unrolled: 1-line block ×3, first 2 shown]
	s_movk_i32 s11, 0x89
	s_branch .LBB193_12
.LBB193_11:                             ;   in Loop: Header=BB193_12 Depth=1
	s_or_b64 exec, exec, s[8:9]
	v_add_co_u32_e32 v2, vcc, 16, v2
	v_addc_co_u32_e32 v3, vcc, 0, v3, vcc
	v_cmp_le_i64_e32 vcc, s[2:3], v[2:3]
	s_or_b64 s[6:7], vcc, s[6:7]
	s_andn2_b64 exec, exec, s[6:7]
	s_cbranch_execz .LBB193_27
.LBB193_12:                             ; =>This Loop Header: Depth=1
                                        ;     Child Loop BB193_15 Depth 2
                                        ;       Child Loop BB193_17 Depth 3
	v_lshlrev_b64 v[8:9], 2, v[2:3]
	v_add_co_u32_e32 v4, vcc, s10, v8
	v_addc_co_u32_e32 v5, vcc, v16, v9, vcc
	global_load_dword v4, v[4:5], off
	s_waitcnt vmcnt(0)
	v_subrev_u32_e32 v4, s44, v4
	v_ashrrev_i32_e32 v5, 31, v4
	v_lshlrev_b64 v[4:5], 3, v[4:5]
	v_add_co_u32_e32 v4, vcc, s14, v4
	v_addc_co_u32_e32 v5, vcc, v17, v5, vcc
	global_load_dwordx4 v[20:23], v[4:5], off
	s_waitcnt vmcnt(0)
	v_subrev_co_u32_e32 v4, vcc, s35, v22
	v_subb_co_u32_e32 v5, vcc, v23, v18, vcc
	v_add_co_u32_e32 v6, vcc, v20, v14
	v_addc_co_u32_e32 v7, vcc, v21, v15, vcc
	v_cmp_lt_i64_e32 vcc, v[6:7], v[4:5]
	s_and_saveexec_b64 s[8:9], vcc
	s_cbranch_execz .LBB193_11
; %bb.13:                               ;   in Loop: Header=BB193_12 Depth=1
	v_mov_b32_e32 v19, s13
	v_add_co_u32_e32 v8, vcc, s12, v8
	v_addc_co_u32_e32 v9, vcc, v19, v9, vcc
	global_load_dword v8, v[8:9], off
	s_mov_b64 s[20:21], 0
	s_waitcnt vmcnt(0)
	v_mul_f32_e32 v8, v13, v8
	s_branch .LBB193_15
.LBB193_14:                             ;   in Loop: Header=BB193_15 Depth=2
	s_or_b64 exec, exec, s[22:23]
	v_add_co_u32_e32 v6, vcc, 64, v6
	v_addc_co_u32_e32 v7, vcc, 0, v7, vcc
	v_cmp_ge_i64_e32 vcc, v[6:7], v[4:5]
	s_or_b64 s[20:21], vcc, s[20:21]
	s_andn2_b64 exec, exec, s[20:21]
	s_cbranch_execz .LBB193_11
.LBB193_15:                             ;   Parent Loop BB193_12 Depth=1
                                        ; =>  This Loop Header: Depth=2
                                        ;       Child Loop BB193_17 Depth 3
	v_lshlrev_b64 v[20:21], 2, v[6:7]
	v_mov_b32_e32 v9, s17
	v_add_co_u32_e32 v22, vcc, s16, v20
	v_addc_co_u32_e32 v23, vcc, v9, v21, vcc
	global_load_dword v9, v[22:23], off
	v_mov_b32_e32 v19, s19
	v_add_co_u32_e32 v20, vcc, s18, v20
	v_addc_co_u32_e32 v21, vcc, v19, v21, vcc
	global_load_dword v19, v[20:21], off
	s_mov_b64 s[22:23], 0
	s_waitcnt vmcnt(1)
	v_subrev_u32_e32 v9, s45, v9
	v_mul_lo_u32 v20, v9, s11
	v_and_b32_e32 v20, 0x7fff, v20
	s_waitcnt vmcnt(0)
	v_mul_f32_e32 v19, v8, v19
	s_branch .LBB193_17
.LBB193_16:                             ;   in Loop: Header=BB193_17 Depth=3
	s_or_b64 exec, exec, s[24:25]
	s_xor_b64 s[24:25], s[26:27], -1
	s_and_b64 s[24:25], exec, s[24:25]
	s_or_b64 s[22:23], s[24:25], s[22:23]
	s_andn2_b64 exec, exec, s[22:23]
	s_cbranch_execz .LBB193_14
.LBB193_17:                             ;   Parent Loop BB193_12 Depth=1
                                        ;     Parent Loop BB193_15 Depth=2
                                        ; =>    This Inner Loop Header: Depth=3
	v_lshl_add_u32 v21, v20, 2, 0
	ds_read_b32 v22, v21
                                        ; implicit-def: $sgpr26_sgpr27
	s_waitcnt lgkmcnt(0)
	v_cmp_ne_u32_e32 vcc, v22, v9
	s_and_saveexec_b64 s[24:25], vcc
	s_xor_b64 s[24:25], exec, s[24:25]
	s_cbranch_execz .LBB193_25
; %bb.18:                               ;   in Loop: Header=BB193_17 Depth=3
	v_cmp_ne_u32_e32 vcc, s33, v22
                                        ; implicit-def: $sgpr26_sgpr27
	s_and_saveexec_b64 s[28:29], vcc
	s_xor_b64 s[28:29], exec, s[28:29]
; %bb.19:                               ;   in Loop: Header=BB193_17 Depth=3
	v_add_u32_e32 v20, 1, v20
	v_and_b32_e32 v20, 0x7fff, v20
	s_mov_b64 s[26:27], -1
                                        ; implicit-def: $vgpr21
; %bb.20:                               ;   in Loop: Header=BB193_17 Depth=3
	s_andn2_saveexec_b64 s[28:29], s[28:29]
	s_cbranch_execz .LBB193_24
; %bb.21:                               ;   in Loop: Header=BB193_17 Depth=3
	v_mov_b32_e32 v22, s33
	ds_cmpst_rtn_b32 v22, v21, v22, v9
	s_mov_b64 s[30:31], -1
	s_waitcnt lgkmcnt(0)
	v_cmp_eq_u32_e32 vcc, s33, v22
	s_and_saveexec_b64 s[52:53], vcc
	s_cbranch_execz .LBB193_23
; %bb.22:                               ;   in Loop: Header=BB193_17 Depth=3
	v_add_u32_e32 v21, 0x20000, v21
	ds_add_f32 v21, v19
	s_xor_b64 s[30:31], exec, -1
.LBB193_23:                             ;   in Loop: Header=BB193_17 Depth=3
	s_or_b64 exec, exec, s[52:53]
	s_andn2_b64 s[26:27], s[26:27], exec
	s_and_b64 s[30:31], s[30:31], exec
	s_or_b64 s[26:27], s[26:27], s[30:31]
.LBB193_24:                             ;   in Loop: Header=BB193_17 Depth=3
	s_or_b64 exec, exec, s[28:29]
	s_and_b64 s[26:27], s[26:27], exec
                                        ; implicit-def: $vgpr21
.LBB193_25:                             ;   in Loop: Header=BB193_17 Depth=3
	s_andn2_saveexec_b64 s[24:25], s[24:25]
	s_cbranch_execz .LBB193_16
; %bb.26:                               ;   in Loop: Header=BB193_17 Depth=3
	v_add_u32_e32 v21, 0x20000, v21
	ds_add_f32 v21, v19
	s_andn2_b64 s[26:27], s[26:27], exec
	s_branch .LBB193_16
.LBB193_27:
	s_or_b64 exec, exec, s[4:5]
.LBB193_28:
	s_andn2_b64 vcc, exec, s[0:1]
	s_cbranch_vccnz .LBB193_45
; %bb.29:
	s_waitcnt lgkmcnt(0)
	s_ashr_i32 s35, s34, 31
	s_lshl_b64 s[0:1], s[34:35], 3
	s_add_u32 s0, s36, s0
	s_addc_u32 s1, s37, s1
	s_load_dwordx4 s[4:7], s[0:1], 0x0
	v_subrev_co_u32_e32 v2, vcc, s47, v0
	v_subb_co_u32_e64 v3, s[0:1], 0, 0, vcc
	s_waitcnt lgkmcnt(0)
	s_sub_u32 s0, s6, s47
	v_mov_b32_e32 v4, s5
	v_add_co_u32_e32 v2, vcc, s4, v2
	s_subb_u32 s1, s7, 0
	v_addc_co_u32_e32 v3, vcc, v4, v3, vcc
	v_cmp_gt_i64_e32 vcc, s[0:1], v[2:3]
	s_and_saveexec_b64 s[2:3], vcc
	s_cbranch_execz .LBB193_44
; %bb.30:
	s_mov_b64 s[4:5], 0
	v_mov_b32_e32 v4, s39
	v_mov_b32_e32 v5, s41
	s_movk_i32 s18, 0x89
	s_branch .LBB193_32
.LBB193_31:                             ;   in Loop: Header=BB193_32 Depth=1
	s_or_b64 exec, exec, s[6:7]
	v_add_co_u32_e32 v2, vcc, 0x400, v2
	v_addc_co_u32_e32 v3, vcc, 0, v3, vcc
	v_cmp_le_i64_e32 vcc, s[0:1], v[2:3]
	s_or_b64 s[4:5], vcc, s[4:5]
	s_andn2_b64 exec, exec, s[4:5]
	s_cbranch_execz .LBB193_44
.LBB193_32:                             ; =>This Loop Header: Depth=1
                                        ;     Child Loop BB193_34 Depth 2
	v_lshlrev_b64 v[6:7], 2, v[2:3]
	v_add_co_u32_e32 v8, vcc, s38, v6
	v_addc_co_u32_e32 v9, vcc, v4, v7, vcc
	global_load_dword v8, v[8:9], off
	v_add_co_u32_e32 v6, vcc, s40, v6
	v_addc_co_u32_e32 v7, vcc, v5, v7, vcc
	global_load_dword v7, v[6:7], off
	s_mov_b64 s[6:7], 0
	s_waitcnt vmcnt(1)
	v_subrev_u32_e32 v6, s47, v8
	v_mul_lo_u32 v8, v6, s18
	v_and_b32_e32 v8, 0x7fff, v8
	s_waitcnt vmcnt(0)
	v_mul_f32_e32 v7, v11, v7
	s_branch .LBB193_34
.LBB193_33:                             ;   in Loop: Header=BB193_34 Depth=2
	s_or_b64 exec, exec, s[8:9]
	s_xor_b64 s[8:9], s[10:11], -1
	s_and_b64 s[8:9], exec, s[8:9]
	s_or_b64 s[6:7], s[8:9], s[6:7]
	s_andn2_b64 exec, exec, s[6:7]
	s_cbranch_execz .LBB193_31
.LBB193_34:                             ;   Parent Loop BB193_32 Depth=1
                                        ; =>  This Inner Loop Header: Depth=2
	v_lshl_add_u32 v9, v8, 2, 0
	ds_read_b32 v13, v9
                                        ; implicit-def: $sgpr10_sgpr11
	s_waitcnt lgkmcnt(0)
	v_cmp_ne_u32_e32 vcc, v13, v6
	s_and_saveexec_b64 s[8:9], vcc
	s_xor_b64 s[8:9], exec, s[8:9]
	s_cbranch_execz .LBB193_42
; %bb.35:                               ;   in Loop: Header=BB193_34 Depth=2
	v_cmp_ne_u32_e32 vcc, s33, v13
                                        ; implicit-def: $sgpr10_sgpr11
	s_and_saveexec_b64 s[12:13], vcc
	s_xor_b64 s[12:13], exec, s[12:13]
; %bb.36:                               ;   in Loop: Header=BB193_34 Depth=2
	v_add_u32_e32 v8, 1, v8
	v_and_b32_e32 v8, 0x7fff, v8
	s_mov_b64 s[10:11], -1
                                        ; implicit-def: $vgpr9
; %bb.37:                               ;   in Loop: Header=BB193_34 Depth=2
	s_andn2_saveexec_b64 s[12:13], s[12:13]
	s_cbranch_execz .LBB193_41
; %bb.38:                               ;   in Loop: Header=BB193_34 Depth=2
	v_mov_b32_e32 v13, s33
	ds_cmpst_rtn_b32 v13, v9, v13, v6
	s_mov_b64 s[14:15], -1
	s_waitcnt lgkmcnt(0)
	v_cmp_eq_u32_e32 vcc, s33, v13
	s_and_saveexec_b64 s[16:17], vcc
	s_cbranch_execz .LBB193_40
; %bb.39:                               ;   in Loop: Header=BB193_34 Depth=2
	v_add_u32_e32 v9, 0x20000, v9
	ds_add_f32 v9, v7
	s_xor_b64 s[14:15], exec, -1
.LBB193_40:                             ;   in Loop: Header=BB193_34 Depth=2
	s_or_b64 exec, exec, s[16:17]
	s_andn2_b64 s[10:11], s[10:11], exec
	s_and_b64 s[14:15], s[14:15], exec
	s_or_b64 s[10:11], s[10:11], s[14:15]
.LBB193_41:                             ;   in Loop: Header=BB193_34 Depth=2
	s_or_b64 exec, exec, s[12:13]
	s_and_b64 s[10:11], s[10:11], exec
                                        ; implicit-def: $vgpr9
.LBB193_42:                             ;   in Loop: Header=BB193_34 Depth=2
	s_andn2_saveexec_b64 s[8:9], s[8:9]
	s_cbranch_execz .LBB193_33
; %bb.43:                               ;   in Loop: Header=BB193_34 Depth=2
	v_add_u32_e32 v9, 0x20000, v9
	ds_add_f32 v9, v7
	s_andn2_b64 s[10:11], s[10:11], exec
	s_branch .LBB193_33
.LBB193_44:
	s_or_b64 exec, exec, s[2:3]
.LBB193_45:
	v_mbcnt_lo_u32_b32 v2, -1, 0
	v_mbcnt_hi_u32_b32 v2, -1, v2
	v_sub_u32_e32 v2, 63, v2
	s_add_i32 s35, 0, 0x40000
	s_movk_i32 s0, 0x3ff
	s_movk_i32 s2, 0x7f
	;; [unrolled: 1-line block ×15, first 2 shown]
	s_add_i32 s61, 0, 0x4003c
	v_mov_b32_e32 v4, 0
	v_lshrrev_b64 v[2:3], v2, -1
	v_lshl_add_u32 v5, v12, 2, s35
	v_cmp_eq_u32_e32 vcc, s0, v0
	v_cmp_lt_u32_e64 s[0:1], 63, v0
	v_cmp_lt_u32_e64 s[2:3], s2, v0
	;; [unrolled: 1-line block ×15, first 2 shown]
	s_mov_b64 s[36:37], 0
	s_add_i32 s40, 0, 0x40004
	s_add_i32 s41, 0, 0x40008
	;; [unrolled: 1-line block ×14, first 2 shown]
	v_mov_b32_e32 v6, s61
	s_movk_i32 s62, 0x7bff
	s_waitcnt lgkmcnt(0)
	s_barrier
	s_branch .LBB193_47
.LBB193_46:                             ;   in Loop: Header=BB193_47 Depth=1
	s_or_b64 exec, exec, s[30:31]
	s_waitcnt lgkmcnt(0)
	s_barrier
	ds_read_b32 v7, v6
	v_add_u32_e32 v1, 0x400, v1
	v_cmp_lt_u32_e64 s[30:31], s62, v1
	s_or_b64 s[36:37], s[30:31], s[36:37]
	v_add_u32_e32 v10, 0x1000, v10
	s_waitcnt lgkmcnt(0)
	v_add_u32_e32 v4, v7, v4
	s_andn2_b64 exec, exec, s[36:37]
	s_cbranch_execz .LBB193_81
.LBB193_47:                             ; =>This Inner Loop Header: Depth=1
	ds_read_b32 v8, v10
	v_add_u32_e32 v7, 0x20000, v10
	ds_read_b32 v9, v7
	s_waitcnt lgkmcnt(0)
	s_barrier
	v_cmp_gt_i32_e64 s[30:31], s33, v8
	v_and_b32_e32 v11, s30, v2
	s_bcnt1_i32_b64 s38, s[30:31]
	v_and_b32_e32 v7, s31, v3
	v_bcnt_u32_b32 v11, v11, 0
	v_bcnt_u32_b32 v7, v7, v11
	v_mov_b32_e32 v11, s38
	ds_write_b32 v5, v11
	s_waitcnt lgkmcnt(0)
	s_barrier
	s_and_saveexec_b64 s[38:39], s[0:1]
	s_cbranch_execnz .LBB193_64
; %bb.48:                               ;   in Loop: Header=BB193_47 Depth=1
	s_or_b64 exec, exec, s[38:39]
	s_and_saveexec_b64 s[38:39], s[2:3]
	s_cbranch_execnz .LBB193_65
.LBB193_49:                             ;   in Loop: Header=BB193_47 Depth=1
	s_or_b64 exec, exec, s[38:39]
	s_and_saveexec_b64 s[38:39], s[4:5]
	s_cbranch_execnz .LBB193_66
.LBB193_50:                             ;   in Loop: Header=BB193_47 Depth=1
	s_or_b64 exec, exec, s[38:39]
	s_and_saveexec_b64 s[38:39], s[6:7]
	s_cbranch_execnz .LBB193_67
.LBB193_51:                             ;   in Loop: Header=BB193_47 Depth=1
	s_or_b64 exec, exec, s[38:39]
	s_and_saveexec_b64 s[38:39], s[8:9]
	s_cbranch_execnz .LBB193_68
.LBB193_52:                             ;   in Loop: Header=BB193_47 Depth=1
	s_or_b64 exec, exec, s[38:39]
	s_and_saveexec_b64 s[38:39], s[10:11]
	s_cbranch_execnz .LBB193_69
.LBB193_53:                             ;   in Loop: Header=BB193_47 Depth=1
	s_or_b64 exec, exec, s[38:39]
	s_and_saveexec_b64 s[38:39], s[12:13]
	s_cbranch_execnz .LBB193_70
.LBB193_54:                             ;   in Loop: Header=BB193_47 Depth=1
	s_or_b64 exec, exec, s[38:39]
	s_and_saveexec_b64 s[38:39], s[14:15]
	s_cbranch_execnz .LBB193_71
.LBB193_55:                             ;   in Loop: Header=BB193_47 Depth=1
	s_or_b64 exec, exec, s[38:39]
	s_and_saveexec_b64 s[38:39], s[16:17]
	s_cbranch_execnz .LBB193_72
.LBB193_56:                             ;   in Loop: Header=BB193_47 Depth=1
	s_or_b64 exec, exec, s[38:39]
	s_and_saveexec_b64 s[38:39], s[18:19]
	s_cbranch_execnz .LBB193_73
.LBB193_57:                             ;   in Loop: Header=BB193_47 Depth=1
	s_or_b64 exec, exec, s[38:39]
	s_and_saveexec_b64 s[38:39], s[20:21]
	s_cbranch_execnz .LBB193_74
.LBB193_58:                             ;   in Loop: Header=BB193_47 Depth=1
	s_or_b64 exec, exec, s[38:39]
	s_and_saveexec_b64 s[38:39], s[22:23]
	s_cbranch_execnz .LBB193_75
.LBB193_59:                             ;   in Loop: Header=BB193_47 Depth=1
	s_or_b64 exec, exec, s[38:39]
	s_and_saveexec_b64 s[38:39], s[24:25]
	s_cbranch_execnz .LBB193_76
.LBB193_60:                             ;   in Loop: Header=BB193_47 Depth=1
	s_or_b64 exec, exec, s[38:39]
	s_and_saveexec_b64 s[38:39], s[26:27]
	s_cbranch_execnz .LBB193_77
.LBB193_61:                             ;   in Loop: Header=BB193_47 Depth=1
	s_or_b64 exec, exec, s[38:39]
	s_and_saveexec_b64 s[38:39], s[28:29]
	s_cbranch_execnz .LBB193_78
.LBB193_62:                             ;   in Loop: Header=BB193_47 Depth=1
	s_or_b64 exec, exec, s[38:39]
	s_and_saveexec_b64 s[38:39], s[30:31]
	s_cbranch_execnz .LBB193_79
.LBB193_63:                             ;   in Loop: Header=BB193_47 Depth=1
	s_or_b64 exec, exec, s[38:39]
	s_and_saveexec_b64 s[30:31], vcc
	s_cbranch_execz .LBB193_46
	s_branch .LBB193_80
.LBB193_64:                             ;   in Loop: Header=BB193_47 Depth=1
	v_mov_b32_e32 v11, s35
	ds_read_b32 v11, v11
	s_waitcnt lgkmcnt(0)
	v_add_u32_e32 v7, v11, v7
	s_or_b64 exec, exec, s[38:39]
	s_and_saveexec_b64 s[38:39], s[2:3]
	s_cbranch_execz .LBB193_49
.LBB193_65:                             ;   in Loop: Header=BB193_47 Depth=1
	v_mov_b32_e32 v11, s40
	ds_read_b32 v11, v11
	s_waitcnt lgkmcnt(0)
	v_add_u32_e32 v7, v11, v7
	s_or_b64 exec, exec, s[38:39]
	s_and_saveexec_b64 s[38:39], s[4:5]
	s_cbranch_execz .LBB193_50
.LBB193_66:                             ;   in Loop: Header=BB193_47 Depth=1
	v_mov_b32_e32 v11, s41
	ds_read_b32 v11, v11
	s_waitcnt lgkmcnt(0)
	v_add_u32_e32 v7, v11, v7
	s_or_b64 exec, exec, s[38:39]
	s_and_saveexec_b64 s[38:39], s[6:7]
	s_cbranch_execz .LBB193_51
.LBB193_67:                             ;   in Loop: Header=BB193_47 Depth=1
	v_mov_b32_e32 v11, s44
	ds_read_b32 v11, v11
	s_waitcnt lgkmcnt(0)
	v_add_u32_e32 v7, v11, v7
	s_or_b64 exec, exec, s[38:39]
	s_and_saveexec_b64 s[38:39], s[8:9]
	s_cbranch_execz .LBB193_52
.LBB193_68:                             ;   in Loop: Header=BB193_47 Depth=1
	v_mov_b32_e32 v11, s45
	ds_read_b32 v11, v11
	s_waitcnt lgkmcnt(0)
	v_add_u32_e32 v7, v11, v7
	s_or_b64 exec, exec, s[38:39]
	s_and_saveexec_b64 s[38:39], s[10:11]
	s_cbranch_execz .LBB193_53
.LBB193_69:                             ;   in Loop: Header=BB193_47 Depth=1
	v_mov_b32_e32 v11, s47
	ds_read_b32 v11, v11
	s_waitcnt lgkmcnt(0)
	v_add_u32_e32 v7, v11, v7
	s_or_b64 exec, exec, s[38:39]
	s_and_saveexec_b64 s[38:39], s[12:13]
	s_cbranch_execz .LBB193_54
.LBB193_70:                             ;   in Loop: Header=BB193_47 Depth=1
	v_mov_b32_e32 v11, s52
	ds_read_b32 v11, v11
	s_waitcnt lgkmcnt(0)
	v_add_u32_e32 v7, v11, v7
	s_or_b64 exec, exec, s[38:39]
	s_and_saveexec_b64 s[38:39], s[14:15]
	s_cbranch_execz .LBB193_55
.LBB193_71:                             ;   in Loop: Header=BB193_47 Depth=1
	v_mov_b32_e32 v11, s53
	ds_read_b32 v11, v11
	s_waitcnt lgkmcnt(0)
	v_add_u32_e32 v7, v11, v7
	s_or_b64 exec, exec, s[38:39]
	s_and_saveexec_b64 s[38:39], s[16:17]
	s_cbranch_execz .LBB193_56
.LBB193_72:                             ;   in Loop: Header=BB193_47 Depth=1
	v_mov_b32_e32 v11, s54
	ds_read_b32 v11, v11
	s_waitcnt lgkmcnt(0)
	v_add_u32_e32 v7, v11, v7
	s_or_b64 exec, exec, s[38:39]
	s_and_saveexec_b64 s[38:39], s[18:19]
	s_cbranch_execz .LBB193_57
.LBB193_73:                             ;   in Loop: Header=BB193_47 Depth=1
	v_mov_b32_e32 v11, s55
	ds_read_b32 v11, v11
	s_waitcnt lgkmcnt(0)
	v_add_u32_e32 v7, v11, v7
	s_or_b64 exec, exec, s[38:39]
	s_and_saveexec_b64 s[38:39], s[20:21]
	s_cbranch_execz .LBB193_58
.LBB193_74:                             ;   in Loop: Header=BB193_47 Depth=1
	v_mov_b32_e32 v11, s56
	ds_read_b32 v11, v11
	s_waitcnt lgkmcnt(0)
	v_add_u32_e32 v7, v11, v7
	s_or_b64 exec, exec, s[38:39]
	s_and_saveexec_b64 s[38:39], s[22:23]
	s_cbranch_execz .LBB193_59
.LBB193_75:                             ;   in Loop: Header=BB193_47 Depth=1
	v_mov_b32_e32 v11, s57
	ds_read_b32 v11, v11
	s_waitcnt lgkmcnt(0)
	v_add_u32_e32 v7, v11, v7
	s_or_b64 exec, exec, s[38:39]
	s_and_saveexec_b64 s[38:39], s[24:25]
	s_cbranch_execz .LBB193_60
.LBB193_76:                             ;   in Loop: Header=BB193_47 Depth=1
	v_mov_b32_e32 v11, s58
	ds_read_b32 v11, v11
	s_waitcnt lgkmcnt(0)
	v_add_u32_e32 v7, v11, v7
	s_or_b64 exec, exec, s[38:39]
	s_and_saveexec_b64 s[38:39], s[26:27]
	s_cbranch_execz .LBB193_61
.LBB193_77:                             ;   in Loop: Header=BB193_47 Depth=1
	v_mov_b32_e32 v11, s59
	ds_read_b32 v11, v11
	s_waitcnt lgkmcnt(0)
	v_add_u32_e32 v7, v11, v7
	s_or_b64 exec, exec, s[38:39]
	s_and_saveexec_b64 s[38:39], s[28:29]
	s_cbranch_execz .LBB193_62
.LBB193_78:                             ;   in Loop: Header=BB193_47 Depth=1
	v_mov_b32_e32 v11, s60
	ds_read_b32 v11, v11
	s_waitcnt lgkmcnt(0)
	v_add_u32_e32 v7, v11, v7
	s_or_b64 exec, exec, s[38:39]
	s_and_saveexec_b64 s[38:39], s[30:31]
	s_cbranch_execz .LBB193_63
.LBB193_79:                             ;   in Loop: Header=BB193_47 Depth=1
	v_add3_u32 v11, v4, -1, v7
	v_lshl_add_u32 v11, v11, 2, 0
	v_add_u32_e32 v12, 0x20000, v11
	ds_write_b32 v11, v8
	ds_write_b32 v12, v9
	s_or_b64 exec, exec, s[38:39]
	s_and_saveexec_b64 s[30:31], vcc
	s_cbranch_execz .LBB193_46
.LBB193_80:                             ;   in Loop: Header=BB193_47 Depth=1
	v_mov_b32_e32 v8, s61
	ds_write_b32 v8, v7
	s_branch .LBB193_46
.LBB193_81:
	s_or_b64 exec, exec, s[36:37]
	s_ashr_i32 s35, s34, 31
	s_lshl_b64 s[0:1], s[34:35], 3
	s_add_u32 s0, s42, s0
	s_addc_u32 s1, s43, s1
	s_load_dwordx4 s[0:3], s[0:1], 0x0
	s_waitcnt lgkmcnt(0)
	s_sub_i32 s8, s2, s0
	v_cmp_gt_i32_e32 vcc, s8, v0
	s_and_saveexec_b64 s[4:5], vcc
	s_cbranch_execz .LBB193_91
; %bb.82:
	s_sub_u32 s4, s0, s46
	s_subb_u32 s5, s1, 0
	s_and_b32 s9, s8, 7
	s_sub_i32 s0, s0, s2
	s_cmp_lt_u32 s0, -7
	s_cselect_b64 s[0:1], -1, 0
	s_and_b32 s10, s8, -8
	s_cmp_lg_u32 s9, 0
	v_cndmask_b32_e64 v1, 0, 1, s[0:1]
	s_cselect_b64 s[2:3], -1, 0
	v_cmp_ne_u32_e64 s[0:1], 1, v1
	v_cndmask_b32_e64 v1, 0, 1, s[2:3]
	s_mov_b64 s[6:7], 0
	v_cmp_ne_u32_e64 s[2:3], 1, v1
	s_branch .LBB193_84
.LBB193_83:                             ;   in Loop: Header=BB193_84 Depth=1
	v_lshlrev_b64 v[2:3], 2, v[2:3]
	s_waitcnt lgkmcnt(1)
	v_add_u32_e32 v6, s46, v4
	v_mov_b32_e32 v5, s49
	v_add_co_u32_e32 v4, vcc, s48, v2
	v_addc_co_u32_e32 v5, vcc, v5, v3, vcc
	global_store_dword v[4:5], v6, off
	v_mov_b32_e32 v4, s51
	v_add_co_u32_e32 v2, vcc, s50, v2
	v_addc_co_u32_e32 v3, vcc, v4, v3, vcc
	v_add_u32_e32 v0, 0x400, v0
	v_cmp_le_i32_e32 vcc, s8, v0
	s_or_b64 s[6:7], vcc, s[6:7]
	s_waitcnt lgkmcnt(0)
	global_store_dword v[2:3], v1, off
	s_andn2_b64 exec, exec, s[6:7]
	s_cbranch_execz .LBB193_91
.LBB193_84:                             ; =>This Loop Header: Depth=1
                                        ;     Child Loop BB193_86 Depth 2
                                        ;     Child Loop BB193_90 Depth 2
	v_lshl_add_u32 v1, v0, 2, 0
	v_add_u32_e32 v2, 0x20000, v1
	ds_read_b32 v4, v1
	ds_read_b32 v1, v2
	s_and_b64 vcc, exec, s[0:1]
	v_pk_mov_b32 v[2:3], s[4:5], s[4:5] op_sel:[0,1]
	s_mov_b32 s11, 0
	s_cbranch_vccnz .LBB193_88
; %bb.85:                               ;   in Loop: Header=BB193_84 Depth=1
	s_mov_b32 s12, 0
	v_pk_mov_b32 v[2:3], s[4:5], s[4:5] op_sel:[0,1]
.LBB193_86:                             ;   Parent Loop BB193_84 Depth=1
                                        ; =>  This Inner Loop Header: Depth=2
	v_mov_b32_e32 v5, s12
	ds_read2_b32 v[6:7], v5 offset1:1
	ds_read2_b32 v[8:9], v5 offset0:2 offset1:3
	ds_read2_b32 v[10:11], v5 offset0:4 offset1:5
	;; [unrolled: 1-line block ×3, first 2 shown]
	s_add_i32 s11, s11, 8
	s_waitcnt lgkmcnt(3)
	v_cmp_gt_i32_e32 vcc, v4, v6
	v_cndmask_b32_e64 v5, 0, 1, vcc
	v_cmp_gt_i32_e32 vcc, v4, v7
	v_cndmask_b32_e64 v6, 0, 1, vcc
	s_waitcnt lgkmcnt(2)
	v_cmp_gt_i32_e32 vcc, v4, v8
	v_cndmask_b32_e64 v7, 0, 1, vcc
	v_cmp_gt_i32_e32 vcc, v4, v9
	v_cndmask_b32_e64 v8, 0, 1, vcc
	;; [unrolled: 5-line block ×4, first 2 shown]
	v_add_co_u32_e32 v2, vcc, v2, v5
	v_addc_co_u32_e32 v3, vcc, 0, v3, vcc
	v_add_co_u32_e32 v2, vcc, v2, v6
	v_addc_co_u32_e32 v3, vcc, 0, v3, vcc
	v_add_co_u32_e32 v2, vcc, v2, v7
	v_addc_co_u32_e32 v3, vcc, 0, v3, vcc
	v_add_co_u32_e32 v2, vcc, v2, v8
	v_addc_co_u32_e32 v3, vcc, 0, v3, vcc
	v_add_co_u32_e32 v2, vcc, v2, v9
	v_addc_co_u32_e32 v3, vcc, 0, v3, vcc
	v_add_co_u32_e32 v2, vcc, v2, v10
	v_addc_co_u32_e32 v3, vcc, 0, v3, vcc
	v_add_co_u32_e32 v2, vcc, v2, v11
	v_addc_co_u32_e32 v3, vcc, 0, v3, vcc
	s_add_i32 s12, s12, 32
	v_add_co_u32_e32 v2, vcc, v2, v12
	s_cmp_eq_u32 s10, s11
	v_addc_co_u32_e32 v3, vcc, 0, v3, vcc
	s_cbranch_scc0 .LBB193_86
; %bb.87:                               ;   in Loop: Header=BB193_84 Depth=1
	s_mov_b32 s11, s10
.LBB193_88:                             ;   in Loop: Header=BB193_84 Depth=1
	s_and_b64 vcc, exec, s[2:3]
	s_cbranch_vccnz .LBB193_83
; %bb.89:                               ;   in Loop: Header=BB193_84 Depth=1
	s_lshl_b32 s11, s11, 2
	s_add_i32 s11, s11, 0
	s_mov_b32 s12, s9
.LBB193_90:                             ;   Parent Loop BB193_84 Depth=1
                                        ; =>  This Inner Loop Header: Depth=2
	v_mov_b32_e32 v5, s11
	ds_read_b32 v5, v5
	s_add_i32 s11, s11, 4
	s_add_i32 s12, s12, -1
	s_cmp_lg_u32 s12, 0
	s_waitcnt lgkmcnt(0)
	v_cmp_gt_i32_e32 vcc, v4, v5
	v_cndmask_b32_e64 v5, 0, 1, vcc
	v_add_co_u32_e32 v2, vcc, v2, v5
	v_addc_co_u32_e32 v3, vcc, 0, v3, vcc
	s_cbranch_scc1 .LBB193_90
	s_branch .LBB193_83
.LBB193_91:
	s_endpgm
	.section	.rodata,"a",@progbits
	.p2align	6, 0x0
	.amdhsa_kernel _ZN9rocsparseL26csrgemm_fill_block_per_rowILj1024ELj64ELj32768ELj137ELj64ElifEEvT5_PKS1_S3_NS_24const_host_device_scalarIT6_EEPKT4_S3_PKS5_S9_S3_SB_S6_S9_S3_SB_S9_PS1_PS5_21rocsparse_index_base_SE_SE_SE_bbb
		.amdhsa_group_segment_fixed_size 0
		.amdhsa_private_segment_fixed_size 0
		.amdhsa_kernarg_size 156
		.amdhsa_user_sgpr_count 6
		.amdhsa_user_sgpr_private_segment_buffer 1
		.amdhsa_user_sgpr_dispatch_ptr 0
		.amdhsa_user_sgpr_queue_ptr 0
		.amdhsa_user_sgpr_kernarg_segment_ptr 1
		.amdhsa_user_sgpr_dispatch_id 0
		.amdhsa_user_sgpr_flat_scratch_init 0
		.amdhsa_user_sgpr_kernarg_preload_length 0
		.amdhsa_user_sgpr_kernarg_preload_offset 0
		.amdhsa_user_sgpr_private_segment_size 0
		.amdhsa_uses_dynamic_stack 0
		.amdhsa_system_sgpr_private_segment_wavefront_offset 0
		.amdhsa_system_sgpr_workgroup_id_x 1
		.amdhsa_system_sgpr_workgroup_id_y 0
		.amdhsa_system_sgpr_workgroup_id_z 0
		.amdhsa_system_sgpr_workgroup_info 0
		.amdhsa_system_vgpr_workitem_id 0
		.amdhsa_next_free_vgpr 24
		.amdhsa_next_free_sgpr 63
		.amdhsa_accum_offset 24
		.amdhsa_reserve_vcc 1
		.amdhsa_reserve_flat_scratch 0
		.amdhsa_float_round_mode_32 0
		.amdhsa_float_round_mode_16_64 0
		.amdhsa_float_denorm_mode_32 3
		.amdhsa_float_denorm_mode_16_64 3
		.amdhsa_dx10_clamp 1
		.amdhsa_ieee_mode 1
		.amdhsa_fp16_overflow 0
		.amdhsa_tg_split 0
		.amdhsa_exception_fp_ieee_invalid_op 0
		.amdhsa_exception_fp_denorm_src 0
		.amdhsa_exception_fp_ieee_div_zero 0
		.amdhsa_exception_fp_ieee_overflow 0
		.amdhsa_exception_fp_ieee_underflow 0
		.amdhsa_exception_fp_ieee_inexact 0
		.amdhsa_exception_int_div_zero 0
	.end_amdhsa_kernel
	.section	.text._ZN9rocsparseL26csrgemm_fill_block_per_rowILj1024ELj64ELj32768ELj137ELj64ElifEEvT5_PKS1_S3_NS_24const_host_device_scalarIT6_EEPKT4_S3_PKS5_S9_S3_SB_S6_S9_S3_SB_S9_PS1_PS5_21rocsparse_index_base_SE_SE_SE_bbb,"axG",@progbits,_ZN9rocsparseL26csrgemm_fill_block_per_rowILj1024ELj64ELj32768ELj137ELj64ElifEEvT5_PKS1_S3_NS_24const_host_device_scalarIT6_EEPKT4_S3_PKS5_S9_S3_SB_S6_S9_S3_SB_S9_PS1_PS5_21rocsparse_index_base_SE_SE_SE_bbb,comdat
.Lfunc_end193:
	.size	_ZN9rocsparseL26csrgemm_fill_block_per_rowILj1024ELj64ELj32768ELj137ELj64ElifEEvT5_PKS1_S3_NS_24const_host_device_scalarIT6_EEPKT4_S3_PKS5_S9_S3_SB_S6_S9_S3_SB_S9_PS1_PS5_21rocsparse_index_base_SE_SE_SE_bbb, .Lfunc_end193-_ZN9rocsparseL26csrgemm_fill_block_per_rowILj1024ELj64ELj32768ELj137ELj64ElifEEvT5_PKS1_S3_NS_24const_host_device_scalarIT6_EEPKT4_S3_PKS5_S9_S3_SB_S6_S9_S3_SB_S9_PS1_PS5_21rocsparse_index_base_SE_SE_SE_bbb
                                        ; -- End function
	.section	.AMDGPU.csdata,"",@progbits
; Kernel info:
; codeLenInByte = 3260
; NumSgprs: 67
; NumVgprs: 24
; NumAgprs: 0
; TotalNumVgprs: 24
; ScratchSize: 0
; MemoryBound: 0
; FloatMode: 240
; IeeeMode: 1
; LDSByteSize: 0 bytes/workgroup (compile time only)
; SGPRBlocks: 8
; VGPRBlocks: 2
; NumSGPRsForWavesPerEU: 67
; NumVGPRsForWavesPerEU: 24
; AccumOffset: 24
; Occupancy: 8
; WaveLimiterHint : 1
; COMPUTE_PGM_RSRC2:SCRATCH_EN: 0
; COMPUTE_PGM_RSRC2:USER_SGPR: 6
; COMPUTE_PGM_RSRC2:TRAP_HANDLER: 0
; COMPUTE_PGM_RSRC2:TGID_X_EN: 1
; COMPUTE_PGM_RSRC2:TGID_Y_EN: 0
; COMPUTE_PGM_RSRC2:TGID_Z_EN: 0
; COMPUTE_PGM_RSRC2:TIDIG_COMP_CNT: 0
; COMPUTE_PGM_RSRC3_GFX90A:ACCUM_OFFSET: 5
; COMPUTE_PGM_RSRC3_GFX90A:TG_SPLIT: 0
	.section	.text._ZN9rocsparseL36csrgemm_fill_block_per_row_multipassILj512ELj16ELj2048ELj32ElifEEvT4_PKS1_S3_NS_24const_host_device_scalarIT5_EEPKT3_S3_PKS5_S9_S3_SB_S6_S9_S3_SB_S9_PS1_PS5_PS7_21rocsparse_index_base_SF_SF_SF_bbb,"axG",@progbits,_ZN9rocsparseL36csrgemm_fill_block_per_row_multipassILj512ELj16ELj2048ELj32ElifEEvT4_PKS1_S3_NS_24const_host_device_scalarIT5_EEPKT3_S3_PKS5_S9_S3_SB_S6_S9_S3_SB_S9_PS1_PS5_PS7_21rocsparse_index_base_SF_SF_SF_bbb,comdat
	.globl	_ZN9rocsparseL36csrgemm_fill_block_per_row_multipassILj512ELj16ELj2048ELj32ElifEEvT4_PKS1_S3_NS_24const_host_device_scalarIT5_EEPKT3_S3_PKS5_S9_S3_SB_S6_S9_S3_SB_S9_PS1_PS5_PS7_21rocsparse_index_base_SF_SF_SF_bbb ; -- Begin function _ZN9rocsparseL36csrgemm_fill_block_per_row_multipassILj512ELj16ELj2048ELj32ElifEEvT4_PKS1_S3_NS_24const_host_device_scalarIT5_EEPKT3_S3_PKS5_S9_S3_SB_S6_S9_S3_SB_S9_PS1_PS5_PS7_21rocsparse_index_base_SF_SF_SF_bbb
	.p2align	8
	.type	_ZN9rocsparseL36csrgemm_fill_block_per_row_multipassILj512ELj16ELj2048ELj32ElifEEvT4_PKS1_S3_NS_24const_host_device_scalarIT5_EEPKT3_S3_PKS5_S9_S3_SB_S6_S9_S3_SB_S9_PS1_PS5_PS7_21rocsparse_index_base_SF_SF_SF_bbb,@function
_ZN9rocsparseL36csrgemm_fill_block_per_row_multipassILj512ELj16ELj2048ELj32ElifEEvT4_PKS1_S3_NS_24const_host_device_scalarIT5_EEPKT3_S3_PKS5_S9_S3_SB_S6_S9_S3_SB_S9_PS1_PS5_PS7_21rocsparse_index_base_SF_SF_SF_bbb: ; @_ZN9rocsparseL36csrgemm_fill_block_per_row_multipassILj512ELj16ELj2048ELj32ElifEEvT4_PKS1_S3_NS_24const_host_device_scalarIT5_EEPKT3_S3_PKS5_S9_S3_SB_S6_S9_S3_SB_S9_PS1_PS5_PS7_21rocsparse_index_base_SF_SF_SF_bbb
; %bb.0:
	s_load_dword s7, s[4:5], 0xa0
	s_load_dwordx4 s[12:15], s[4:5], 0x8
	s_load_dwordx2 s[0:1], s[4:5], 0x18
	s_load_dwordx4 s[56:59], s[4:5], 0x90
	s_load_dwordx2 s[2:3], s[4:5], 0x50
	s_waitcnt lgkmcnt(0)
	s_bitcmp1_b32 s7, 0
	s_cselect_b64 s[8:9], -1, 0
	s_bitcmp1_b32 s7, 16
	s_cselect_b64 s[10:11], -1, 0
	s_xor_b64 s[16:17], s[8:9], -1
	s_or_b64 s[16:17], s[16:17], s[10:11]
	s_and_b64 vcc, exec, s[16:17]
	s_cbranch_vccnz .LBB194_2
; %bb.1:
	s_load_dword s0, s[0:1], 0x0
	s_waitcnt lgkmcnt(0)
	v_mov_b32_e32 v1, s0
	s_branch .LBB194_3
.LBB194_2:
	v_mov_b32_e32 v1, s0
	v_cndmask_b32_e64 v1, 0, v1, s[8:9]
.LBB194_3:
	s_load_dwordx2 s[16:17], s[4:5], 0x20
	s_bitcmp1_b32 s7, 8
	s_cselect_b64 s[0:1], -1, 0
	s_xor_b64 s[18:19], s[0:1], -1
	s_or_b64 s[10:11], s[18:19], s[10:11]
	s_mov_b32 s7, 0
	s_and_b64 vcc, exec, s[10:11]
	s_cbranch_vccnz .LBB194_5
; %bb.4:
	s_load_dword s2, s[2:3], 0x0
	s_waitcnt lgkmcnt(0)
	v_mov_b32_e32 v3, s2
	s_branch .LBB194_6
.LBB194_5:
	v_mov_b32_e32 v2, s2
	v_cndmask_b32_e64 v3, 0, v2, s[0:1]
.LBB194_6:
	s_load_dword s2, s[12:13], 0x0
	v_cndmask_b32_e64 v2, 0, 1, s[8:9]
	s_mov_b64 s[60:61], 0
	s_waitcnt lgkmcnt(0)
	s_add_i32 s6, s2, s6
	s_lshl_b64 s[2:3], s[6:7], 2
	s_add_u32 s2, s14, s2
	s_addc_u32 s3, s15, s3
	s_load_dword s10, s[2:3], 0x0
	v_cmp_ne_u32_e64 s[2:3], 1, v2
	s_andn2_b64 vcc, exec, s[8:9]
	s_mov_b64 s[6:7], 0
	s_cbranch_vccz .LBB194_9
; %bb.7:
	s_and_b64 vcc, exec, s[2:3]
	s_cbranch_vccz .LBB194_10
.LBB194_8:
	s_load_dword s33, s[4:5], 0x0
	s_waitcnt lgkmcnt(0)
	s_cmp_lt_i32 s33, 1
	s_cbranch_scc0 .LBB194_11
	s_branch .LBB194_64
.LBB194_9:
	s_waitcnt lgkmcnt(0)
	s_ashr_i32 s11, s10, 31
	s_lshl_b64 s[6:7], s[10:11], 3
	s_add_u32 s6, s16, s6
	s_addc_u32 s7, s17, s7
	s_load_dwordx2 s[6:7], s[6:7], 0x0
	s_waitcnt lgkmcnt(0)
	s_sub_u32 s6, s6, s56
	s_subb_u32 s7, s7, 0
	s_and_b64 vcc, exec, s[2:3]
	s_cbranch_vccnz .LBB194_8
.LBB194_10:
	s_waitcnt lgkmcnt(0)
	s_ashr_i32 s11, s10, 31
	s_lshl_b64 s[2:3], s[10:11], 3
	s_add_u32 s2, s16, s2
	s_addc_u32 s3, s17, s3
	s_load_dwordx2 s[2:3], s[2:3], 0x8
	s_waitcnt lgkmcnt(0)
	s_sub_u32 s60, s2, s56
	s_subb_u32 s61, s3, 0
	s_load_dword s33, s[4:5], 0x0
	s_waitcnt lgkmcnt(0)
	s_cmp_lt_i32 s33, 1
	s_cbranch_scc1 .LBB194_64
.LBB194_11:
	s_load_dwordx8 s[16:23], s[4:5], 0x58
	s_load_dwordx2 s[62:63], s[4:5], 0x88
	s_load_dwordx4 s[36:39], s[4:5], 0x78
	s_load_dwordx2 s[64:65], s[4:5], 0x48
	s_ashr_i32 s11, s10, 31
	s_lshl_b64 s[10:11], s[10:11], 3
	s_waitcnt lgkmcnt(0)
	s_add_u32 s2, s22, s10
	s_addc_u32 s3, s23, s11
	s_load_dwordx2 s[12:13], s[2:3], 0x0
	s_load_dwordx8 s[48:55], s[4:5], 0x28
                                        ; implicit-def: $vgpr39 : SGPR spill to VGPR lane
	v_lshrrev_b32_e32 v4, 4, v0
	v_mov_b32_e32 v5, s7
	v_add_co_u32_e32 v4, vcc, s6, v4
	s_waitcnt lgkmcnt(0)
	s_sub_u32 s68, s12, s58
	s_subb_u32 s69, s13, 0
	s_add_u32 s46, s16, s10
	v_writelane_b32 v39, s16, 0
	v_writelane_b32 v39, s17, 1
	;; [unrolled: 1-line block ×3, first 2 shown]
	v_addc_co_u32_e32 v5, vcc, 0, v5, vcc
	v_writelane_b32 v39, s19, 3
	v_cmp_gt_i64_e32 vcc, s[60:61], v[4:5]
	v_writelane_b32 v39, s20, 4
	v_writelane_b32 v39, s21, 5
	s_addc_u32 s47, s17, s11
	s_and_b64 s[66:67], s[8:9], vcc
	v_writelane_b32 v39, s22, 6
	s_add_u32 s89, s52, 8
	v_writelane_b32 v39, s23, 7
	s_mov_b32 s6, s59
	s_addc_u32 s90, s53, 0
	v_writelane_b32 v39, s6, 8
	v_subrev_co_u32_e64 v29, s[6:7], s59, v0
	v_mbcnt_lo_u32_b32 v6, -1, 0
	s_add_u32 s91, s36, -4
	v_subb_co_u32_e64 v30, s[6:7], 0, 0, s[6:7]
	v_mbcnt_hi_u32_b32 v6, -1, v6
	s_addc_u32 s92, s37, -1
	v_and_b32_e32 v2, 15, v0
	s_mov_b32 s88, 0
	v_sub_u32_e32 v6, 63, v6
	v_lshrrev_b32_e32 v8, 3, v0
	s_movk_i32 s6, 0x1ff
	s_movk_i32 s12, 0x60
	;; [unrolled: 1-line block ×12, first 2 shown]
	s_add_u32 s93, s38, -4
	s_movk_i32 s36, 0x1c0
	s_movk_i32 s38, 0x1e0
	v_cmp_eq_u32_e64 s[2:3], 0, v0
	v_mov_b32_e32 v28, 0
	s_mov_b32 s87, s57
	v_cmp_eq_u32_e64 s[4:5], 15, v2
	v_lshrrev_b64 v[6:7], v6, -1
	v_and_b32_e32 v31, 60, v8
	v_cmp_eq_u32_e64 s[6:7], s6, v0
	v_cmp_gt_u32_e64 s[8:9], 32, v0
	v_cmp_gt_u32_e64 s[10:11], 64, v0
	v_cmp_gt_u32_e64 s[12:13], s12, v0
	v_cmp_gt_u32_e64 s[14:15], s14, v0
	v_cmp_gt_u32_e64 s[16:17], s16, v0
	v_cmp_gt_u32_e64 s[18:19], s18, v0
	v_cmp_gt_u32_e64 s[20:21], s20, v0
	v_cmp_gt_u32_e64 s[22:23], s22, v0
	v_cmp_gt_u32_e64 s[24:25], s24, v0
	v_cmp_gt_u32_e64 s[26:27], s26, v0
	v_cmp_gt_u32_e64 s[28:29], s28, v0
	v_cmp_gt_u32_e64 s[30:31], s30, v0
	v_cmp_gt_u32_e64 s[34:35], s34, v0
	s_addc_u32 s94, s39, -1
	v_cmp_gt_u32_e64 s[36:37], s36, v0
	v_pk_mov_b32 v[8:9], s[68:69], s[68:69] op_sel:[0,1]
	v_cmp_gt_u32_e64 s[38:39], s38, v0
	v_or_b32_e32 v32, 0xfffffe00, v0
	v_lshlrev_b32_e32 v33, 2, v0
	v_mov_b32_e32 v35, 0x800
	s_movk_i32 s95, 0x5ff
	v_mov_b32_e32 v34, 1
	s_mov_b32 s86, s88
	s_branch .LBB194_13
.LBB194_12:                             ;   in Loop: Header=BB194_13 Depth=1
	s_or_b64 exec, exec, s[40:41]
	ds_read_b32 v10, v28 offset:10240
	s_waitcnt lgkmcnt(0)
	s_barrier
	v_cmp_le_i32_e32 vcc, s33, v10
	v_readfirstlane_b32 s86, v10
	v_add_u32_e32 v35, 0x800, v10
	s_cbranch_vccnz .LBB194_64
.LBB194_13:                             ; =>This Loop Header: Depth=1
                                        ;     Child Loop BB194_14 Depth 2
                                        ;     Child Loop BB194_20 Depth 2
                                        ;       Child Loop BB194_26 Depth 3
                                        ;     Child Loop BB194_43 Depth 2
                                        ;     Child Loop BB194_55 Depth 2
	;; [unrolled: 1-line block ×3, first 2 shown]
	s_mov_b64 s[40:41], 0
	v_mov_b32_e32 v10, v33
	v_mov_b32_e32 v11, v32
.LBB194_14:                             ;   Parent Loop BB194_13 Depth=1
                                        ; =>  This Inner Loop Header: Depth=2
	ds_write_b8 v11, v28 offset:8704
	ds_write_b32 v10, v28
	v_add_u32_e32 v11, 0x200, v11
	v_cmp_lt_u32_e32 vcc, s95, v11
	s_or_b64 s[40:41], vcc, s[40:41]
	v_add_u32_e32 v10, 0x800, v10
	s_andn2_b64 exec, exec, s[40:41]
	s_cbranch_execnz .LBB194_14
; %bb.15:                               ;   in Loop: Header=BB194_13 Depth=1
	s_or_b64 exec, exec, s[40:41]
	s_and_saveexec_b64 s[40:41], s[2:3]
	s_cbranch_execz .LBB194_17
; %bb.16:                               ;   in Loop: Header=BB194_13 Depth=1
	v_mov_b32_e32 v10, s33
	ds_write_b32 v28, v10 offset:10240
.LBB194_17:                             ;   in Loop: Header=BB194_13 Depth=1
	s_or_b64 exec, exec, s[40:41]
	v_mov_b32_e32 v36, s33
	s_waitcnt lgkmcnt(0)
	s_barrier
	s_and_saveexec_b64 s[68:69], s[66:67]
	s_cbranch_execz .LBB194_39
; %bb.18:                               ;   in Loop: Header=BB194_13 Depth=1
	s_cmp_lg_u32 s86, 0
	s_mov_b64 s[70:71], 0
	s_cselect_b64 s[72:73], -1, 0
	v_mov_b32_e32 v36, s33
	v_pk_mov_b32 v[10:11], v[4:5], v[4:5] op_sel:[0,1]
	s_branch .LBB194_20
.LBB194_19:                             ;   in Loop: Header=BB194_20 Depth=2
	s_or_b64 exec, exec, s[40:41]
	v_add_co_u32_e32 v10, vcc, 32, v10
	v_addc_co_u32_e32 v11, vcc, 0, v11, vcc
	v_cmp_le_i64_e32 vcc, s[60:61], v[10:11]
	s_or_b64 s[70:71], vcc, s[70:71]
	s_andn2_b64 exec, exec, s[70:71]
	s_cbranch_execz .LBB194_38
.LBB194_20:                             ;   Parent Loop BB194_13 Depth=1
                                        ; =>  This Loop Header: Depth=2
                                        ;       Child Loop BB194_26 Depth 3
	v_lshlrev_b64 v[12:13], 2, v[10:11]
	v_mov_b32_e32 v15, s49
	v_add_co_u32_e32 v14, vcc, s48, v12
	v_addc_co_u32_e32 v15, vcc, v15, v13, vcc
	global_load_dword v14, v[14:15], off
	v_mov_b32_e32 v15, s51
	v_add_co_u32_e32 v12, vcc, s50, v12
	v_addc_co_u32_e32 v13, vcc, v15, v13, vcc
	global_load_dword v20, v[12:13], off
	s_and_b64 vcc, exec, s[72:73]
	v_lshlrev_b64 v[12:13], 3, v[10:11]
	s_waitcnt vmcnt(1)
	v_subrev_u32_e32 v14, s56, v14
	v_ashrrev_i32_e32 v15, 31, v14
	s_cbranch_vccz .LBB194_37
; %bb.21:                               ;   in Loop: Header=BB194_20 Depth=2
	v_mov_b32_e32 v17, s63
	v_add_co_u32_e32 v16, vcc, s62, v12
	v_addc_co_u32_e32 v17, vcc, v17, v13, vcc
	global_load_dwordx2 v[18:19], v[16:17], off
	s_cbranch_execnz .LBB194_23
.LBB194_22:                             ;   in Loop: Header=BB194_20 Depth=2
	v_lshlrev_b64 v[16:17], 3, v[14:15]
	s_waitcnt vmcnt(0)
	v_mov_b32_e32 v18, s53
	v_add_co_u32_e32 v16, vcc, s52, v16
	v_addc_co_u32_e32 v17, vcc, v18, v17, vcc
	global_load_dwordx2 v[16:17], v[16:17], off
	v_mov_b32_e32 v19, s88
	s_waitcnt vmcnt(0)
	v_subrev_co_u32_e32 v18, vcc, s87, v16
	v_subb_co_u32_e32 v19, vcc, v17, v19, vcc
.LBB194_23:                             ;   in Loop: Header=BB194_20 Depth=2
	v_lshlrev_b64 v[14:15], 3, v[14:15]
	v_mov_b32_e32 v16, s90
	v_add_co_u32_e32 v14, vcc, s89, v14
	v_addc_co_u32_e32 v15, vcc, v16, v15, vcc
	global_load_dwordx2 v[14:15], v[14:15], off
	v_mov_b32_e32 v17, s88
	s_waitcnt vmcnt(0)
	v_subrev_co_u32_e32 v16, vcc, s87, v14
	v_subb_co_u32_e32 v17, vcc, v15, v17, vcc
	v_add_co_u32_e32 v14, vcc, v18, v2
	v_addc_co_u32_e32 v15, vcc, 0, v19, vcc
	v_cmp_lt_i64_e32 vcc, v[14:15], v[16:17]
	s_and_saveexec_b64 s[74:75], vcc
	s_cbranch_execz .LBB194_35
; %bb.24:                               ;   in Loop: Header=BB194_20 Depth=2
	v_mul_f32_e32 v37, v1, v20
	v_lshlrev_b64 v[20:21], 2, v[14:15]
	v_mov_b32_e32 v19, s55
	v_add_co_u32_e32 v18, vcc, s54, v20
	v_addc_co_u32_e32 v19, vcc, v19, v21, vcc
	v_mov_b32_e32 v22, s65
	v_add_co_u32_e32 v20, vcc, s64, v20
	v_addc_co_u32_e32 v21, vcc, v22, v21, vcc
	s_mov_b64 s[78:79], 0
	v_pk_mov_b32 v[22:23], v[14:15], v[14:15] op_sel:[0,1]
                                        ; implicit-def: $sgpr76_sgpr77
                                        ; implicit-def: $sgpr80_sgpr81
	s_branch .LBB194_26
.LBB194_25:                             ;   in Loop: Header=BB194_26 Depth=3
	s_or_b64 exec, exec, s[82:83]
	s_and_b64 s[40:41], exec, s[84:85]
	s_or_b64 s[78:79], s[40:41], s[78:79]
	s_andn2_b64 s[40:41], s[76:77], exec
	s_and_b64 s[42:43], s[80:81], exec
	s_or_b64 s[76:77], s[40:41], s[42:43]
	v_pk_mov_b32 v[22:23], v[24:25], v[24:25] op_sel:[0,1]
	s_andn2_b64 exec, exec, s[78:79]
	s_cbranch_execz .LBB194_32
.LBB194_26:                             ;   Parent Loop BB194_13 Depth=1
                                        ;     Parent Loop BB194_20 Depth=2
                                        ; =>    This Inner Loop Header: Depth=3
	global_load_dword v24, v[18:19], off
                                        ; implicit-def: $sgpr82_sgpr83
	s_waitcnt vmcnt(0)
	v_subrev_u32_e32 v38, s57, v24
	v_cmp_gt_i32_e32 vcc, s86, v38
	v_cmp_ge_i32_e64 s[40:41], v38, v35
	s_or_b64 s[84:85], vcc, s[40:41]
	s_mov_b64 s[40:41], 0
	s_and_saveexec_b64 vcc, s[84:85]
	s_xor_b64 s[84:85], exec, vcc
; %bb.27:                               ;   in Loop: Header=BB194_26 Depth=3
	v_cmp_lt_i32_e32 vcc, v38, v35
	s_mov_b64 s[82:83], -1
	s_and_b64 s[40:41], vcc, exec
; %bb.28:                               ;   in Loop: Header=BB194_26 Depth=3
	s_andn2_saveexec_b64 s[84:85], s[84:85]
	s_cbranch_execz .LBB194_30
; %bb.29:                               ;   in Loop: Header=BB194_26 Depth=3
	global_load_dword v24, v[20:21], off
	v_subrev_u32_e32 v25, s86, v38
	ds_write_b8 v25, v34 offset:8192
	v_lshlrev_b32_e32 v25, 2, v25
	s_or_b64 s[40:41], s[40:41], exec
	s_waitcnt vmcnt(0)
	v_mul_f32_e32 v24, v37, v24
	ds_add_f32 v25, v24
.LBB194_30:                             ;   in Loop: Header=BB194_26 Depth=3
	s_or_b64 exec, exec, s[84:85]
	s_andn2_b64 s[42:43], s[80:81], exec
	s_and_b64 s[44:45], s[82:83], exec
	s_mov_b64 s[84:85], -1
	s_or_b64 s[80:81], s[42:43], s[44:45]
	v_pk_mov_b32 v[26:27], v[22:23], v[22:23] op_sel:[0,1]
                                        ; implicit-def: $vgpr24_vgpr25
	s_and_saveexec_b64 s[82:83], s[40:41]
	s_cbranch_execz .LBB194_25
; %bb.31:                               ;   in Loop: Header=BB194_26 Depth=3
	v_add_co_u32_e32 v24, vcc, 16, v22
	v_addc_co_u32_e32 v25, vcc, 0, v23, vcc
	v_add_co_u32_e32 v18, vcc, 64, v18
	v_addc_co_u32_e32 v19, vcc, 0, v19, vcc
	;; [unrolled: 2-line block ×3, first 2 shown]
	v_cmp_ge_i64_e32 vcc, v[24:25], v[16:17]
	s_andn2_b64 s[80:81], s[80:81], exec
	s_orn2_b64 s[84:85], vcc, exec
	v_pk_mov_b32 v[26:27], v[22:23], v[22:23] op_sel:[0,1]
	s_branch .LBB194_25
.LBB194_32:                             ;   in Loop: Header=BB194_20 Depth=2
	s_or_b64 exec, exec, s[78:79]
	s_and_saveexec_b64 s[40:41], s[76:77]
	s_xor_b64 s[40:41], exec, s[40:41]
; %bb.33:                               ;   in Loop: Header=BB194_20 Depth=2
	v_min_i32_e32 v36, v38, v36
	v_pk_mov_b32 v[14:15], v[26:27], v[26:27] op_sel:[0,1]
; %bb.34:                               ;   in Loop: Header=BB194_20 Depth=2
	s_or_b64 exec, exec, s[40:41]
.LBB194_35:                             ;   in Loop: Header=BB194_20 Depth=2
	s_or_b64 exec, exec, s[74:75]
	v_mov_b32_dpp v16, v14 row_shr:1 row_mask:0xf bank_mask:0xf
	v_mov_b32_dpp v17, v15 row_shr:1 row_mask:0xf bank_mask:0xf
	v_cmp_lt_i64_e32 vcc, v[16:17], v[14:15]
	v_cndmask_b32_e32 v15, v15, v17, vcc
	v_cndmask_b32_e32 v14, v14, v16, vcc
	s_nop 0
	v_mov_b32_dpp v17, v15 row_shr:2 row_mask:0xf bank_mask:0xf
	v_mov_b32_dpp v16, v14 row_shr:2 row_mask:0xf bank_mask:0xf
	v_cmp_lt_i64_e32 vcc, v[16:17], v[14:15]
	v_cndmask_b32_e32 v15, v15, v17, vcc
	v_cndmask_b32_e32 v14, v14, v16, vcc
	s_nop 0
	;; [unrolled: 6-line block ×3, first 2 shown]
	v_mov_b32_dpp v17, v15 row_shr:8 row_mask:0xf bank_mask:0xc
	v_mov_b32_dpp v16, v14 row_shr:8 row_mask:0xf bank_mask:0xc
	s_and_saveexec_b64 s[40:41], s[4:5]
	s_cbranch_execz .LBB194_19
; %bb.36:                               ;   in Loop: Header=BB194_20 Depth=2
	v_cmp_lt_i64_e32 vcc, v[16:17], v[14:15]
	v_cndmask_b32_e32 v15, v15, v17, vcc
	v_cndmask_b32_e32 v14, v14, v16, vcc
	v_mov_b32_e32 v16, s63
	v_add_co_u32_e32 v12, vcc, s62, v12
	v_addc_co_u32_e32 v13, vcc, v16, v13, vcc
	global_store_dwordx2 v[12:13], v[14:15], off
	s_branch .LBB194_19
.LBB194_37:                             ;   in Loop: Header=BB194_20 Depth=2
                                        ; implicit-def: $vgpr18_vgpr19
	s_branch .LBB194_22
.LBB194_38:                             ;   in Loop: Header=BB194_13 Depth=1
	s_or_b64 exec, exec, s[70:71]
.LBB194_39:                             ;   in Loop: Header=BB194_13 Depth=1
	s_or_b64 exec, exec, s[68:69]
	s_andn2_b64 vcc, exec, s[0:1]
	s_cbranch_vccnz .LBB194_53
; %bb.40:                               ;   in Loop: Header=BB194_13 Depth=1
	s_load_dwordx4 s[68:71], s[46:47], 0x0
	v_readlane_b32 s40, v39, 8
	s_waitcnt lgkmcnt(0)
	s_sub_u32 s70, s70, s40
	v_mov_b32_e32 v11, s69
	v_add_co_u32_e32 v10, vcc, s68, v29
	s_subb_u32 s71, s71, 0
	v_addc_co_u32_e32 v11, vcc, v11, v30, vcc
	v_cmp_gt_i64_e32 vcc, s[70:71], v[10:11]
	s_and_saveexec_b64 s[68:69], vcc
	s_cbranch_execz .LBB194_52
; %bb.41:                               ;   in Loop: Header=BB194_13 Depth=1
	v_readlane_b32 s72, v39, 0
	v_readlane_b32 s74, v39, 2
	;; [unrolled: 1-line block ×3, first 2 shown]
	v_lshlrev_b64 v[14:15], 2, v[10:11]
	s_mov_b64 s[42:43], s[74:75]
	v_readlane_b32 s76, v39, 4
	v_readlane_b32 s77, v39, 5
	v_mov_b32_e32 v13, s43
	v_add_co_u32_e32 v12, vcc, s42, v14
	s_mov_b64 s[44:45], s[76:77]
	v_addc_co_u32_e32 v13, vcc, v13, v15, vcc
	v_readlane_b32 s73, v39, 1
	v_mov_b32_e32 v16, s45
	v_add_co_u32_e32 v14, vcc, s44, v14
	v_addc_co_u32_e32 v15, vcc, v16, v15, vcc
	s_mov_b64 s[72:73], 0
	v_readlane_b32 s78, v39, 6
	v_readlane_b32 s79, v39, 7
                                        ; implicit-def: $sgpr74_sgpr75
                                        ; implicit-def: $sgpr76_sgpr77
	s_branch .LBB194_43
.LBB194_42:                             ;   in Loop: Header=BB194_43 Depth=2
	s_or_b64 exec, exec, s[78:79]
	s_and_b64 s[40:41], exec, s[80:81]
	s_or_b64 s[72:73], s[40:41], s[72:73]
	s_andn2_b64 s[40:41], s[74:75], exec
	s_and_b64 s[42:43], s[76:77], exec
	s_or_b64 s[74:75], s[40:41], s[42:43]
	s_andn2_b64 exec, exec, s[72:73]
	s_cbranch_execz .LBB194_49
.LBB194_43:                             ;   Parent Loop BB194_13 Depth=1
                                        ; =>  This Inner Loop Header: Depth=2
	global_load_dword v16, v[12:13], off
                                        ; implicit-def: $sgpr78_sgpr79
	s_waitcnt vmcnt(0)
	v_subrev_u32_e32 v16, s59, v16
	v_cmp_gt_i32_e32 vcc, s86, v16
	v_cmp_ge_i32_e64 s[40:41], v16, v35
	s_or_b64 s[42:43], vcc, s[40:41]
	s_mov_b64 s[40:41], 0
	s_and_saveexec_b64 s[44:45], s[42:43]
	s_xor_b64 s[80:81], exec, s[44:45]
; %bb.44:                               ;   in Loop: Header=BB194_43 Depth=2
	v_cmp_lt_i32_e32 vcc, v16, v35
	s_mov_b64 s[78:79], -1
	s_and_b64 s[40:41], vcc, exec
; %bb.45:                               ;   in Loop: Header=BB194_43 Depth=2
	s_andn2_saveexec_b64 s[80:81], s[80:81]
	s_cbranch_execz .LBB194_47
; %bb.46:                               ;   in Loop: Header=BB194_43 Depth=2
	global_load_dword v17, v[14:15], off
	v_subrev_u32_e32 v18, s86, v16
	ds_write_b8 v18, v34 offset:8192
	v_lshlrev_b32_e32 v18, 2, v18
	s_or_b64 s[40:41], s[40:41], exec
	s_waitcnt vmcnt(0)
	v_mul_f32_e32 v17, v3, v17
	ds_add_f32 v18, v17
.LBB194_47:                             ;   in Loop: Header=BB194_43 Depth=2
	s_or_b64 exec, exec, s[80:81]
	s_andn2_b64 s[42:43], s[76:77], exec
	s_and_b64 s[44:45], s[78:79], exec
	s_mov_b64 s[80:81], -1
	s_or_b64 s[76:77], s[42:43], s[44:45]
	s_and_saveexec_b64 s[78:79], s[40:41]
	s_cbranch_execz .LBB194_42
; %bb.48:                               ;   in Loop: Header=BB194_43 Depth=2
	v_add_co_u32_e32 v10, vcc, 0x200, v10
	v_addc_co_u32_e32 v11, vcc, 0, v11, vcc
	v_add_co_u32_e32 v12, vcc, 0x800, v12
	v_addc_co_u32_e32 v13, vcc, 0, v13, vcc
	;; [unrolled: 2-line block ×3, first 2 shown]
	v_cmp_le_i64_e32 vcc, s[70:71], v[10:11]
	s_andn2_b64 s[76:77], s[76:77], exec
	s_orn2_b64 s[80:81], vcc, exec
	s_branch .LBB194_42
.LBB194_49:                             ;   in Loop: Header=BB194_13 Depth=1
	s_or_b64 exec, exec, s[72:73]
	s_and_saveexec_b64 s[40:41], s[74:75]
	s_xor_b64 s[40:41], exec, s[40:41]
; %bb.50:                               ;   in Loop: Header=BB194_13 Depth=1
	v_min_i32_e32 v36, v16, v36
; %bb.51:                               ;   in Loop: Header=BB194_13 Depth=1
	s_or_b64 exec, exec, s[40:41]
.LBB194_52:                             ;   in Loop: Header=BB194_13 Depth=1
	s_or_b64 exec, exec, s[68:69]
.LBB194_53:                             ;   in Loop: Header=BB194_13 Depth=1
	v_mov_b32_dpp v10, v36 row_shr:1 row_mask:0xf bank_mask:0xf
	v_min_i32_e32 v10, v10, v36
	s_nop 1
	v_mov_b32_dpp v11, v10 row_shr:2 row_mask:0xf bank_mask:0xf
	v_min_i32_e32 v10, v11, v10
	s_nop 1
	;; [unrolled: 3-line block ×3, first 2 shown]
	v_mov_b32_dpp v11, v10 row_shr:8 row_mask:0xf bank_mask:0xc
	s_and_saveexec_b64 s[40:41], s[4:5]
	s_cbranch_execz .LBB194_58
; %bb.54:                               ;   in Loop: Header=BB194_13 Depth=1
	s_mov_b64 s[68:69], exec
	v_min_i32_e32 v10, v11, v10
	s_brev_b32 s70, -2
.LBB194_55:                             ;   Parent Loop BB194_13 Depth=1
                                        ; =>  This Inner Loop Header: Depth=2
	s_ff1_i32_b64 s42, s[68:69]
	v_readlane_b32 s44, v10, s42
	s_lshl_b64 s[42:43], 1, s42
	s_min_i32 s70, s70, s44
	s_andn2_b64 s[68:69], s[68:69], s[42:43]
	s_cmp_lg_u64 s[68:69], 0
	s_cbranch_scc1 .LBB194_55
; %bb.56:                               ;   in Loop: Header=BB194_13 Depth=1
	v_mbcnt_lo_u32_b32 v10, exec_lo, 0
	v_mbcnt_hi_u32_b32 v10, exec_hi, v10
	v_cmp_eq_u32_e32 vcc, 0, v10
	s_and_saveexec_b64 s[42:43], vcc
	s_xor_b64 s[42:43], exec, s[42:43]
	s_cbranch_execz .LBB194_58
; %bb.57:                               ;   in Loop: Header=BB194_13 Depth=1
	v_mov_b32_e32 v10, s70
	ds_min_i32 v28, v10 offset:10240
.LBB194_58:                             ;   in Loop: Header=BB194_13 Depth=1
	s_or_b64 exec, exec, s[40:41]
	s_add_i32 s70, s58, s86
	s_mov_b64 s[40:41], 0
	v_mov_b32_e32 v10, v33
	v_mov_b32_e32 v11, v0
	s_waitcnt lgkmcnt(0)
	s_barrier
	s_branch .LBB194_60
.LBB194_59:                             ;   in Loop: Header=BB194_60 Depth=2
	s_or_b64 exec, exec, s[68:69]
	s_waitcnt lgkmcnt(0)
	s_barrier
	ds_read_b32 v12, v28 offset:60
	v_add_u32_e32 v10, 0x800, v10
	s_waitcnt lgkmcnt(0)
	v_ashrrev_i32_e32 v13, 31, v12
	v_add_co_u32_e32 v8, vcc, v8, v12
	v_addc_co_u32_e32 v9, vcc, v9, v13, vcc
	v_add_u32_e32 v12, 0x200, v11
	v_cmp_lt_u32_e32 vcc, s95, v11
	s_or_b64 s[40:41], vcc, s[40:41]
	v_mov_b32_e32 v11, v12
	s_andn2_b64 exec, exec, s[40:41]
	s_cbranch_execz .LBB194_12
.LBB194_60:                             ;   Parent Loop BB194_13 Depth=1
                                        ; =>  This Inner Loop Header: Depth=2
	ds_read_u8 v26, v11 offset:8192
	ds_read_b32 v12, v10
	s_waitcnt lgkmcnt(0)
	s_barrier
	v_cmp_ne_u16_e32 vcc, 0, v26
	s_bcnt1_i32_b64 s42, vcc
	v_and_b32_e32 v14, vcc_lo, v6
	v_bcnt_u32_b32 v18, v14, 0
	v_mov_b32_e32 v14, s42
	ds_write_b32 v31, v14
	s_waitcnt lgkmcnt(0)
	s_barrier
	ds_read_b128 v[14:17], v28
	v_and_b32_e32 v13, vcc_hi, v7
	v_bcnt_u32_b32 v13, v13, v18
	ds_read_b128 v[18:21], v28 offset:16
	ds_read_b128 v[22:25], v28 offset:32
	ds_read_b96 v[36:38], v28 offset:48
	s_waitcnt lgkmcnt(3)
	v_cndmask_b32_e64 v14, v14, 0, s[8:9]
	v_add_u32_e32 v13, v14, v13
	v_cndmask_b32_e64 v14, v15, 0, s[10:11]
	v_cndmask_b32_e64 v15, v16, 0, s[12:13]
	v_add3_u32 v13, v13, v14, v15
	v_cndmask_b32_e64 v14, v17, 0, s[14:15]
	s_waitcnt lgkmcnt(2)
	v_cndmask_b32_e64 v15, v18, 0, s[16:17]
	v_add3_u32 v13, v13, v14, v15
	v_cndmask_b32_e64 v14, v19, 0, s[18:19]
	v_cndmask_b32_e64 v15, v20, 0, s[20:21]
	v_add3_u32 v13, v13, v14, v15
	v_cndmask_b32_e64 v14, v21, 0, s[22:23]
	s_waitcnt lgkmcnt(1)
	v_cndmask_b32_e64 v15, v22, 0, s[24:25]
	v_add3_u32 v13, v13, v14, v15
	;; [unrolled: 7-line block ×3, first 2 shown]
	v_cndmask_b32_e64 v14, v37, 0, s[36:37]
	v_cndmask_b32_e64 v15, v38, 0, s[38:39]
	v_add3_u32 v13, v13, v14, v15
	v_and_b32_e32 v14, 1, v26
	v_cmp_eq_u32_e32 vcc, 1, v14
	s_and_saveexec_b64 s[68:69], vcc
	s_cbranch_execz .LBB194_62
; %bb.61:                               ;   in Loop: Header=BB194_60 Depth=2
	v_ashrrev_i32_e32 v15, 31, v13
	v_add_co_u32_e32 v14, vcc, v8, v13
	v_addc_co_u32_e32 v15, vcc, v9, v15, vcc
	v_lshlrev_b64 v[14:15], 2, v[14:15]
	v_mov_b32_e32 v17, s92
	v_add_co_u32_e32 v16, vcc, s91, v14
	v_add_u32_e32 v18, s70, v11
	v_addc_co_u32_e32 v17, vcc, v17, v15, vcc
	global_store_dword v[16:17], v18, off
	v_mov_b32_e32 v16, s94
	v_add_co_u32_e32 v14, vcc, s93, v14
	v_addc_co_u32_e32 v15, vcc, v16, v15, vcc
	global_store_dword v[14:15], v12, off
.LBB194_62:                             ;   in Loop: Header=BB194_60 Depth=2
	s_or_b64 exec, exec, s[68:69]
	s_and_saveexec_b64 s[68:69], s[6:7]
	s_cbranch_execz .LBB194_59
; %bb.63:                               ;   in Loop: Header=BB194_60 Depth=2
	ds_write_b32 v28, v13 offset:60
	s_branch .LBB194_59
.LBB194_64:
	s_endpgm
	.section	.rodata,"a",@progbits
	.p2align	6, 0x0
	.amdhsa_kernel _ZN9rocsparseL36csrgemm_fill_block_per_row_multipassILj512ELj16ELj2048ELj32ElifEEvT4_PKS1_S3_NS_24const_host_device_scalarIT5_EEPKT3_S3_PKS5_S9_S3_SB_S6_S9_S3_SB_S9_PS1_PS5_PS7_21rocsparse_index_base_SF_SF_SF_bbb
		.amdhsa_group_segment_fixed_size 10244
		.amdhsa_private_segment_fixed_size 0
		.amdhsa_kernarg_size 164
		.amdhsa_user_sgpr_count 6
		.amdhsa_user_sgpr_private_segment_buffer 1
		.amdhsa_user_sgpr_dispatch_ptr 0
		.amdhsa_user_sgpr_queue_ptr 0
		.amdhsa_user_sgpr_kernarg_segment_ptr 1
		.amdhsa_user_sgpr_dispatch_id 0
		.amdhsa_user_sgpr_flat_scratch_init 0
		.amdhsa_user_sgpr_kernarg_preload_length 0
		.amdhsa_user_sgpr_kernarg_preload_offset 0
		.amdhsa_user_sgpr_private_segment_size 0
		.amdhsa_uses_dynamic_stack 0
		.amdhsa_system_sgpr_private_segment_wavefront_offset 0
		.amdhsa_system_sgpr_workgroup_id_x 1
		.amdhsa_system_sgpr_workgroup_id_y 0
		.amdhsa_system_sgpr_workgroup_id_z 0
		.amdhsa_system_sgpr_workgroup_info 0
		.amdhsa_system_vgpr_workitem_id 0
		.amdhsa_next_free_vgpr 40
		.amdhsa_next_free_sgpr 96
		.amdhsa_accum_offset 40
		.amdhsa_reserve_vcc 1
		.amdhsa_reserve_flat_scratch 0
		.amdhsa_float_round_mode_32 0
		.amdhsa_float_round_mode_16_64 0
		.amdhsa_float_denorm_mode_32 3
		.amdhsa_float_denorm_mode_16_64 3
		.amdhsa_dx10_clamp 1
		.amdhsa_ieee_mode 1
		.amdhsa_fp16_overflow 0
		.amdhsa_tg_split 0
		.amdhsa_exception_fp_ieee_invalid_op 0
		.amdhsa_exception_fp_denorm_src 0
		.amdhsa_exception_fp_ieee_div_zero 0
		.amdhsa_exception_fp_ieee_overflow 0
		.amdhsa_exception_fp_ieee_underflow 0
		.amdhsa_exception_fp_ieee_inexact 0
		.amdhsa_exception_int_div_zero 0
	.end_amdhsa_kernel
	.section	.text._ZN9rocsparseL36csrgemm_fill_block_per_row_multipassILj512ELj16ELj2048ELj32ElifEEvT4_PKS1_S3_NS_24const_host_device_scalarIT5_EEPKT3_S3_PKS5_S9_S3_SB_S6_S9_S3_SB_S9_PS1_PS5_PS7_21rocsparse_index_base_SF_SF_SF_bbb,"axG",@progbits,_ZN9rocsparseL36csrgemm_fill_block_per_row_multipassILj512ELj16ELj2048ELj32ElifEEvT4_PKS1_S3_NS_24const_host_device_scalarIT5_EEPKT3_S3_PKS5_S9_S3_SB_S6_S9_S3_SB_S9_PS1_PS5_PS7_21rocsparse_index_base_SF_SF_SF_bbb,comdat
.Lfunc_end194:
	.size	_ZN9rocsparseL36csrgemm_fill_block_per_row_multipassILj512ELj16ELj2048ELj32ElifEEvT4_PKS1_S3_NS_24const_host_device_scalarIT5_EEPKT3_S3_PKS5_S9_S3_SB_S6_S9_S3_SB_S9_PS1_PS5_PS7_21rocsparse_index_base_SF_SF_SF_bbb, .Lfunc_end194-_ZN9rocsparseL36csrgemm_fill_block_per_row_multipassILj512ELj16ELj2048ELj32ElifEEvT4_PKS1_S3_NS_24const_host_device_scalarIT5_EEPKT3_S3_PKS5_S9_S3_SB_S6_S9_S3_SB_S9_PS1_PS5_PS7_21rocsparse_index_base_SF_SF_SF_bbb
                                        ; -- End function
	.section	.AMDGPU.csdata,"",@progbits
; Kernel info:
; codeLenInByte = 2892
; NumSgprs: 100
; NumVgprs: 40
; NumAgprs: 0
; TotalNumVgprs: 40
; ScratchSize: 0
; MemoryBound: 0
; FloatMode: 240
; IeeeMode: 1
; LDSByteSize: 10244 bytes/workgroup (compile time only)
; SGPRBlocks: 12
; VGPRBlocks: 4
; NumSGPRsForWavesPerEU: 100
; NumVGPRsForWavesPerEU: 40
; AccumOffset: 40
; Occupancy: 8
; WaveLimiterHint : 1
; COMPUTE_PGM_RSRC2:SCRATCH_EN: 0
; COMPUTE_PGM_RSRC2:USER_SGPR: 6
; COMPUTE_PGM_RSRC2:TRAP_HANDLER: 0
; COMPUTE_PGM_RSRC2:TGID_X_EN: 1
; COMPUTE_PGM_RSRC2:TGID_Y_EN: 0
; COMPUTE_PGM_RSRC2:TGID_Z_EN: 0
; COMPUTE_PGM_RSRC2:TIDIG_COMP_CNT: 0
; COMPUTE_PGM_RSRC3_GFX90A:ACCUM_OFFSET: 9
; COMPUTE_PGM_RSRC3_GFX90A:TG_SPLIT: 0
	.section	.text._ZN9rocsparseL36csrgemm_fill_block_per_row_multipassILj512ELj16ELj2048ELj64ElifEEvT4_PKS1_S3_NS_24const_host_device_scalarIT5_EEPKT3_S3_PKS5_S9_S3_SB_S6_S9_S3_SB_S9_PS1_PS5_PS7_21rocsparse_index_base_SF_SF_SF_bbb,"axG",@progbits,_ZN9rocsparseL36csrgemm_fill_block_per_row_multipassILj512ELj16ELj2048ELj64ElifEEvT4_PKS1_S3_NS_24const_host_device_scalarIT5_EEPKT3_S3_PKS5_S9_S3_SB_S6_S9_S3_SB_S9_PS1_PS5_PS7_21rocsparse_index_base_SF_SF_SF_bbb,comdat
	.globl	_ZN9rocsparseL36csrgemm_fill_block_per_row_multipassILj512ELj16ELj2048ELj64ElifEEvT4_PKS1_S3_NS_24const_host_device_scalarIT5_EEPKT3_S3_PKS5_S9_S3_SB_S6_S9_S3_SB_S9_PS1_PS5_PS7_21rocsparse_index_base_SF_SF_SF_bbb ; -- Begin function _ZN9rocsparseL36csrgemm_fill_block_per_row_multipassILj512ELj16ELj2048ELj64ElifEEvT4_PKS1_S3_NS_24const_host_device_scalarIT5_EEPKT3_S3_PKS5_S9_S3_SB_S6_S9_S3_SB_S9_PS1_PS5_PS7_21rocsparse_index_base_SF_SF_SF_bbb
	.p2align	8
	.type	_ZN9rocsparseL36csrgemm_fill_block_per_row_multipassILj512ELj16ELj2048ELj64ElifEEvT4_PKS1_S3_NS_24const_host_device_scalarIT5_EEPKT3_S3_PKS5_S9_S3_SB_S6_S9_S3_SB_S9_PS1_PS5_PS7_21rocsparse_index_base_SF_SF_SF_bbb,@function
_ZN9rocsparseL36csrgemm_fill_block_per_row_multipassILj512ELj16ELj2048ELj64ElifEEvT4_PKS1_S3_NS_24const_host_device_scalarIT5_EEPKT3_S3_PKS5_S9_S3_SB_S6_S9_S3_SB_S9_PS1_PS5_PS7_21rocsparse_index_base_SF_SF_SF_bbb: ; @_ZN9rocsparseL36csrgemm_fill_block_per_row_multipassILj512ELj16ELj2048ELj64ElifEEvT4_PKS1_S3_NS_24const_host_device_scalarIT5_EEPKT3_S3_PKS5_S9_S3_SB_S6_S9_S3_SB_S9_PS1_PS5_PS7_21rocsparse_index_base_SF_SF_SF_bbb
; %bb.0:
	s_load_dword s7, s[4:5], 0xa0
	s_load_dwordx4 s[12:15], s[4:5], 0x8
	s_load_dwordx2 s[0:1], s[4:5], 0x18
	s_load_dwordx4 s[44:47], s[4:5], 0x90
	s_load_dwordx2 s[2:3], s[4:5], 0x50
	s_waitcnt lgkmcnt(0)
	s_bitcmp1_b32 s7, 0
	s_cselect_b64 s[8:9], -1, 0
	s_bitcmp1_b32 s7, 16
	s_cselect_b64 s[10:11], -1, 0
	s_xor_b64 s[16:17], s[8:9], -1
	s_or_b64 s[16:17], s[16:17], s[10:11]
	s_and_b64 vcc, exec, s[16:17]
	s_cbranch_vccnz .LBB195_2
; %bb.1:
	s_load_dword s0, s[0:1], 0x0
	s_waitcnt lgkmcnt(0)
	v_mov_b32_e32 v1, s0
	s_branch .LBB195_3
.LBB195_2:
	v_mov_b32_e32 v1, s0
	v_cndmask_b32_e64 v1, 0, v1, s[8:9]
.LBB195_3:
	s_load_dwordx2 s[16:17], s[4:5], 0x20
	s_bitcmp1_b32 s7, 8
	s_cselect_b64 s[0:1], -1, 0
	s_xor_b64 s[18:19], s[0:1], -1
	s_or_b64 s[10:11], s[18:19], s[10:11]
	s_mov_b32 s7, 0
	s_and_b64 vcc, exec, s[10:11]
	s_cbranch_vccnz .LBB195_5
; %bb.4:
	s_load_dword s2, s[2:3], 0x0
	s_waitcnt lgkmcnt(0)
	v_mov_b32_e32 v3, s2
	s_branch .LBB195_6
.LBB195_5:
	v_mov_b32_e32 v2, s2
	v_cndmask_b32_e64 v3, 0, v2, s[0:1]
.LBB195_6:
	s_load_dword s2, s[12:13], 0x0
	v_cndmask_b32_e64 v2, 0, 1, s[8:9]
	s_mov_b64 s[34:35], 0
	s_waitcnt lgkmcnt(0)
	s_add_i32 s6, s2, s6
	s_lshl_b64 s[2:3], s[6:7], 2
	s_add_u32 s2, s14, s2
	s_addc_u32 s3, s15, s3
	s_load_dword s10, s[2:3], 0x0
	v_cmp_ne_u32_e64 s[2:3], 1, v2
	s_andn2_b64 vcc, exec, s[8:9]
	s_mov_b64 s[6:7], 0
	s_cbranch_vccz .LBB195_9
; %bb.7:
	s_and_b64 vcc, exec, s[2:3]
	s_cbranch_vccz .LBB195_10
.LBB195_8:
	s_load_dword s33, s[4:5], 0x0
	s_waitcnt lgkmcnt(0)
	s_cmp_lt_i32 s33, 1
	s_cbranch_scc0 .LBB195_11
	s_branch .LBB195_64
.LBB195_9:
	s_waitcnt lgkmcnt(0)
	s_ashr_i32 s11, s10, 31
	s_lshl_b64 s[6:7], s[10:11], 3
	s_add_u32 s6, s16, s6
	s_addc_u32 s7, s17, s7
	s_load_dwordx2 s[6:7], s[6:7], 0x0
	s_waitcnt lgkmcnt(0)
	s_sub_u32 s6, s6, s44
	s_subb_u32 s7, s7, 0
	s_and_b64 vcc, exec, s[2:3]
	s_cbranch_vccnz .LBB195_8
.LBB195_10:
	s_waitcnt lgkmcnt(0)
	s_ashr_i32 s11, s10, 31
	s_lshl_b64 s[2:3], s[10:11], 3
	s_add_u32 s2, s16, s2
	s_addc_u32 s3, s17, s3
	s_load_dwordx2 s[2:3], s[2:3], 0x8
	s_waitcnt lgkmcnt(0)
	s_sub_u32 s34, s2, s44
	s_subb_u32 s35, s3, 0
	s_load_dword s33, s[4:5], 0x0
	s_waitcnt lgkmcnt(0)
	s_cmp_lt_i32 s33, 1
	s_cbranch_scc1 .LBB195_64
.LBB195_11:
	s_load_dwordx8 s[24:31], s[4:5], 0x58
	s_load_dwordx2 s[52:53], s[4:5], 0x88
	s_load_dwordx4 s[48:51], s[4:5], 0x78
	s_load_dwordx2 s[54:55], s[4:5], 0x48
	s_ashr_i32 s11, s10, 31
	s_lshl_b64 s[10:11], s[10:11], 3
	s_waitcnt lgkmcnt(0)
	s_add_u32 s2, s30, s10
	s_addc_u32 s3, s31, s11
	s_load_dwordx2 s[12:13], s[2:3], 0x0
	s_load_dwordx8 s[36:43], s[4:5], 0x28
	v_lshrrev_b32_e32 v8, 4, v0
	v_mov_b32_e32 v5, s7
	v_add_co_u32_e32 v4, vcc, s6, v8
	s_waitcnt lgkmcnt(0)
	s_sub_u32 s22, s12, s46
	s_subb_u32 s23, s13, 0
	v_addc_co_u32_e32 v5, vcc, 0, v5, vcc
	v_cmp_gt_i64_e32 vcc, s[34:35], v[4:5]
	s_add_u32 s24, s24, s10
	s_addc_u32 s25, s25, s11
	s_and_b64 s[30:31], s[8:9], vcc
	s_add_u32 s73, s40, 8
	s_addc_u32 s74, s41, 0
	v_subrev_co_u32_e64 v29, s[6:7], s47, v0
	v_mbcnt_lo_u32_b32 v6, -1, 0
	s_add_u32 s75, s48, -4
	v_subb_co_u32_e64 v30, s[6:7], 0, 0, s[6:7]
	v_mbcnt_hi_u32_b32 v6, -1, v6
	s_addc_u32 s76, s49, -1
	v_and_b32_e32 v2, 15, v0
	s_mov_b32 s70, 0
	v_sub_u32_e32 v6, 63, v6
	s_movk_i32 s6, 0x1ff
	s_movk_i32 s10, 0x80
	s_movk_i32 s12, 0xc0
	s_movk_i32 s14, 0x100
	s_movk_i32 s16, 0x140
	s_movk_i32 s18, 0x180
	s_movk_i32 s20, 0x1c0
	s_add_u32 s77, s50, -4
	v_cmp_eq_u32_e64 s[2:3], 0, v0
	v_mov_b32_e32 v28, 0
	s_mov_b32 s71, s45
	v_cmp_eq_u32_e64 s[4:5], 15, v2
	s_mov_b32 s72, s47
	v_lshrrev_b64 v[6:7], v6, -1
	v_and_b32_e32 v31, 28, v8
	v_cmp_eq_u32_e64 s[6:7], s6, v0
	v_cmp_gt_u32_e64 s[8:9], 64, v0
	v_cmp_gt_u32_e64 s[10:11], s10, v0
	;; [unrolled: 1-line block ×7, first 2 shown]
	s_addc_u32 s78, s51, -1
	v_or_b32_e32 v32, 0xfffffe00, v0
	v_lshlrev_b32_e32 v33, 2, v0
	v_mov_b32_e32 v35, 0x800
	v_pk_mov_b32 v[8:9], s[22:23], s[22:23] op_sel:[0,1]
	s_movk_i32 s79, 0x5ff
	v_mov_b32_e32 v34, 1
	s_mov_b32 s80, s70
	s_branch .LBB195_13
.LBB195_12:                             ;   in Loop: Header=BB195_13 Depth=1
	s_or_b64 exec, exec, s[22:23]
	ds_read_b32 v10, v28 offset:10240
	s_waitcnt lgkmcnt(0)
	s_barrier
	v_cmp_le_i32_e32 vcc, s33, v10
	v_readfirstlane_b32 s80, v10
	v_add_u32_e32 v35, 0x800, v10
	s_cbranch_vccnz .LBB195_64
.LBB195_13:                             ; =>This Loop Header: Depth=1
                                        ;     Child Loop BB195_14 Depth 2
                                        ;     Child Loop BB195_20 Depth 2
                                        ;       Child Loop BB195_26 Depth 3
                                        ;     Child Loop BB195_43 Depth 2
                                        ;     Child Loop BB195_55 Depth 2
                                        ;     Child Loop BB195_60 Depth 2
	s_mov_b64 s[22:23], 0
	v_mov_b32_e32 v10, v33
	v_mov_b32_e32 v11, v32
.LBB195_14:                             ;   Parent Loop BB195_13 Depth=1
                                        ; =>  This Inner Loop Header: Depth=2
	ds_write_b8 v11, v28 offset:8704
	ds_write_b32 v10, v28
	v_add_u32_e32 v11, 0x200, v11
	v_cmp_lt_u32_e32 vcc, s79, v11
	s_or_b64 s[22:23], vcc, s[22:23]
	v_add_u32_e32 v10, 0x800, v10
	s_andn2_b64 exec, exec, s[22:23]
	s_cbranch_execnz .LBB195_14
; %bb.15:                               ;   in Loop: Header=BB195_13 Depth=1
	s_or_b64 exec, exec, s[22:23]
	s_and_saveexec_b64 s[22:23], s[2:3]
	s_cbranch_execz .LBB195_17
; %bb.16:                               ;   in Loop: Header=BB195_13 Depth=1
	v_mov_b32_e32 v10, s33
	ds_write_b32 v28, v10 offset:10240
.LBB195_17:                             ;   in Loop: Header=BB195_13 Depth=1
	s_or_b64 exec, exec, s[22:23]
	v_mov_b32_e32 v36, s33
	s_waitcnt lgkmcnt(0)
	s_barrier
	s_and_saveexec_b64 s[48:49], s[30:31]
	s_cbranch_execz .LBB195_39
; %bb.18:                               ;   in Loop: Header=BB195_13 Depth=1
	s_cmp_lg_u32 s80, 0
	s_mov_b64 s[50:51], 0
	s_cselect_b64 s[56:57], -1, 0
	v_mov_b32_e32 v36, s33
	v_pk_mov_b32 v[10:11], v[4:5], v[4:5] op_sel:[0,1]
	s_branch .LBB195_20
.LBB195_19:                             ;   in Loop: Header=BB195_20 Depth=2
	s_or_b64 exec, exec, s[22:23]
	v_add_co_u32_e32 v10, vcc, 32, v10
	v_addc_co_u32_e32 v11, vcc, 0, v11, vcc
	v_cmp_le_i64_e32 vcc, s[34:35], v[10:11]
	s_or_b64 s[50:51], vcc, s[50:51]
	s_andn2_b64 exec, exec, s[50:51]
	s_cbranch_execz .LBB195_38
.LBB195_20:                             ;   Parent Loop BB195_13 Depth=1
                                        ; =>  This Loop Header: Depth=2
                                        ;       Child Loop BB195_26 Depth 3
	v_lshlrev_b64 v[12:13], 2, v[10:11]
	v_mov_b32_e32 v15, s37
	v_add_co_u32_e32 v14, vcc, s36, v12
	v_addc_co_u32_e32 v15, vcc, v15, v13, vcc
	global_load_dword v14, v[14:15], off
	v_mov_b32_e32 v15, s39
	v_add_co_u32_e32 v12, vcc, s38, v12
	v_addc_co_u32_e32 v13, vcc, v15, v13, vcc
	global_load_dword v20, v[12:13], off
	s_and_b64 vcc, exec, s[56:57]
	v_lshlrev_b64 v[12:13], 3, v[10:11]
	s_waitcnt vmcnt(1)
	v_subrev_u32_e32 v14, s44, v14
	v_ashrrev_i32_e32 v15, 31, v14
	s_cbranch_vccz .LBB195_37
; %bb.21:                               ;   in Loop: Header=BB195_20 Depth=2
	v_mov_b32_e32 v17, s53
	v_add_co_u32_e32 v16, vcc, s52, v12
	v_addc_co_u32_e32 v17, vcc, v17, v13, vcc
	global_load_dwordx2 v[18:19], v[16:17], off
	s_cbranch_execnz .LBB195_23
.LBB195_22:                             ;   in Loop: Header=BB195_20 Depth=2
	v_lshlrev_b64 v[16:17], 3, v[14:15]
	s_waitcnt vmcnt(0)
	v_mov_b32_e32 v18, s41
	v_add_co_u32_e32 v16, vcc, s40, v16
	v_addc_co_u32_e32 v17, vcc, v18, v17, vcc
	global_load_dwordx2 v[16:17], v[16:17], off
	v_mov_b32_e32 v19, s70
	s_waitcnt vmcnt(0)
	v_subrev_co_u32_e32 v18, vcc, s71, v16
	v_subb_co_u32_e32 v19, vcc, v17, v19, vcc
.LBB195_23:                             ;   in Loop: Header=BB195_20 Depth=2
	v_lshlrev_b64 v[14:15], 3, v[14:15]
	v_mov_b32_e32 v16, s74
	v_add_co_u32_e32 v14, vcc, s73, v14
	v_addc_co_u32_e32 v15, vcc, v16, v15, vcc
	global_load_dwordx2 v[14:15], v[14:15], off
	v_mov_b32_e32 v17, s70
	s_waitcnt vmcnt(0)
	v_subrev_co_u32_e32 v16, vcc, s71, v14
	v_subb_co_u32_e32 v17, vcc, v15, v17, vcc
	v_add_co_u32_e32 v14, vcc, v18, v2
	v_addc_co_u32_e32 v15, vcc, 0, v19, vcc
	v_cmp_lt_i64_e32 vcc, v[14:15], v[16:17]
	s_and_saveexec_b64 s[58:59], vcc
	s_cbranch_execz .LBB195_35
; %bb.24:                               ;   in Loop: Header=BB195_20 Depth=2
	v_mul_f32_e32 v37, v1, v20
	v_lshlrev_b64 v[20:21], 2, v[14:15]
	v_mov_b32_e32 v19, s43
	v_add_co_u32_e32 v18, vcc, s42, v20
	v_addc_co_u32_e32 v19, vcc, v19, v21, vcc
	v_mov_b32_e32 v22, s55
	v_add_co_u32_e32 v20, vcc, s54, v20
	v_addc_co_u32_e32 v21, vcc, v22, v21, vcc
	s_mov_b64 s[62:63], 0
	v_pk_mov_b32 v[22:23], v[14:15], v[14:15] op_sel:[0,1]
                                        ; implicit-def: $sgpr60_sgpr61
                                        ; implicit-def: $sgpr64_sgpr65
	s_branch .LBB195_26
.LBB195_25:                             ;   in Loop: Header=BB195_26 Depth=3
	s_or_b64 exec, exec, s[66:67]
	s_and_b64 s[22:23], exec, s[68:69]
	s_or_b64 s[62:63], s[22:23], s[62:63]
	s_andn2_b64 s[22:23], s[60:61], exec
	s_and_b64 s[60:61], s[64:65], exec
	s_or_b64 s[60:61], s[22:23], s[60:61]
	v_pk_mov_b32 v[22:23], v[24:25], v[24:25] op_sel:[0,1]
	s_andn2_b64 exec, exec, s[62:63]
	s_cbranch_execz .LBB195_32
.LBB195_26:                             ;   Parent Loop BB195_13 Depth=1
                                        ;     Parent Loop BB195_20 Depth=2
                                        ; =>    This Inner Loop Header: Depth=3
	global_load_dword v24, v[18:19], off
                                        ; implicit-def: $sgpr66_sgpr67
	s_waitcnt vmcnt(0)
	v_subrev_u32_e32 v38, s45, v24
	v_cmp_gt_i32_e32 vcc, s80, v38
	v_cmp_ge_i32_e64 s[22:23], v38, v35
	s_or_b64 s[68:69], vcc, s[22:23]
	s_mov_b64 s[22:23], 0
	s_and_saveexec_b64 s[82:83], s[68:69]
	s_xor_b64 s[68:69], exec, s[82:83]
; %bb.27:                               ;   in Loop: Header=BB195_26 Depth=3
	v_cmp_lt_i32_e32 vcc, v38, v35
	s_mov_b64 s[66:67], -1
	s_and_b64 s[22:23], vcc, exec
; %bb.28:                               ;   in Loop: Header=BB195_26 Depth=3
	s_andn2_saveexec_b64 s[68:69], s[68:69]
	s_cbranch_execz .LBB195_30
; %bb.29:                               ;   in Loop: Header=BB195_26 Depth=3
	global_load_dword v24, v[20:21], off
	v_subrev_u32_e32 v25, s80, v38
	ds_write_b8 v25, v34 offset:8192
	v_lshlrev_b32_e32 v25, 2, v25
	s_or_b64 s[22:23], s[22:23], exec
	s_waitcnt vmcnt(0)
	v_mul_f32_e32 v24, v37, v24
	ds_add_f32 v25, v24
.LBB195_30:                             ;   in Loop: Header=BB195_26 Depth=3
	s_or_b64 exec, exec, s[68:69]
	s_andn2_b64 s[64:65], s[64:65], exec
	s_and_b64 s[66:67], s[66:67], exec
	s_mov_b64 s[68:69], -1
	s_or_b64 s[64:65], s[64:65], s[66:67]
	v_pk_mov_b32 v[26:27], v[22:23], v[22:23] op_sel:[0,1]
                                        ; implicit-def: $vgpr24_vgpr25
	s_and_saveexec_b64 s[66:67], s[22:23]
	s_cbranch_execz .LBB195_25
; %bb.31:                               ;   in Loop: Header=BB195_26 Depth=3
	v_add_co_u32_e32 v24, vcc, 16, v22
	v_addc_co_u32_e32 v25, vcc, 0, v23, vcc
	v_add_co_u32_e32 v18, vcc, 64, v18
	v_addc_co_u32_e32 v19, vcc, 0, v19, vcc
	;; [unrolled: 2-line block ×3, first 2 shown]
	v_cmp_ge_i64_e32 vcc, v[24:25], v[16:17]
	s_andn2_b64 s[64:65], s[64:65], exec
	s_orn2_b64 s[68:69], vcc, exec
	v_pk_mov_b32 v[26:27], v[22:23], v[22:23] op_sel:[0,1]
	s_branch .LBB195_25
.LBB195_32:                             ;   in Loop: Header=BB195_20 Depth=2
	s_or_b64 exec, exec, s[62:63]
	s_and_saveexec_b64 s[22:23], s[60:61]
	s_xor_b64 s[22:23], exec, s[22:23]
; %bb.33:                               ;   in Loop: Header=BB195_20 Depth=2
	v_min_i32_e32 v36, v38, v36
	v_pk_mov_b32 v[14:15], v[26:27], v[26:27] op_sel:[0,1]
; %bb.34:                               ;   in Loop: Header=BB195_20 Depth=2
	s_or_b64 exec, exec, s[22:23]
.LBB195_35:                             ;   in Loop: Header=BB195_20 Depth=2
	s_or_b64 exec, exec, s[58:59]
	v_mov_b32_dpp v16, v14 row_shr:1 row_mask:0xf bank_mask:0xf
	v_mov_b32_dpp v17, v15 row_shr:1 row_mask:0xf bank_mask:0xf
	v_cmp_lt_i64_e32 vcc, v[16:17], v[14:15]
	v_cndmask_b32_e32 v15, v15, v17, vcc
	v_cndmask_b32_e32 v14, v14, v16, vcc
	s_nop 0
	v_mov_b32_dpp v17, v15 row_shr:2 row_mask:0xf bank_mask:0xf
	v_mov_b32_dpp v16, v14 row_shr:2 row_mask:0xf bank_mask:0xf
	v_cmp_lt_i64_e32 vcc, v[16:17], v[14:15]
	v_cndmask_b32_e32 v15, v15, v17, vcc
	v_cndmask_b32_e32 v14, v14, v16, vcc
	s_nop 0
	;; [unrolled: 6-line block ×3, first 2 shown]
	v_mov_b32_dpp v17, v15 row_shr:8 row_mask:0xf bank_mask:0xc
	v_mov_b32_dpp v16, v14 row_shr:8 row_mask:0xf bank_mask:0xc
	s_and_saveexec_b64 s[22:23], s[4:5]
	s_cbranch_execz .LBB195_19
; %bb.36:                               ;   in Loop: Header=BB195_20 Depth=2
	v_cmp_lt_i64_e32 vcc, v[16:17], v[14:15]
	v_cndmask_b32_e32 v15, v15, v17, vcc
	v_cndmask_b32_e32 v14, v14, v16, vcc
	v_mov_b32_e32 v16, s53
	v_add_co_u32_e32 v12, vcc, s52, v12
	v_addc_co_u32_e32 v13, vcc, v16, v13, vcc
	global_store_dwordx2 v[12:13], v[14:15], off
	s_branch .LBB195_19
.LBB195_37:                             ;   in Loop: Header=BB195_20 Depth=2
                                        ; implicit-def: $vgpr18_vgpr19
	s_branch .LBB195_22
.LBB195_38:                             ;   in Loop: Header=BB195_13 Depth=1
	s_or_b64 exec, exec, s[50:51]
.LBB195_39:                             ;   in Loop: Header=BB195_13 Depth=1
	s_or_b64 exec, exec, s[48:49]
	s_andn2_b64 vcc, exec, s[0:1]
	s_cbranch_vccnz .LBB195_53
; %bb.40:                               ;   in Loop: Header=BB195_13 Depth=1
	s_load_dwordx4 s[48:51], s[24:25], 0x0
	s_waitcnt lgkmcnt(0)
	s_sub_u32 s50, s50, s72
	v_mov_b32_e32 v11, s49
	v_add_co_u32_e32 v10, vcc, s48, v29
	s_subb_u32 s51, s51, 0
	v_addc_co_u32_e32 v11, vcc, v11, v30, vcc
	v_cmp_gt_i64_e32 vcc, s[50:51], v[10:11]
	s_and_saveexec_b64 s[48:49], vcc
	s_cbranch_execz .LBB195_52
; %bb.41:                               ;   in Loop: Header=BB195_13 Depth=1
	v_lshlrev_b64 v[14:15], 2, v[10:11]
	v_mov_b32_e32 v13, s27
	v_add_co_u32_e32 v12, vcc, s26, v14
	v_addc_co_u32_e32 v13, vcc, v13, v15, vcc
	v_mov_b32_e32 v16, s29
	v_add_co_u32_e32 v14, vcc, s28, v14
	v_addc_co_u32_e32 v15, vcc, v16, v15, vcc
	s_mov_b64 s[56:57], 0
                                        ; implicit-def: $sgpr58_sgpr59
                                        ; implicit-def: $sgpr60_sgpr61
	s_branch .LBB195_43
.LBB195_42:                             ;   in Loop: Header=BB195_43 Depth=2
	s_or_b64 exec, exec, s[62:63]
	s_and_b64 s[22:23], exec, s[64:65]
	s_or_b64 s[56:57], s[22:23], s[56:57]
	s_andn2_b64 s[22:23], s[58:59], exec
	s_and_b64 s[58:59], s[60:61], exec
	s_or_b64 s[58:59], s[22:23], s[58:59]
	s_andn2_b64 exec, exec, s[56:57]
	s_cbranch_execz .LBB195_49
.LBB195_43:                             ;   Parent Loop BB195_13 Depth=1
                                        ; =>  This Inner Loop Header: Depth=2
	global_load_dword v16, v[12:13], off
                                        ; implicit-def: $sgpr62_sgpr63
	s_waitcnt vmcnt(0)
	v_subrev_u32_e32 v16, s47, v16
	v_cmp_gt_i32_e32 vcc, s80, v16
	v_cmp_ge_i32_e64 s[22:23], v16, v35
	s_or_b64 s[64:65], vcc, s[22:23]
	s_mov_b64 s[22:23], 0
	s_and_saveexec_b64 s[66:67], s[64:65]
	s_xor_b64 s[64:65], exec, s[66:67]
; %bb.44:                               ;   in Loop: Header=BB195_43 Depth=2
	v_cmp_lt_i32_e32 vcc, v16, v35
	s_mov_b64 s[62:63], -1
	s_and_b64 s[22:23], vcc, exec
; %bb.45:                               ;   in Loop: Header=BB195_43 Depth=2
	s_andn2_saveexec_b64 s[64:65], s[64:65]
	s_cbranch_execz .LBB195_47
; %bb.46:                               ;   in Loop: Header=BB195_43 Depth=2
	global_load_dword v17, v[14:15], off
	v_subrev_u32_e32 v18, s80, v16
	ds_write_b8 v18, v34 offset:8192
	v_lshlrev_b32_e32 v18, 2, v18
	s_or_b64 s[22:23], s[22:23], exec
	s_waitcnt vmcnt(0)
	v_mul_f32_e32 v17, v3, v17
	ds_add_f32 v18, v17
.LBB195_47:                             ;   in Loop: Header=BB195_43 Depth=2
	s_or_b64 exec, exec, s[64:65]
	s_andn2_b64 s[60:61], s[60:61], exec
	s_and_b64 s[62:63], s[62:63], exec
	s_mov_b64 s[64:65], -1
	s_or_b64 s[60:61], s[60:61], s[62:63]
	s_and_saveexec_b64 s[62:63], s[22:23]
	s_cbranch_execz .LBB195_42
; %bb.48:                               ;   in Loop: Header=BB195_43 Depth=2
	v_add_co_u32_e32 v10, vcc, 0x200, v10
	v_addc_co_u32_e32 v11, vcc, 0, v11, vcc
	v_add_co_u32_e32 v12, vcc, 0x800, v12
	v_addc_co_u32_e32 v13, vcc, 0, v13, vcc
	;; [unrolled: 2-line block ×3, first 2 shown]
	v_cmp_le_i64_e32 vcc, s[50:51], v[10:11]
	s_andn2_b64 s[60:61], s[60:61], exec
	s_orn2_b64 s[64:65], vcc, exec
	s_branch .LBB195_42
.LBB195_49:                             ;   in Loop: Header=BB195_13 Depth=1
	s_or_b64 exec, exec, s[56:57]
	s_and_saveexec_b64 s[22:23], s[58:59]
	s_xor_b64 s[22:23], exec, s[22:23]
; %bb.50:                               ;   in Loop: Header=BB195_13 Depth=1
	v_min_i32_e32 v36, v16, v36
; %bb.51:                               ;   in Loop: Header=BB195_13 Depth=1
	s_or_b64 exec, exec, s[22:23]
.LBB195_52:                             ;   in Loop: Header=BB195_13 Depth=1
	s_or_b64 exec, exec, s[48:49]
.LBB195_53:                             ;   in Loop: Header=BB195_13 Depth=1
	v_mov_b32_dpp v10, v36 row_shr:1 row_mask:0xf bank_mask:0xf
	v_min_i32_e32 v10, v10, v36
	s_nop 1
	v_mov_b32_dpp v11, v10 row_shr:2 row_mask:0xf bank_mask:0xf
	v_min_i32_e32 v10, v11, v10
	s_nop 1
	v_mov_b32_dpp v11, v10 row_shr:4 row_mask:0xf bank_mask:0xe
	v_min_i32_e32 v10, v11, v10
	s_nop 1
	v_mov_b32_dpp v11, v10 row_shr:8 row_mask:0xf bank_mask:0xc
	s_and_saveexec_b64 s[22:23], s[4:5]
	s_cbranch_execz .LBB195_58
; %bb.54:                               ;   in Loop: Header=BB195_13 Depth=1
	s_mov_b64 s[48:49], exec
	v_min_i32_e32 v10, v11, v10
	s_brev_b32 s50, -2
.LBB195_55:                             ;   Parent Loop BB195_13 Depth=1
                                        ; =>  This Inner Loop Header: Depth=2
	s_ff1_i32_b64 s51, s[48:49]
	v_readlane_b32 s58, v10, s51
	s_lshl_b64 s[56:57], 1, s51
	s_min_i32 s50, s50, s58
	s_andn2_b64 s[48:49], s[48:49], s[56:57]
	s_cmp_lg_u64 s[48:49], 0
	s_cbranch_scc1 .LBB195_55
; %bb.56:                               ;   in Loop: Header=BB195_13 Depth=1
	v_mbcnt_lo_u32_b32 v10, exec_lo, 0
	v_mbcnt_hi_u32_b32 v10, exec_hi, v10
	v_cmp_eq_u32_e32 vcc, 0, v10
	s_and_saveexec_b64 s[48:49], vcc
	s_xor_b64 s[48:49], exec, s[48:49]
	s_cbranch_execz .LBB195_58
; %bb.57:                               ;   in Loop: Header=BB195_13 Depth=1
	v_mov_b32_e32 v10, s50
	ds_min_i32 v28, v10 offset:10240
.LBB195_58:                             ;   in Loop: Header=BB195_13 Depth=1
	s_or_b64 exec, exec, s[22:23]
	s_add_i32 s50, s46, s80
	s_mov_b64 s[22:23], 0
	v_mov_b32_e32 v10, v33
	v_mov_b32_e32 v11, v0
	s_waitcnt lgkmcnt(0)
	s_barrier
	s_branch .LBB195_60
.LBB195_59:                             ;   in Loop: Header=BB195_60 Depth=2
	s_or_b64 exec, exec, s[48:49]
	s_waitcnt lgkmcnt(0)
	s_barrier
	ds_read_b32 v12, v28 offset:28
	v_add_u32_e32 v10, 0x800, v10
	s_waitcnt lgkmcnt(0)
	v_ashrrev_i32_e32 v13, 31, v12
	v_add_co_u32_e32 v8, vcc, v8, v12
	v_addc_co_u32_e32 v9, vcc, v9, v13, vcc
	v_add_u32_e32 v12, 0x200, v11
	v_cmp_lt_u32_e32 vcc, s79, v11
	s_or_b64 s[22:23], vcc, s[22:23]
	v_mov_b32_e32 v11, v12
	s_andn2_b64 exec, exec, s[22:23]
	s_cbranch_execz .LBB195_12
.LBB195_60:                             ;   Parent Loop BB195_13 Depth=1
                                        ; =>  This Inner Loop Header: Depth=2
	ds_read_u8 v21, v11 offset:8192
	ds_read_b32 v12, v10
	s_waitcnt lgkmcnt(0)
	s_barrier
	v_cmp_ne_u16_e32 vcc, 0, v21
	s_bcnt1_i32_b64 s48, vcc
	v_mov_b32_e32 v14, s48
	ds_write_b32 v31, v14
	s_waitcnt lgkmcnt(0)
	s_barrier
	ds_read_b128 v[14:17], v28
	v_and_b32_e32 v18, vcc_lo, v6
	v_and_b32_e32 v13, vcc_hi, v7
	v_bcnt_u32_b32 v18, v18, 0
	v_bcnt_u32_b32 v13, v13, v18
	ds_read_b96 v[18:20], v28 offset:16
	s_waitcnt lgkmcnt(1)
	v_cndmask_b32_e64 v14, v14, 0, s[8:9]
	v_add_u32_e32 v13, v14, v13
	v_cndmask_b32_e64 v14, v15, 0, s[10:11]
	v_cndmask_b32_e64 v15, v16, 0, s[12:13]
	v_add3_u32 v13, v13, v14, v15
	v_cndmask_b32_e64 v14, v17, 0, s[14:15]
	s_waitcnt lgkmcnt(0)
	v_cndmask_b32_e64 v15, v18, 0, s[16:17]
	v_add3_u32 v13, v13, v14, v15
	v_cndmask_b32_e64 v14, v19, 0, s[18:19]
	v_cndmask_b32_e64 v15, v20, 0, s[20:21]
	v_add3_u32 v13, v13, v14, v15
	v_and_b32_e32 v14, 1, v21
	v_cmp_eq_u32_e32 vcc, 1, v14
	s_and_saveexec_b64 s[48:49], vcc
	s_cbranch_execz .LBB195_62
; %bb.61:                               ;   in Loop: Header=BB195_60 Depth=2
	v_ashrrev_i32_e32 v15, 31, v13
	v_add_co_u32_e32 v14, vcc, v8, v13
	v_addc_co_u32_e32 v15, vcc, v9, v15, vcc
	v_lshlrev_b64 v[14:15], 2, v[14:15]
	v_mov_b32_e32 v17, s76
	v_add_co_u32_e32 v16, vcc, s75, v14
	v_add_u32_e32 v18, s50, v11
	v_addc_co_u32_e32 v17, vcc, v17, v15, vcc
	global_store_dword v[16:17], v18, off
	v_mov_b32_e32 v16, s78
	v_add_co_u32_e32 v14, vcc, s77, v14
	v_addc_co_u32_e32 v15, vcc, v16, v15, vcc
	global_store_dword v[14:15], v12, off
.LBB195_62:                             ;   in Loop: Header=BB195_60 Depth=2
	s_or_b64 exec, exec, s[48:49]
	s_and_saveexec_b64 s[48:49], s[6:7]
	s_cbranch_execz .LBB195_59
; %bb.63:                               ;   in Loop: Header=BB195_60 Depth=2
	ds_write_b32 v28, v13 offset:28
	s_branch .LBB195_59
.LBB195_64:
	s_endpgm
	.section	.rodata,"a",@progbits
	.p2align	6, 0x0
	.amdhsa_kernel _ZN9rocsparseL36csrgemm_fill_block_per_row_multipassILj512ELj16ELj2048ELj64ElifEEvT4_PKS1_S3_NS_24const_host_device_scalarIT5_EEPKT3_S3_PKS5_S9_S3_SB_S6_S9_S3_SB_S9_PS1_PS5_PS7_21rocsparse_index_base_SF_SF_SF_bbb
		.amdhsa_group_segment_fixed_size 10244
		.amdhsa_private_segment_fixed_size 0
		.amdhsa_kernarg_size 164
		.amdhsa_user_sgpr_count 6
		.amdhsa_user_sgpr_private_segment_buffer 1
		.amdhsa_user_sgpr_dispatch_ptr 0
		.amdhsa_user_sgpr_queue_ptr 0
		.amdhsa_user_sgpr_kernarg_segment_ptr 1
		.amdhsa_user_sgpr_dispatch_id 0
		.amdhsa_user_sgpr_flat_scratch_init 0
		.amdhsa_user_sgpr_kernarg_preload_length 0
		.amdhsa_user_sgpr_kernarg_preload_offset 0
		.amdhsa_user_sgpr_private_segment_size 0
		.amdhsa_uses_dynamic_stack 0
		.amdhsa_system_sgpr_private_segment_wavefront_offset 0
		.amdhsa_system_sgpr_workgroup_id_x 1
		.amdhsa_system_sgpr_workgroup_id_y 0
		.amdhsa_system_sgpr_workgroup_id_z 0
		.amdhsa_system_sgpr_workgroup_info 0
		.amdhsa_system_vgpr_workitem_id 0
		.amdhsa_next_free_vgpr 39
		.amdhsa_next_free_sgpr 84
		.amdhsa_accum_offset 40
		.amdhsa_reserve_vcc 1
		.amdhsa_reserve_flat_scratch 0
		.amdhsa_float_round_mode_32 0
		.amdhsa_float_round_mode_16_64 0
		.amdhsa_float_denorm_mode_32 3
		.amdhsa_float_denorm_mode_16_64 3
		.amdhsa_dx10_clamp 1
		.amdhsa_ieee_mode 1
		.amdhsa_fp16_overflow 0
		.amdhsa_tg_split 0
		.amdhsa_exception_fp_ieee_invalid_op 0
		.amdhsa_exception_fp_denorm_src 0
		.amdhsa_exception_fp_ieee_div_zero 0
		.amdhsa_exception_fp_ieee_overflow 0
		.amdhsa_exception_fp_ieee_underflow 0
		.amdhsa_exception_fp_ieee_inexact 0
		.amdhsa_exception_int_div_zero 0
	.end_amdhsa_kernel
	.section	.text._ZN9rocsparseL36csrgemm_fill_block_per_row_multipassILj512ELj16ELj2048ELj64ElifEEvT4_PKS1_S3_NS_24const_host_device_scalarIT5_EEPKT3_S3_PKS5_S9_S3_SB_S6_S9_S3_SB_S9_PS1_PS5_PS7_21rocsparse_index_base_SF_SF_SF_bbb,"axG",@progbits,_ZN9rocsparseL36csrgemm_fill_block_per_row_multipassILj512ELj16ELj2048ELj64ElifEEvT4_PKS1_S3_NS_24const_host_device_scalarIT5_EEPKT3_S3_PKS5_S9_S3_SB_S6_S9_S3_SB_S9_PS1_PS5_PS7_21rocsparse_index_base_SF_SF_SF_bbb,comdat
.Lfunc_end195:
	.size	_ZN9rocsparseL36csrgemm_fill_block_per_row_multipassILj512ELj16ELj2048ELj64ElifEEvT4_PKS1_S3_NS_24const_host_device_scalarIT5_EEPKT3_S3_PKS5_S9_S3_SB_S6_S9_S3_SB_S9_PS1_PS5_PS7_21rocsparse_index_base_SF_SF_SF_bbb, .Lfunc_end195-_ZN9rocsparseL36csrgemm_fill_block_per_row_multipassILj512ELj16ELj2048ELj64ElifEEvT4_PKS1_S3_NS_24const_host_device_scalarIT5_EEPKT3_S3_PKS5_S9_S3_SB_S6_S9_S3_SB_S9_PS1_PS5_PS7_21rocsparse_index_base_SF_SF_SF_bbb
                                        ; -- End function
	.section	.AMDGPU.csdata,"",@progbits
; Kernel info:
; codeLenInByte = 2524
; NumSgprs: 88
; NumVgprs: 39
; NumAgprs: 0
; TotalNumVgprs: 39
; ScratchSize: 0
; MemoryBound: 0
; FloatMode: 240
; IeeeMode: 1
; LDSByteSize: 10244 bytes/workgroup (compile time only)
; SGPRBlocks: 10
; VGPRBlocks: 4
; NumSGPRsForWavesPerEU: 88
; NumVGPRsForWavesPerEU: 39
; AccumOffset: 40
; Occupancy: 8
; WaveLimiterHint : 1
; COMPUTE_PGM_RSRC2:SCRATCH_EN: 0
; COMPUTE_PGM_RSRC2:USER_SGPR: 6
; COMPUTE_PGM_RSRC2:TRAP_HANDLER: 0
; COMPUTE_PGM_RSRC2:TGID_X_EN: 1
; COMPUTE_PGM_RSRC2:TGID_Y_EN: 0
; COMPUTE_PGM_RSRC2:TGID_Z_EN: 0
; COMPUTE_PGM_RSRC2:TIDIG_COMP_CNT: 0
; COMPUTE_PGM_RSRC3_GFX90A:ACCUM_OFFSET: 9
; COMPUTE_PGM_RSRC3_GFX90A:TG_SPLIT: 0
	.section	.text._ZN9rocsparseL26csrgemm_group_reduce_part2ILj256ELj11EdliEEvT3_PKT2_PS1_Pij,"axG",@progbits,_ZN9rocsparseL26csrgemm_group_reduce_part2ILj256ELj11EdliEEvT3_PKT2_PS1_Pij,comdat
	.globl	_ZN9rocsparseL26csrgemm_group_reduce_part2ILj256ELj11EdliEEvT3_PKT2_PS1_Pij ; -- Begin function _ZN9rocsparseL26csrgemm_group_reduce_part2ILj256ELj11EdliEEvT3_PKT2_PS1_Pij
	.p2align	8
	.type	_ZN9rocsparseL26csrgemm_group_reduce_part2ILj256ELj11EdliEEvT3_PKT2_PS1_Pij,@function
_ZN9rocsparseL26csrgemm_group_reduce_part2ILj256ELj11EdliEEvT3_PKT2_PS1_Pij: ; @_ZN9rocsparseL26csrgemm_group_reduce_part2ILj256ELj11EdliEEvT3_PKT2_PS1_Pij
; %bb.0:
	s_load_dword s7, s[4:5], 0x0
	s_load_dwordx2 s[0:1], s[4:5], 0x10
	v_mul_u32_u24_e32 v1, 11, v0
	v_lshl_or_b32 v2, s6, 8, v0
	v_lshlrev_b32_e32 v1, 2, v1
	v_mov_b32_e32 v6, 0
	s_waitcnt lgkmcnt(0)
	v_cmp_gt_i32_e32 vcc, s7, v2
	ds_write2_b32 v1, v6, v6 offset1:1
	ds_write2_b32 v1, v6, v6 offset0:2 offset1:3
	ds_write2_b32 v1, v6, v6 offset0:4 offset1:5
	;; [unrolled: 1-line block ×4, first 2 shown]
	ds_write_b32 v1, v6 offset:40
	s_waitcnt lgkmcnt(0)
	s_and_saveexec_b64 s[2:3], vcc
	s_cbranch_execz .LBB196_43
; %bb.1:
	s_load_dword s12, s[4:5], 0x20
	s_load_dwordx2 s[8:9], s[4:5], 0x8
	s_load_dwordx2 s[10:11], s[4:5], 0x18
	s_load_dword s13, s[4:5], 0x28
	s_mov_b64 s[4:5], 0
	s_waitcnt lgkmcnt(0)
	s_cmpk_lt_u32 s12, 0xc084
	s_cselect_b64 s[22:23], -1, 0
	s_cmp_lt_u32 s12, 0x18084
	s_cselect_b64 s[26:27], -1, 0
	s_cmp_lt_u32 s12, 0x30084
	;; [unrolled: 2-line block ×3, first 2 shown]
	s_cselect_b64 s[36:37], -1, 0
	s_lshl_b32 s33, s13, 8
	v_mov_b32_e32 v7, s9
	s_mov_b64 s[12:13], 0x100
	s_mov_b64 s[14:15], 0x200
	;; [unrolled: 1-line block ×5, first 2 shown]
	s_xor_b64 s[22:23], s[22:23], -1
	v_mov_b32_e32 v8, 6
	s_mov_b64 s[24:25], 0x2001
	s_xor_b64 s[26:27], s[26:27], -1
	v_mov_b32_e32 v9, 7
	s_mov_b64 s[28:29], 0x4001
	;; [unrolled: 3-line block ×3, first 2 shown]
	s_xor_b64 s[36:37], s[36:37], -1
	v_mov_b32_e32 v11, 9
	v_mov_b32_e32 v12, 10
	;; [unrolled: 1-line block ×7, first 2 shown]
	s_branch .LBB196_3
.LBB196_2:                              ;   in Loop: Header=BB196_3 Depth=1
	s_or_b64 exec, exec, s[38:39]
	v_add_u32_e32 v2, s33, v2
	v_cmp_le_i32_e32 vcc, s7, v2
	s_or_b64 s[4:5], vcc, s[4:5]
	s_andn2_b64 exec, exec, s[4:5]
	s_cbranch_execz .LBB196_43
.LBB196_3:                              ; =>This Inner Loop Header: Depth=1
	v_ashrrev_i32_e32 v3, 31, v2
	v_lshlrev_b64 v[4:5], 3, v[2:3]
	v_add_co_u32_e32 v4, vcc, s8, v4
	v_addc_co_u32_e32 v5, vcc, v7, v5, vcc
	global_load_dwordx4 v[18:21], v[4:5], off
	s_waitcnt vmcnt(0)
	v_sub_co_u32_e32 v4, vcc, v20, v18
	v_subb_co_u32_e32 v5, vcc, v21, v19, vcc
	v_cmp_lt_i64_e32 vcc, 16, v[4:5]
	s_and_saveexec_b64 s[38:39], vcc
	s_xor_b64 s[38:39], exec, s[38:39]
	s_cbranch_execz .LBB196_41
; %bb.4:                                ;   in Loop: Header=BB196_3 Depth=1
	v_cmp_lt_u64_e32 vcc, 32, v[4:5]
	s_and_saveexec_b64 s[40:41], vcc
	s_xor_b64 s[40:41], exec, s[40:41]
	s_cbranch_execz .LBB196_38
; %bb.5:                                ;   in Loop: Header=BB196_3 Depth=1
	v_cmp_lt_u64_e32 vcc, s[12:13], v[4:5]
	;; [unrolled: 5-line block ×5, first 2 shown]
	s_and_saveexec_b64 s[48:49], vcc
	s_xor_b64 s[48:49], exec, s[48:49]
	s_cbranch_execz .LBB196_26
; %bb.9:                                ;   in Loop: Header=BB196_3 Depth=1
	v_cmp_gt_u64_e32 vcc, s[20:21], v[4:5]
	s_and_b64 s[50:51], s[22:23], vcc
	s_and_saveexec_b64 s[52:53], s[50:51]
	s_xor_b64 s[50:51], exec, s[52:53]
	s_cbranch_execz .LBB196_11
; %bb.10:                               ;   in Loop: Header=BB196_3 Depth=1
	ds_read_b32 v18, v1 offset:24
	v_lshlrev_b64 v[4:5], 2, v[2:3]
	v_mov_b32_e32 v19, s11
	v_add_co_u32_e32 v4, vcc, s10, v4
	s_waitcnt lgkmcnt(0)
	v_add_u32_e32 v18, 1, v18
	v_addc_co_u32_e32 v5, vcc, v19, v5, vcc
	ds_write_b32 v1, v18 offset:24
	global_store_dword v[4:5], v8, off
                                        ; implicit-def: $vgpr4_vgpr5
.LBB196_11:                             ;   in Loop: Header=BB196_3 Depth=1
	s_andn2_saveexec_b64 s[50:51], s[50:51]
	s_cbranch_execz .LBB196_25
; %bb.12:                               ;   in Loop: Header=BB196_3 Depth=1
	v_cmp_gt_u64_e32 vcc, s[24:25], v[4:5]
	s_and_b64 s[52:53], s[26:27], vcc
	s_and_saveexec_b64 s[54:55], s[52:53]
	s_xor_b64 s[52:53], exec, s[54:55]
	s_cbranch_execz .LBB196_14
; %bb.13:                               ;   in Loop: Header=BB196_3 Depth=1
	ds_read_b32 v18, v1 offset:28
	v_lshlrev_b64 v[4:5], 2, v[2:3]
	v_mov_b32_e32 v19, s11
	v_add_co_u32_e32 v4, vcc, s10, v4
	s_waitcnt lgkmcnt(0)
	v_add_u32_e32 v18, 1, v18
	v_addc_co_u32_e32 v5, vcc, v19, v5, vcc
	ds_write_b32 v1, v18 offset:28
	global_store_dword v[4:5], v9, off
                                        ; implicit-def: $vgpr4_vgpr5
.LBB196_14:                             ;   in Loop: Header=BB196_3 Depth=1
	s_andn2_saveexec_b64 s[52:53], s[52:53]
	s_cbranch_execz .LBB196_24
; %bb.15:                               ;   in Loop: Header=BB196_3 Depth=1
	;; [unrolled: 20-line block ×3, first 2 shown]
	v_cmp_gt_u64_e32 vcc, s[34:35], v[4:5]
	v_lshlrev_b64 v[4:5], 2, v[2:3]
	s_and_b64 s[56:57], s[36:37], vcc
	v_mov_b32_e32 v18, s11
	v_add_co_u32_e32 v4, vcc, s10, v4
	v_addc_co_u32_e32 v5, vcc, v18, v5, vcc
	s_and_saveexec_b64 s[58:59], s[56:57]
	s_xor_b64 s[56:57], exec, s[58:59]
	s_cbranch_execz .LBB196_20
; %bb.19:                               ;   in Loop: Header=BB196_3 Depth=1
	ds_read_b32 v18, v1 offset:36
	global_store_dword v[4:5], v11, off
                                        ; implicit-def: $vgpr4_vgpr5
	s_waitcnt lgkmcnt(0)
	v_add_u32_e32 v18, 1, v18
	ds_write_b32 v1, v18 offset:36
.LBB196_20:                             ;   in Loop: Header=BB196_3 Depth=1
	s_andn2_saveexec_b64 s[56:57], s[56:57]
	s_cbranch_execz .LBB196_22
; %bb.21:                               ;   in Loop: Header=BB196_3 Depth=1
	ds_read_b32 v18, v1 offset:40
	global_store_dword v[4:5], v12, off
	s_waitcnt lgkmcnt(0)
	v_add_u32_e32 v18, 1, v18
	ds_write_b32 v1, v18 offset:40
.LBB196_22:                             ;   in Loop: Header=BB196_3 Depth=1
	s_or_b64 exec, exec, s[56:57]
.LBB196_23:                             ;   in Loop: Header=BB196_3 Depth=1
	s_or_b64 exec, exec, s[54:55]
.LBB196_24:                             ;   in Loop: Header=BB196_3 Depth=1
	s_or_b64 exec, exec, s[52:53]
.LBB196_25:                             ;   in Loop: Header=BB196_3 Depth=1
	s_or_b64 exec, exec, s[50:51]
.LBB196_26:                             ;   in Loop: Header=BB196_3 Depth=1
	s_andn2_saveexec_b64 s[48:49], s[48:49]
	s_cbranch_execz .LBB196_28
; %bb.27:                               ;   in Loop: Header=BB196_3 Depth=1
	ds_read_b32 v18, v1 offset:20
	v_lshlrev_b64 v[4:5], 2, v[2:3]
	v_mov_b32_e32 v19, s11
	v_add_co_u32_e32 v4, vcc, s10, v4
	s_waitcnt lgkmcnt(0)
	v_add_u32_e32 v18, 1, v18
	v_addc_co_u32_e32 v5, vcc, v19, v5, vcc
	ds_write_b32 v1, v18 offset:20
	global_store_dword v[4:5], v13, off
.LBB196_28:                             ;   in Loop: Header=BB196_3 Depth=1
	s_or_b64 exec, exec, s[48:49]
.LBB196_29:                             ;   in Loop: Header=BB196_3 Depth=1
	s_andn2_saveexec_b64 s[46:47], s[46:47]
	s_cbranch_execz .LBB196_31
; %bb.30:                               ;   in Loop: Header=BB196_3 Depth=1
	ds_read_b32 v18, v1 offset:16
	v_lshlrev_b64 v[4:5], 2, v[2:3]
	v_mov_b32_e32 v19, s11
	v_add_co_u32_e32 v4, vcc, s10, v4
	s_waitcnt lgkmcnt(0)
	v_add_u32_e32 v18, 1, v18
	v_addc_co_u32_e32 v5, vcc, v19, v5, vcc
	ds_write_b32 v1, v18 offset:16
	global_store_dword v[4:5], v14, off
.LBB196_31:                             ;   in Loop: Header=BB196_3 Depth=1
	s_or_b64 exec, exec, s[46:47]
.LBB196_32:                             ;   in Loop: Header=BB196_3 Depth=1
	s_andn2_saveexec_b64 s[44:45], s[44:45]
	s_cbranch_execz .LBB196_34
; %bb.33:                               ;   in Loop: Header=BB196_3 Depth=1
	ds_read_b32 v18, v1 offset:12
	v_lshlrev_b64 v[4:5], 2, v[2:3]
	v_mov_b32_e32 v19, s11
	v_add_co_u32_e32 v4, vcc, s10, v4
	s_waitcnt lgkmcnt(0)
	v_add_u32_e32 v18, 1, v18
	v_addc_co_u32_e32 v5, vcc, v19, v5, vcc
	ds_write_b32 v1, v18 offset:12
	global_store_dword v[4:5], v15, off
.LBB196_34:                             ;   in Loop: Header=BB196_3 Depth=1
	s_or_b64 exec, exec, s[44:45]
.LBB196_35:                             ;   in Loop: Header=BB196_3 Depth=1
	s_andn2_saveexec_b64 s[42:43], s[42:43]
	s_cbranch_execz .LBB196_37
; %bb.36:                               ;   in Loop: Header=BB196_3 Depth=1
	ds_read_b32 v18, v1 offset:8
	v_lshlrev_b64 v[4:5], 2, v[2:3]
	v_mov_b32_e32 v19, s11
	v_add_co_u32_e32 v4, vcc, s10, v4
	s_waitcnt lgkmcnt(0)
	v_add_u32_e32 v18, 1, v18
	v_addc_co_u32_e32 v5, vcc, v19, v5, vcc
	ds_write_b32 v1, v18 offset:8
	global_store_dword v[4:5], v16, off
.LBB196_37:                             ;   in Loop: Header=BB196_3 Depth=1
	s_or_b64 exec, exec, s[42:43]
.LBB196_38:                             ;   in Loop: Header=BB196_3 Depth=1
	s_andn2_saveexec_b64 s[40:41], s[40:41]
	s_cbranch_execz .LBB196_40
; %bb.39:                               ;   in Loop: Header=BB196_3 Depth=1
	ds_read_b32 v18, v1 offset:4
	v_lshlrev_b64 v[4:5], 2, v[2:3]
	v_mov_b32_e32 v19, s11
	v_add_co_u32_e32 v4, vcc, s10, v4
	s_waitcnt lgkmcnt(0)
	v_add_u32_e32 v18, 1, v18
	v_addc_co_u32_e32 v5, vcc, v19, v5, vcc
	ds_write_b32 v1, v18 offset:4
	global_store_dword v[4:5], v17, off
.LBB196_40:                             ;   in Loop: Header=BB196_3 Depth=1
	s_or_b64 exec, exec, s[40:41]
.LBB196_41:                             ;   in Loop: Header=BB196_3 Depth=1
	s_andn2_saveexec_b64 s[38:39], s[38:39]
	s_cbranch_execz .LBB196_2
; %bb.42:                               ;   in Loop: Header=BB196_3 Depth=1
	ds_read_b32 v18, v1
	v_lshlrev_b64 v[4:5], 2, v[2:3]
	v_mov_b32_e32 v3, s11
	v_add_co_u32_e32 v4, vcc, s10, v4
	s_waitcnt lgkmcnt(0)
	v_add_u32_e32 v18, 1, v18
	v_addc_co_u32_e32 v5, vcc, v3, v5, vcc
	ds_write_b32 v1, v18
	global_store_dword v[4:5], v6, off
	s_branch .LBB196_2
.LBB196_43:
	s_or_b64 exec, exec, s[2:3]
	s_movk_i32 s2, 0x80
	v_cmp_gt_u32_e32 vcc, s2, v0
	s_waitcnt lgkmcnt(0)
	s_barrier
	s_barrier
	;; [unrolled: 1-line block ×3, first 2 shown]
	s_and_saveexec_b64 s[2:3], vcc
	s_cbranch_execz .LBB196_45
; %bb.44:
	v_add_u32_e32 v2, 0x1600, v1
	v_add_u32_e32 v4, 0x1608, v1
	;; [unrolled: 1-line block ×3, first 2 shown]
	ds_read2_b32 v[2:3], v2 offset1:1
	ds_read2_b32 v[4:5], v4 offset1:1
	;; [unrolled: 1-line block ×4, first 2 shown]
	ds_read2_b32 v[10:11], v1 offset0:2 offset1:3
	ds_read2_b32 v[12:13], v1 offset0:4 offset1:5
	;; [unrolled: 1-line block ×4, first 2 shown]
	s_waitcnt lgkmcnt(4)
	v_add_u32_e32 v3, v9, v3
	v_add_u32_e32 v2, v8, v2
	ds_write2_b32 v1, v2, v3 offset1:1
	s_waitcnt lgkmcnt(4)
	v_add_u32_e32 v2, v11, v5
	v_add_u32_e32 v3, v10, v4
	ds_write2_b32 v1, v3, v2 offset0:2 offset1:3
	v_add_u32_e32 v2, 0x1618, v1
	ds_read2_b32 v[2:3], v2 offset1:1
	s_waitcnt lgkmcnt(5)
	v_add_u32_e32 v4, v13, v7
	v_add_u32_e32 v5, v12, v6
	ds_write2_b32 v1, v5, v4 offset0:4 offset1:5
	v_add_u32_e32 v4, 0x1620, v1
	ds_read2_b32 v[4:5], v4 offset1:1
	s_waitcnt lgkmcnt(2)
	v_add_u32_e32 v7, v14, v2
	v_add_u32_e32 v2, 40, v1
	;; [unrolled: 1-line block ×3, first 2 shown]
	ds_read2st64_b32 v[2:3], v2 offset1:22
	s_waitcnt lgkmcnt(1)
	v_add_u32_e32 v5, v17, v5
	v_add_u32_e32 v4, v16, v4
	ds_write2_b32 v1, v7, v6 offset0:6 offset1:7
	ds_write2_b32 v1, v4, v5 offset0:8 offset1:9
	s_waitcnt lgkmcnt(2)
	v_add_u32_e32 v2, v2, v3
	ds_write_b32 v1, v2 offset:40
.LBB196_45:
	s_or_b64 exec, exec, s[2:3]
	v_cmp_gt_u32_e32 vcc, 64, v0
	s_waitcnt lgkmcnt(0)
	s_barrier
	s_and_saveexec_b64 s[2:3], vcc
	s_cbranch_execz .LBB196_47
; %bb.46:
	v_add_u32_e32 v2, 0xb00, v1
	v_add_u32_e32 v4, 0xb08, v1
	;; [unrolled: 1-line block ×3, first 2 shown]
	ds_read2_b32 v[2:3], v2 offset1:1
	ds_read2_b32 v[4:5], v4 offset1:1
	;; [unrolled: 1-line block ×4, first 2 shown]
	ds_read2_b32 v[10:11], v1 offset0:2 offset1:3
	ds_read2_b32 v[12:13], v1 offset0:4 offset1:5
	;; [unrolled: 1-line block ×4, first 2 shown]
	s_waitcnt lgkmcnt(4)
	v_add_u32_e32 v3, v9, v3
	v_add_u32_e32 v2, v8, v2
	ds_write2_b32 v1, v2, v3 offset1:1
	s_waitcnt lgkmcnt(4)
	v_add_u32_e32 v2, v11, v5
	v_add_u32_e32 v3, v10, v4
	ds_write2_b32 v1, v3, v2 offset0:2 offset1:3
	v_add_u32_e32 v2, 0xb18, v1
	ds_read2_b32 v[2:3], v2 offset1:1
	s_waitcnt lgkmcnt(5)
	v_add_u32_e32 v4, v13, v7
	v_add_u32_e32 v5, v12, v6
	ds_write2_b32 v1, v5, v4 offset0:4 offset1:5
	v_add_u32_e32 v4, 0xb20, v1
	ds_read2_b32 v[4:5], v4 offset1:1
	s_waitcnt lgkmcnt(2)
	v_add_u32_e32 v7, v14, v2
	v_add_u32_e32 v2, 40, v1
	;; [unrolled: 1-line block ×3, first 2 shown]
	ds_read2st64_b32 v[2:3], v2 offset1:11
	s_waitcnt lgkmcnt(1)
	v_add_u32_e32 v5, v17, v5
	v_add_u32_e32 v4, v16, v4
	ds_write2_b32 v1, v7, v6 offset0:6 offset1:7
	ds_write2_b32 v1, v4, v5 offset0:8 offset1:9
	s_waitcnt lgkmcnt(2)
	v_add_u32_e32 v2, v2, v3
	ds_write_b32 v1, v2 offset:40
.LBB196_47:
	s_or_b64 exec, exec, s[2:3]
	v_cmp_gt_u32_e32 vcc, 32, v0
	s_waitcnt lgkmcnt(0)
	s_barrier
	s_and_saveexec_b64 s[2:3], vcc
	s_cbranch_execz .LBB196_49
; %bb.48:
	v_add_u32_e32 v2, 0x580, v1
	ds_read2_b32 v[2:3], v2 offset1:1
	ds_read2_b32 v[4:5], v1 offset1:1
	ds_read2_b32 v[6:7], v1 offset0:2 offset1:3
	ds_read2_b32 v[8:9], v1 offset0:4 offset1:5
	;; [unrolled: 1-line block ×3, first 2 shown]
	ds_read_b32 v16, v1 offset:1448
	s_waitcnt lgkmcnt(4)
	v_add_u32_e32 v3, v5, v3
	v_add_u32_e32 v2, v4, v2
	ds_write2_b32 v1, v2, v3 offset1:1
	v_add_u32_e32 v2, 0x588, v1
	ds_read2_b32 v[2:3], v2 offset1:1
	v_add_u32_e32 v4, 0x590, v1
	v_add_u32_e32 v12, 0x598, v1
	;; [unrolled: 1-line block ×3, first 2 shown]
	ds_read2_b32 v[4:5], v4 offset1:1
	ds_read2_b32 v[12:13], v12 offset1:1
	ds_read2_b32 v[14:15], v14 offset1:1
	s_waitcnt lgkmcnt(3)
	v_add_u32_e32 v3, v7, v3
	v_add_u32_e32 v2, v6, v2
	ds_write2_b32 v1, v2, v3 offset0:2 offset1:3
	s_waitcnt lgkmcnt(3)
	v_add_u32_e32 v2, v9, v5
	v_add_u32_e32 v3, v8, v4
	ds_write2_b32 v1, v3, v2 offset0:4 offset1:5
	ds_read2_b32 v[2:3], v1 offset0:8 offset1:9
	ds_read_b32 v6, v1 offset:40
	s_waitcnt lgkmcnt(5)
	v_add_u32_e32 v4, v11, v13
	v_add_u32_e32 v5, v10, v12
	ds_write2_b32 v1, v5, v4 offset0:6 offset1:7
	s_waitcnt lgkmcnt(2)
	v_add_u32_e32 v3, v3, v15
	v_add_u32_e32 v2, v2, v14
	ds_write2_b32 v1, v2, v3 offset0:8 offset1:9
	s_waitcnt lgkmcnt(2)
	v_add_u32_e32 v2, v6, v16
	ds_write_b32 v1, v2 offset:40
.LBB196_49:
	s_or_b64 exec, exec, s[2:3]
	v_cmp_gt_u32_e32 vcc, 16, v0
	s_waitcnt lgkmcnt(0)
	s_barrier
	s_and_saveexec_b64 s[2:3], vcc
	s_cbranch_execz .LBB196_51
; %bb.50:
	ds_read2_b32 v[2:3], v1 offset0:176 offset1:177
	ds_read2_b32 v[4:5], v1 offset0:178 offset1:179
	ds_read2_b32 v[6:7], v1 offset0:180 offset1:181
	ds_read2_b32 v[8:9], v1 offset1:1
	ds_read2_b32 v[10:11], v1 offset0:2 offset1:3
	ds_read2_b32 v[12:13], v1 offset0:4 offset1:5
	ds_read2_b32 v[14:15], v1 offset0:6 offset1:7
	ds_read2_b32 v[16:17], v1 offset0:8 offset1:9
	s_waitcnt lgkmcnt(4)
	v_add_u32_e32 v3, v9, v3
	v_add_u32_e32 v2, v8, v2
	ds_write2_b32 v1, v2, v3 offset1:1
	s_waitcnt lgkmcnt(4)
	v_add_u32_e32 v2, v11, v5
	v_add_u32_e32 v3, v10, v4
	ds_write2_b32 v1, v3, v2 offset0:2 offset1:3
	ds_read2_b32 v[2:3], v1 offset0:182 offset1:183
	s_waitcnt lgkmcnt(5)
	v_add_u32_e32 v4, v13, v7
	v_add_u32_e32 v5, v12, v6
	ds_write2_b32 v1, v5, v4 offset0:4 offset1:5
	ds_read2_b32 v[4:5], v1 offset0:184 offset1:185
	s_waitcnt lgkmcnt(2)
	v_add_u32_e32 v6, v15, v3
	v_add_u32_e32 v7, v14, v2
	ds_read2_b32 v[2:3], v1 offset0:10 offset1:186
	ds_write2_b32 v1, v7, v6 offset0:6 offset1:7
	s_waitcnt lgkmcnt(2)
	v_add_u32_e32 v5, v17, v5
	v_add_u32_e32 v4, v16, v4
	ds_write2_b32 v1, v4, v5 offset0:8 offset1:9
	s_waitcnt lgkmcnt(2)
	v_add_u32_e32 v2, v2, v3
	ds_write_b32 v1, v2 offset:40
.LBB196_51:
	s_or_b64 exec, exec, s[2:3]
	v_cmp_gt_u32_e32 vcc, 8, v0
	s_waitcnt lgkmcnt(0)
	s_barrier
	s_and_saveexec_b64 s[2:3], vcc
	s_cbranch_execz .LBB196_53
; %bb.52:
	ds_read2_b32 v[2:3], v1 offset0:88 offset1:89
	ds_read2_b32 v[4:5], v1 offset0:90 offset1:91
	ds_read2_b32 v[6:7], v1 offset0:92 offset1:93
	ds_read2_b32 v[8:9], v1 offset1:1
	ds_read2_b32 v[10:11], v1 offset0:2 offset1:3
	ds_read2_b32 v[12:13], v1 offset0:4 offset1:5
	ds_read2_b32 v[14:15], v1 offset0:6 offset1:7
	ds_read2_b32 v[16:17], v1 offset0:8 offset1:9
	s_waitcnt lgkmcnt(4)
	v_add_u32_e32 v3, v9, v3
	v_add_u32_e32 v2, v8, v2
	ds_write2_b32 v1, v2, v3 offset1:1
	s_waitcnt lgkmcnt(4)
	v_add_u32_e32 v2, v11, v5
	v_add_u32_e32 v3, v10, v4
	ds_write2_b32 v1, v3, v2 offset0:2 offset1:3
	ds_read2_b32 v[2:3], v1 offset0:94 offset1:95
	s_waitcnt lgkmcnt(5)
	v_add_u32_e32 v4, v13, v7
	v_add_u32_e32 v5, v12, v6
	ds_write2_b32 v1, v5, v4 offset0:4 offset1:5
	ds_read2_b32 v[4:5], v1 offset0:96 offset1:97
	s_waitcnt lgkmcnt(2)
	v_add_u32_e32 v6, v15, v3
	v_add_u32_e32 v7, v14, v2
	ds_read2_b32 v[2:3], v1 offset0:10 offset1:98
	ds_write2_b32 v1, v7, v6 offset0:6 offset1:7
	s_waitcnt lgkmcnt(2)
	v_add_u32_e32 v5, v17, v5
	v_add_u32_e32 v4, v16, v4
	ds_write2_b32 v1, v4, v5 offset0:8 offset1:9
	s_waitcnt lgkmcnt(2)
	v_add_u32_e32 v2, v2, v3
	ds_write_b32 v1, v2 offset:40
.LBB196_53:
	;; [unrolled: 42-line block ×4, first 2 shown]
	s_or_b64 exec, exec, s[2:3]
	v_cmp_eq_u32_e32 vcc, 0, v0
	s_waitcnt lgkmcnt(0)
	s_barrier
	s_and_saveexec_b64 s[2:3], vcc
	s_cbranch_execz .LBB196_59
; %bb.58:
	v_mov_b32_e32 v1, 0
	ds_read2_b32 v[14:15], v1 offset0:11 offset1:12
	ds_read_b128 v[2:5], v1
	ds_read_b128 v[6:9], v1 offset:16
	ds_read_b96 v[10:12], v1 offset:32
	ds_read2_b32 v[16:17], v1 offset0:13 offset1:14
	s_waitcnt lgkmcnt(3)
	v_add_u32_e32 v3, v3, v15
	v_add_u32_e32 v2, v2, v14
	ds_read2_b32 v[14:15], v1 offset0:15 offset1:16
	ds_read2_b32 v[18:19], v1 offset0:17 offset1:18
	;; [unrolled: 1-line block ×3, first 2 shown]
	s_waitcnt lgkmcnt(3)
	v_add_u32_e32 v5, v5, v17
	v_add_u32_e32 v4, v4, v16
	ds_write_b128 v1, v[2:5]
	s_waitcnt lgkmcnt(3)
	v_add_u32_e32 v2, v6, v14
	ds_read_b32 v6, v1 offset:84
	v_add_u32_e32 v3, v7, v15
	s_waitcnt lgkmcnt(3)
	v_add_u32_e32 v5, v9, v19
	v_add_u32_e32 v4, v8, v18
	ds_write_b128 v1, v[2:5] offset:16
	s_waitcnt lgkmcnt(3)
	v_add_u32_e32 v3, v11, v21
	v_add_u32_e32 v2, v10, v20
	s_waitcnt lgkmcnt(1)
	v_add_u32_e32 v4, v12, v6
	ds_write_b96 v1, v[2:4] offset:32
.LBB196_59:
	s_or_b64 exec, exec, s[2:3]
	v_cmp_gt_u32_e32 vcc, 11, v0
	s_waitcnt lgkmcnt(0)
	s_barrier
	s_and_saveexec_b64 s[2:3], vcc
	s_cbranch_execz .LBB196_61
; %bb.60:
	v_mad_u64_u32 v[2:3], s[2:3], s6, 11, v[0:1]
	v_lshlrev_b32_e32 v0, 2, v0
	ds_read_b32 v4, v0
	v_mov_b32_e32 v3, 0
	v_lshlrev_b64 v[2:3], 2, v[2:3]
	v_mov_b32_e32 v1, s1
	v_add_co_u32_e32 v0, vcc, s0, v2
	v_addc_co_u32_e32 v1, vcc, v1, v3, vcc
	s_waitcnt lgkmcnt(0)
	global_store_dword v[0:1], v4, off
.LBB196_61:
	s_endpgm
	.section	.rodata,"a",@progbits
	.p2align	6, 0x0
	.amdhsa_kernel _ZN9rocsparseL26csrgemm_group_reduce_part2ILj256ELj11EdliEEvT3_PKT2_PS1_Pij
		.amdhsa_group_segment_fixed_size 11264
		.amdhsa_private_segment_fixed_size 0
		.amdhsa_kernarg_size 296
		.amdhsa_user_sgpr_count 6
		.amdhsa_user_sgpr_private_segment_buffer 1
		.amdhsa_user_sgpr_dispatch_ptr 0
		.amdhsa_user_sgpr_queue_ptr 0
		.amdhsa_user_sgpr_kernarg_segment_ptr 1
		.amdhsa_user_sgpr_dispatch_id 0
		.amdhsa_user_sgpr_flat_scratch_init 0
		.amdhsa_user_sgpr_kernarg_preload_length 0
		.amdhsa_user_sgpr_kernarg_preload_offset 0
		.amdhsa_user_sgpr_private_segment_size 0
		.amdhsa_uses_dynamic_stack 0
		.amdhsa_system_sgpr_private_segment_wavefront_offset 0
		.amdhsa_system_sgpr_workgroup_id_x 1
		.amdhsa_system_sgpr_workgroup_id_y 0
		.amdhsa_system_sgpr_workgroup_id_z 0
		.amdhsa_system_sgpr_workgroup_info 0
		.amdhsa_system_vgpr_workitem_id 0
		.amdhsa_next_free_vgpr 22
		.amdhsa_next_free_sgpr 60
		.amdhsa_accum_offset 24
		.amdhsa_reserve_vcc 1
		.amdhsa_reserve_flat_scratch 0
		.amdhsa_float_round_mode_32 0
		.amdhsa_float_round_mode_16_64 0
		.amdhsa_float_denorm_mode_32 3
		.amdhsa_float_denorm_mode_16_64 3
		.amdhsa_dx10_clamp 1
		.amdhsa_ieee_mode 1
		.amdhsa_fp16_overflow 0
		.amdhsa_tg_split 0
		.amdhsa_exception_fp_ieee_invalid_op 0
		.amdhsa_exception_fp_denorm_src 0
		.amdhsa_exception_fp_ieee_div_zero 0
		.amdhsa_exception_fp_ieee_overflow 0
		.amdhsa_exception_fp_ieee_underflow 0
		.amdhsa_exception_fp_ieee_inexact 0
		.amdhsa_exception_int_div_zero 0
	.end_amdhsa_kernel
	.section	.text._ZN9rocsparseL26csrgemm_group_reduce_part2ILj256ELj11EdliEEvT3_PKT2_PS1_Pij,"axG",@progbits,_ZN9rocsparseL26csrgemm_group_reduce_part2ILj256ELj11EdliEEvT3_PKT2_PS1_Pij,comdat
.Lfunc_end196:
	.size	_ZN9rocsparseL26csrgemm_group_reduce_part2ILj256ELj11EdliEEvT3_PKT2_PS1_Pij, .Lfunc_end196-_ZN9rocsparseL26csrgemm_group_reduce_part2ILj256ELj11EdliEEvT3_PKT2_PS1_Pij
                                        ; -- End function
	.section	.AMDGPU.csdata,"",@progbits
; Kernel info:
; codeLenInByte = 3252
; NumSgprs: 64
; NumVgprs: 22
; NumAgprs: 0
; TotalNumVgprs: 22
; ScratchSize: 0
; MemoryBound: 0
; FloatMode: 240
; IeeeMode: 1
; LDSByteSize: 11264 bytes/workgroup (compile time only)
; SGPRBlocks: 7
; VGPRBlocks: 2
; NumSGPRsForWavesPerEU: 64
; NumVGPRsForWavesPerEU: 22
; AccumOffset: 24
; Occupancy: 5
; WaveLimiterHint : 0
; COMPUTE_PGM_RSRC2:SCRATCH_EN: 0
; COMPUTE_PGM_RSRC2:USER_SGPR: 6
; COMPUTE_PGM_RSRC2:TRAP_HANDLER: 0
; COMPUTE_PGM_RSRC2:TGID_X_EN: 1
; COMPUTE_PGM_RSRC2:TGID_Y_EN: 0
; COMPUTE_PGM_RSRC2:TGID_Z_EN: 0
; COMPUTE_PGM_RSRC2:TIDIG_COMP_CNT: 0
; COMPUTE_PGM_RSRC3_GFX90A:ACCUM_OFFSET: 5
; COMPUTE_PGM_RSRC3_GFX90A:TG_SPLIT: 0
	.section	.text._ZN9rocsparseL23csrgemm_fill_wf_per_rowILj256ELj8ELj16ELj137ElidEEvT4_S1_PKS1_S3_NS_24const_host_device_scalarIT5_EEPKT3_S3_PKS5_S9_S3_SB_S6_S9_S3_SB_S9_PS1_PS5_21rocsparse_index_base_SE_SE_SE_bbb,"axG",@progbits,_ZN9rocsparseL23csrgemm_fill_wf_per_rowILj256ELj8ELj16ELj137ElidEEvT4_S1_PKS1_S3_NS_24const_host_device_scalarIT5_EEPKT3_S3_PKS5_S9_S3_SB_S6_S9_S3_SB_S9_PS1_PS5_21rocsparse_index_base_SE_SE_SE_bbb,comdat
	.globl	_ZN9rocsparseL23csrgemm_fill_wf_per_rowILj256ELj8ELj16ELj137ElidEEvT4_S1_PKS1_S3_NS_24const_host_device_scalarIT5_EEPKT3_S3_PKS5_S9_S3_SB_S6_S9_S3_SB_S9_PS1_PS5_21rocsparse_index_base_SE_SE_SE_bbb ; -- Begin function _ZN9rocsparseL23csrgemm_fill_wf_per_rowILj256ELj8ELj16ELj137ElidEEvT4_S1_PKS1_S3_NS_24const_host_device_scalarIT5_EEPKT3_S3_PKS5_S9_S3_SB_S6_S9_S3_SB_S9_PS1_PS5_21rocsparse_index_base_SE_SE_SE_bbb
	.p2align	8
	.type	_ZN9rocsparseL23csrgemm_fill_wf_per_rowILj256ELj8ELj16ELj137ElidEEvT4_S1_PKS1_S3_NS_24const_host_device_scalarIT5_EEPKT3_S3_PKS5_S9_S3_SB_S6_S9_S3_SB_S9_PS1_PS5_21rocsparse_index_base_SE_SE_SE_bbb,@function
_ZN9rocsparseL23csrgemm_fill_wf_per_rowILj256ELj8ELj16ELj137ElidEEvT4_S1_PKS1_S3_NS_24const_host_device_scalarIT5_EEPKT3_S3_PKS5_S9_S3_SB_S6_S9_S3_SB_S9_PS1_PS5_21rocsparse_index_base_SE_SE_SE_bbb: ; @_ZN9rocsparseL23csrgemm_fill_wf_per_rowILj256ELj8ELj16ELj137ElidEEvT4_S1_PKS1_S3_NS_24const_host_device_scalarIT5_EEPKT3_S3_PKS5_S9_S3_SB_S6_S9_S3_SB_S9_PS1_PS5_21rocsparse_index_base_SE_SE_SE_bbb
; %bb.0:
	s_load_dword s7, s[4:5], 0x98
	s_load_dwordx4 s[0:3], s[4:5], 0x88
	s_load_dwordx2 s[8:9], s[4:5], 0x18
	s_load_dwordx2 s[42:43], s[4:5], 0x50
	s_waitcnt lgkmcnt(0)
	s_and_b32 s10, 1, s7
	s_bitcmp1_b32 s7, 16
	s_cselect_b64 s[44:45], -1, 0
	s_cmp_eq_u32 s10, 1
	s_cselect_b64 s[40:41], -1, 0
	s_and_b64 s[10:11], s[40:41], exec
	s_cselect_b32 s11, s9, 0
	s_cselect_b32 s10, s8, 0
	s_xor_b64 s[12:13], s[40:41], -1
	s_or_b64 s[12:13], s[12:13], s[44:45]
	s_and_b64 vcc, exec, s[12:13]
	v_pk_mov_b32 v[8:9], s[10:11], s[10:11] op_sel:[0,1]
	s_cbranch_vccnz .LBB197_2
; %bb.1:
	v_pk_mov_b32 v[2:3], s[8:9], s[8:9] op_sel:[0,1]
	flat_load_dwordx2 v[8:9], v[2:3]
.LBB197_2:
	s_load_dwordx4 s[24:27], s[4:5], 0x78
	s_load_dwordx8 s[8:15], s[4:5], 0x58
	s_load_dwordx4 s[28:31], s[4:5], 0x40
	s_load_dwordx4 s[36:39], s[4:5], 0x8
	s_load_dwordx8 s[16:23], s[4:5], 0x20
	s_bitcmp1_b32 s7, 8
	s_cselect_b64 s[34:35], -1, 0
	s_and_b64 s[46:47], s[34:35], exec
	s_cselect_b32 s47, s43, 0
	s_cselect_b32 s46, s42, 0
	s_xor_b64 s[48:49], s[34:35], -1
	s_or_b64 s[44:45], s[48:49], s[44:45]
	s_and_b64 vcc, exec, s[44:45]
	v_pk_mov_b32 v[4:5], s[46:47], s[46:47] op_sel:[0,1]
	s_cbranch_vccnz .LBB197_4
; %bb.3:
	v_pk_mov_b32 v[2:3], s[42:43], s[42:43] op_sel:[0,1]
	flat_load_dwordx2 v[4:5], v[2:3]
.LBB197_4:
	s_load_dwordx2 s[4:5], s[4:5], 0x0
	v_and_b32_e32 v23, 7, v0
	v_lshrrev_b32_e32 v2, 3, v0
	v_lshlrev_b32_e32 v0, 3, v23
	v_lshl_or_b32 v19, v2, 7, v0
	v_lshlrev_b32_e32 v0, 6, v2
	v_lshlrev_b32_e32 v1, 2, v23
	s_movk_i32 s7, 0x1000
	v_or_b32_e32 v18, -8, v23
	v_or3_b32 v20, v0, v1, s7
	v_mov_b32_e32 v0, 0
	s_mov_b64 s[42:43], 0
	s_waitcnt lgkmcnt(0)
	v_mov_b32_e32 v3, s5
	v_mov_b32_e32 v1, v0
	;; [unrolled: 1-line block ×5, first 2 shown]
.LBB197_5:                              ; =>This Inner Loop Header: Depth=1
	v_add_co_u32_e32 v10, vcc, 8, v10
	s_xor_b64 s[44:45], vcc, -1
	s_and_b64 s[44:45], exec, s[44:45]
	ds_write_b32 v6, v3
	ds_write_b64 v7, v[0:1]
	v_add_u32_e32 v7, 64, v7
	s_or_b64 s[42:43], s[44:45], s[42:43]
	v_add_u32_e32 v6, 32, v6
	s_andn2_b64 exec, exec, s[42:43]
	s_cbranch_execnz .LBB197_5
; %bb.6:
	s_or_b64 exec, exec, s[42:43]
	s_lshl_b32 s6, s6, 5
	s_and_b32 s6, s6, 0x1fffffe0
	v_or_b32_e32 v0, s6, v2
	v_cmp_gt_i32_e32 vcc, s4, v0
	s_waitcnt lgkmcnt(0)
	s_and_saveexec_b64 s[6:7], vcc
	s_cbranch_execz .LBB197_50
; %bb.7:
	s_cmp_eq_u64 s[38:39], 0
	s_cbranch_scc1 .LBB197_9
; %bb.8:
	s_load_dword s4, s[36:37], 0x0
	v_mov_b32_e32 v3, s39
	s_waitcnt lgkmcnt(0)
	v_add_u32_e32 v0, s4, v0
	v_ashrrev_i32_e32 v1, 31, v0
	v_lshlrev_b64 v[0:1], 2, v[0:1]
	v_add_co_u32_e32 v0, vcc, s38, v0
	v_addc_co_u32_e32 v1, vcc, v3, v1, vcc
	global_load_dword v0, v[0:1], off
.LBB197_9:
	v_mov_b32_e32 v1, 0x1000
	v_lshl_or_b32 v21, v2, 6, v1
	s_waitcnt vmcnt(0)
	v_ashrrev_i32_e32 v1, 31, v0
	v_lshlrev_b32_e32 v22, 7, v2
	s_andn2_b64 vcc, exec, s[40:41]
	v_lshlrev_b64 v[6:7], 3, v[0:1]
	s_cbranch_vccnz .LBB197_29
; %bb.10:
	v_mov_b32_e32 v1, s17
	v_add_co_u32_e32 v0, vcc, s16, v6
	v_addc_co_u32_e32 v1, vcc, v1, v7, vcc
	global_load_dwordx4 v[0:3], v[0:1], off
	v_subrev_co_u32_e32 v12, vcc, s0, v23
	v_subb_co_u32_e64 v13, s[6:7], 0, 0, vcc
	s_mov_b32 s4, 0
	s_waitcnt vmcnt(0)
	v_subrev_co_u32_e32 v10, vcc, s0, v2
	v_subbrev_co_u32_e32 v11, vcc, 0, v3, vcc
	v_add_co_u32_e32 v12, vcc, v0, v12
	v_addc_co_u32_e32 v13, vcc, v1, v13, vcc
	v_cmp_lt_i64_e32 vcc, v[12:13], v[10:11]
	s_and_saveexec_b64 s[6:7], vcc
	s_cbranch_execz .LBB197_28
; %bb.11:
	s_mov_b32 s33, s1
	s_mov_b64 s[16:17], 0
	v_mov_b32_e32 v24, s19
	v_mov_b32_e32 v25, s23
	s_branch .LBB197_13
.LBB197_12:                             ;   in Loop: Header=BB197_13 Depth=1
	s_or_b64 exec, exec, s[36:37]
	v_add_co_u32_e32 v12, vcc, 8, v12
	v_addc_co_u32_e32 v13, vcc, 0, v13, vcc
	v_cmp_ge_i64_e32 vcc, v[12:13], v[10:11]
	s_or_b64 s[16:17], vcc, s[16:17]
	s_andn2_b64 exec, exec, s[16:17]
	s_cbranch_execz .LBB197_28
.LBB197_13:                             ; =>This Loop Header: Depth=1
                                        ;     Child Loop BB197_16 Depth 2
                                        ;       Child Loop BB197_18 Depth 3
	v_lshlrev_b64 v[0:1], 2, v[12:13]
	v_add_co_u32_e32 v0, vcc, s18, v0
	v_addc_co_u32_e32 v1, vcc, v24, v1, vcc
	global_load_dword v0, v[0:1], off
	s_waitcnt vmcnt(0)
	v_subrev_u32_e32 v0, s0, v0
	v_ashrrev_i32_e32 v1, 31, v0
	v_lshlrev_b64 v[0:1], 3, v[0:1]
	v_add_co_u32_e32 v0, vcc, s22, v0
	v_addc_co_u32_e32 v1, vcc, v25, v1, vcc
	global_load_dwordx4 v[0:3], v[0:1], off
	s_waitcnt vmcnt(0)
	v_cmp_lt_i64_e32 vcc, v[0:1], v[2:3]
	s_and_saveexec_b64 s[36:37], vcc
	s_cbranch_execz .LBB197_12
; %bb.14:                               ;   in Loop: Header=BB197_13 Depth=1
	v_lshlrev_b64 v[14:15], 3, v[12:13]
	v_mov_b32_e32 v16, s21
	v_add_co_u32_e32 v14, vcc, s20, v14
	v_addc_co_u32_e32 v15, vcc, v16, v15, vcc
	global_load_dwordx2 v[14:15], v[14:15], off
	v_mov_b32_e32 v16, s4
	v_subrev_co_u32_e32 v2, vcc, s33, v2
	v_subb_co_u32_e32 v3, vcc, v3, v16, vcc
	v_subrev_co_u32_e32 v0, vcc, s33, v0
	v_subb_co_u32_e32 v1, vcc, v1, v16, vcc
	s_mov_b64 s[38:39], 0
	s_waitcnt vmcnt(0)
	v_mul_f64 v[14:15], v[8:9], v[14:15]
	s_branch .LBB197_16
.LBB197_15:                             ;   in Loop: Header=BB197_16 Depth=2
	s_or_b64 exec, exec, s[40:41]
	v_add_co_u32_e32 v0, vcc, 1, v0
	v_addc_co_u32_e32 v1, vcc, 0, v1, vcc
	v_cmp_ge_i64_e32 vcc, v[0:1], v[2:3]
	s_or_b64 s[38:39], vcc, s[38:39]
	s_andn2_b64 exec, exec, s[38:39]
	s_cbranch_execz .LBB197_12
.LBB197_16:                             ;   Parent Loop BB197_13 Depth=1
                                        ; =>  This Loop Header: Depth=2
                                        ;       Child Loop BB197_18 Depth 3
	v_lshlrev_b64 v[16:17], 2, v[0:1]
	v_mov_b32_e32 v26, s29
	v_add_co_u32_e32 v16, vcc, s28, v16
	v_addc_co_u32_e32 v17, vcc, v26, v17, vcc
	global_load_dword v26, v[16:17], off
	v_lshlrev_b64 v[16:17], 3, v[0:1]
	v_mov_b32_e32 v27, s31
	v_add_co_u32_e32 v16, vcc, s30, v16
	v_addc_co_u32_e32 v17, vcc, v27, v17, vcc
	global_load_dwordx2 v[16:17], v[16:17], off
	s_mov_b64 s[40:41], 0
	s_waitcnt vmcnt(1)
	v_subrev_u32_e32 v26, s1, v26
	v_lshl_add_u32 v27, v26, 3, v26
	v_and_b32_e32 v27, 15, v27
	s_waitcnt vmcnt(0)
	v_mul_f64 v[16:17], v[14:15], v[16:17]
	s_branch .LBB197_18
.LBB197_17:                             ;   in Loop: Header=BB197_18 Depth=3
	s_or_b64 exec, exec, s[42:43]
	s_xor_b64 s[42:43], s[44:45], -1
	s_and_b64 s[42:43], exec, s[42:43]
	s_or_b64 s[40:41], s[42:43], s[40:41]
	s_andn2_b64 exec, exec, s[40:41]
	s_cbranch_execz .LBB197_15
.LBB197_18:                             ;   Parent Loop BB197_13 Depth=1
                                        ;     Parent Loop BB197_16 Depth=2
                                        ; =>    This Inner Loop Header: Depth=3
	v_lshl_add_u32 v28, v27, 2, v21
	ds_read_b32 v29, v28
                                        ; implicit-def: $sgpr44_sgpr45
	s_waitcnt lgkmcnt(0)
	v_cmp_ne_u32_e32 vcc, v29, v26
	s_and_saveexec_b64 s[42:43], vcc
	s_xor_b64 s[42:43], exec, s[42:43]
	s_cbranch_execz .LBB197_26
; %bb.19:                               ;   in Loop: Header=BB197_18 Depth=3
	v_cmp_ne_u32_e32 vcc, s5, v29
                                        ; implicit-def: $sgpr44_sgpr45
	s_and_saveexec_b64 s[46:47], vcc
	s_xor_b64 s[46:47], exec, s[46:47]
; %bb.20:                               ;   in Loop: Header=BB197_18 Depth=3
	v_add_u32_e32 v27, 1, v27
	v_and_b32_e32 v27, 15, v27
	s_mov_b64 s[44:45], -1
                                        ; implicit-def: $vgpr28
; %bb.21:                               ;   in Loop: Header=BB197_18 Depth=3
	s_andn2_saveexec_b64 s[46:47], s[46:47]
	s_cbranch_execz .LBB197_25
; %bb.22:                               ;   in Loop: Header=BB197_18 Depth=3
	v_mov_b32_e32 v29, s5
	ds_cmpst_rtn_b32 v28, v28, v29, v26
	s_mov_b64 s[48:49], -1
	s_waitcnt lgkmcnt(0)
	v_cmp_eq_u32_e32 vcc, s5, v28
	s_and_saveexec_b64 s[50:51], vcc
	s_cbranch_execz .LBB197_24
; %bb.23:                               ;   in Loop: Header=BB197_18 Depth=3
	v_lshl_add_u32 v28, v27, 3, v22
	ds_add_f64 v28, v[16:17]
	s_xor_b64 s[48:49], exec, -1
.LBB197_24:                             ;   in Loop: Header=BB197_18 Depth=3
	s_or_b64 exec, exec, s[50:51]
	s_andn2_b64 s[44:45], s[44:45], exec
	s_and_b64 s[48:49], s[48:49], exec
	s_or_b64 s[44:45], s[44:45], s[48:49]
.LBB197_25:                             ;   in Loop: Header=BB197_18 Depth=3
	s_or_b64 exec, exec, s[46:47]
	s_and_b64 s[44:45], s[44:45], exec
.LBB197_26:                             ;   in Loop: Header=BB197_18 Depth=3
	s_andn2_saveexec_b64 s[42:43], s[42:43]
	s_cbranch_execz .LBB197_17
; %bb.27:                               ;   in Loop: Header=BB197_18 Depth=3
	v_lshl_add_u32 v28, v27, 3, v22
	ds_add_f64 v28, v[16:17]
	s_andn2_b64 s[44:45], s[44:45], exec
	s_branch .LBB197_17
.LBB197_28:
	s_or_b64 exec, exec, s[6:7]
.LBB197_29:
	s_andn2_b64 vcc, exec, s[34:35]
	s_cbranch_vccnz .LBB197_46
; %bb.30:
	v_mov_b32_e32 v1, s9
	v_add_co_u32_e32 v0, vcc, s8, v6
	v_addc_co_u32_e32 v1, vcc, v1, v7, vcc
	global_load_dwordx4 v[8:11], v[0:1], off
	v_subrev_co_u32_e32 v2, vcc, s3, v23
	v_subb_co_u32_e64 v3, s[0:1], 0, 0, vcc
	s_waitcnt vmcnt(0)
	v_subrev_co_u32_e32 v0, vcc, s3, v10
	v_subbrev_co_u32_e32 v1, vcc, 0, v11, vcc
	v_add_co_u32_e32 v2, vcc, v8, v2
	v_addc_co_u32_e32 v3, vcc, v9, v3, vcc
	v_cmp_lt_i64_e32 vcc, v[2:3], v[0:1]
	s_and_saveexec_b64 s[0:1], vcc
	s_cbranch_execz .LBB197_45
; %bb.31:
	s_mov_b64 s[6:7], 0
	v_mov_b32_e32 v10, s11
	v_mov_b32_e32 v11, s13
	s_branch .LBB197_33
.LBB197_32:                             ;   in Loop: Header=BB197_33 Depth=1
	s_or_b64 exec, exec, s[8:9]
	v_add_co_u32_e32 v2, vcc, 8, v2
	v_addc_co_u32_e32 v3, vcc, 0, v3, vcc
	v_cmp_ge_i64_e32 vcc, v[2:3], v[0:1]
	s_or_b64 s[6:7], vcc, s[6:7]
	s_andn2_b64 exec, exec, s[6:7]
	s_cbranch_execz .LBB197_45
.LBB197_33:                             ; =>This Loop Header: Depth=1
                                        ;     Child Loop BB197_35 Depth 2
	v_lshlrev_b64 v[8:9], 2, v[2:3]
	v_add_co_u32_e32 v8, vcc, s10, v8
	v_addc_co_u32_e32 v9, vcc, v10, v9, vcc
	global_load_dword v12, v[8:9], off
	v_lshlrev_b64 v[8:9], 3, v[2:3]
	v_add_co_u32_e32 v8, vcc, s12, v8
	v_addc_co_u32_e32 v9, vcc, v11, v9, vcc
	global_load_dwordx2 v[8:9], v[8:9], off
	s_mov_b64 s[8:9], 0
	s_waitcnt vmcnt(1)
	v_subrev_u32_e32 v12, s3, v12
	v_lshl_add_u32 v13, v12, 3, v12
	v_and_b32_e32 v13, 15, v13
	s_waitcnt vmcnt(0)
	v_mul_f64 v[8:9], v[4:5], v[8:9]
	s_branch .LBB197_35
.LBB197_34:                             ;   in Loop: Header=BB197_35 Depth=2
	s_or_b64 exec, exec, s[16:17]
	s_xor_b64 s[16:17], s[18:19], -1
	s_and_b64 s[16:17], exec, s[16:17]
	s_or_b64 s[8:9], s[16:17], s[8:9]
	s_andn2_b64 exec, exec, s[8:9]
	s_cbranch_execz .LBB197_32
.LBB197_35:                             ;   Parent Loop BB197_33 Depth=1
                                        ; =>  This Inner Loop Header: Depth=2
	v_lshl_add_u32 v14, v13, 2, v21
	ds_read_b32 v15, v14
                                        ; implicit-def: $sgpr18_sgpr19
	s_waitcnt lgkmcnt(0)
	v_cmp_ne_u32_e32 vcc, v15, v12
	s_and_saveexec_b64 s[16:17], vcc
	s_xor_b64 s[16:17], exec, s[16:17]
	s_cbranch_execz .LBB197_43
; %bb.36:                               ;   in Loop: Header=BB197_35 Depth=2
	v_cmp_ne_u32_e32 vcc, s5, v15
                                        ; implicit-def: $sgpr18_sgpr19
	s_and_saveexec_b64 s[20:21], vcc
	s_xor_b64 s[20:21], exec, s[20:21]
; %bb.37:                               ;   in Loop: Header=BB197_35 Depth=2
	v_add_u32_e32 v13, 1, v13
	v_and_b32_e32 v13, 15, v13
	s_mov_b64 s[18:19], -1
                                        ; implicit-def: $vgpr14
; %bb.38:                               ;   in Loop: Header=BB197_35 Depth=2
	s_andn2_saveexec_b64 s[20:21], s[20:21]
	s_cbranch_execz .LBB197_42
; %bb.39:                               ;   in Loop: Header=BB197_35 Depth=2
	v_mov_b32_e32 v15, s5
	ds_cmpst_rtn_b32 v14, v14, v15, v12
	s_mov_b64 s[22:23], -1
	s_waitcnt lgkmcnt(0)
	v_cmp_eq_u32_e32 vcc, s5, v14
	s_and_saveexec_b64 s[28:29], vcc
	s_cbranch_execz .LBB197_41
; %bb.40:                               ;   in Loop: Header=BB197_35 Depth=2
	v_lshl_add_u32 v14, v13, 3, v22
	ds_add_f64 v14, v[8:9]
	s_xor_b64 s[22:23], exec, -1
.LBB197_41:                             ;   in Loop: Header=BB197_35 Depth=2
	s_or_b64 exec, exec, s[28:29]
	s_andn2_b64 s[18:19], s[18:19], exec
	s_and_b64 s[22:23], s[22:23], exec
	s_or_b64 s[18:19], s[18:19], s[22:23]
.LBB197_42:                             ;   in Loop: Header=BB197_35 Depth=2
	s_or_b64 exec, exec, s[20:21]
	s_and_b64 s[18:19], s[18:19], exec
.LBB197_43:                             ;   in Loop: Header=BB197_35 Depth=2
	s_andn2_saveexec_b64 s[16:17], s[16:17]
	s_cbranch_execz .LBB197_34
; %bb.44:                               ;   in Loop: Header=BB197_35 Depth=2
	v_lshl_add_u32 v14, v13, 3, v22
	ds_add_f64 v14, v[8:9]
	s_andn2_b64 s[18:19], s[18:19], exec
	s_branch .LBB197_34
.LBB197_45:
	s_or_b64 exec, exec, s[0:1]
.LBB197_46:
	v_mov_b32_e32 v1, s15
	v_add_co_u32_e32 v0, vcc, s14, v6
	v_addc_co_u32_e32 v1, vcc, v1, v7, vcc
	s_waitcnt lgkmcnt(0)
	global_load_dwordx2 v[0:1], v[0:1], off
	s_mov_b64 s[0:1], 0
	s_waitcnt vmcnt(0)
	v_subrev_co_u32_e32 v0, vcc, s2, v0
	v_subbrev_co_u32_e32 v1, vcc, 0, v1, vcc
	s_branch .LBB197_48
.LBB197_47:                             ;   in Loop: Header=BB197_48 Depth=1
	s_or_b64 exec, exec, s[6:7]
	v_add_co_u32_e32 v18, vcc, 8, v18
	s_xor_b64 s[6:7], vcc, -1
	s_and_b64 s[6:7], exec, s[6:7]
	v_add_u32_e32 v19, 64, v19
	s_or_b64 s[0:1], s[6:7], s[0:1]
	v_add_u32_e32 v20, 32, v20
	s_andn2_b64 exec, exec, s[0:1]
	s_cbranch_execz .LBB197_50
.LBB197_48:                             ; =>This Inner Loop Header: Depth=1
	ds_read_b32 v2, v20
	s_waitcnt lgkmcnt(0)
	v_cmp_gt_i32_e32 vcc, s5, v2
	s_and_saveexec_b64 s[6:7], vcc
	s_cbranch_execz .LBB197_47
; %bb.49:                               ;   in Loop: Header=BB197_48 Depth=1
	ds_read_b128 v[4:7], v21
	ds_read_b128 v[8:11], v21 offset:16
	ds_read_b128 v[12:15], v21 offset:32
	;; [unrolled: 1-line block ×3, first 2 shown]
	s_waitcnt lgkmcnt(3)
	v_cmp_gt_i32_e32 vcc, v2, v4
	v_cndmask_b32_e64 v3, 0, 1, vcc
	v_add_co_u32_e32 v3, vcc, v0, v3
	v_addc_co_u32_e32 v4, vcc, 0, v1, vcc
	v_cmp_gt_i32_e32 vcc, v2, v5
	v_cndmask_b32_e64 v5, 0, 1, vcc
	v_add_co_u32_e32 v3, vcc, v3, v5
	v_addc_co_u32_e32 v4, vcc, 0, v4, vcc
	v_cmp_gt_i32_e32 vcc, v2, v6
	v_cndmask_b32_e64 v5, 0, 1, vcc
	v_add_co_u32_e32 v3, vcc, v3, v5
	v_addc_co_u32_e32 v4, vcc, 0, v4, vcc
	v_cmp_gt_i32_e32 vcc, v2, v7
	v_cndmask_b32_e64 v5, 0, 1, vcc
	v_add_co_u32_e32 v3, vcc, v3, v5
	v_addc_co_u32_e32 v4, vcc, 0, v4, vcc
	s_waitcnt lgkmcnt(2)
	v_cmp_gt_i32_e32 vcc, v2, v8
	v_cndmask_b32_e64 v5, 0, 1, vcc
	v_add_co_u32_e32 v3, vcc, v3, v5
	v_addc_co_u32_e32 v4, vcc, 0, v4, vcc
	v_cmp_gt_i32_e32 vcc, v2, v9
	v_cndmask_b32_e64 v5, 0, 1, vcc
	v_add_co_u32_e32 v3, vcc, v3, v5
	v_addc_co_u32_e32 v4, vcc, 0, v4, vcc
	v_cmp_gt_i32_e32 vcc, v2, v10
	v_cndmask_b32_e64 v5, 0, 1, vcc
	v_add_co_u32_e32 v3, vcc, v3, v5
	v_addc_co_u32_e32 v4, vcc, 0, v4, vcc
	v_cmp_gt_i32_e32 vcc, v2, v11
	v_cndmask_b32_e64 v5, 0, 1, vcc
	v_add_co_u32_e32 v3, vcc, v3, v5
	v_addc_co_u32_e32 v4, vcc, 0, v4, vcc
	;; [unrolled: 17-line block ×4, first 2 shown]
	v_add_u32_e32 v6, s2, v2
	v_lshlrev_b64 v[2:3], 2, v[4:5]
	v_mov_b32_e32 v7, s25
	v_add_co_u32_e32 v2, vcc, s24, v2
	v_addc_co_u32_e32 v3, vcc, v7, v3, vcc
	global_store_dword v[2:3], v6, off
	ds_read_b64 v[2:3], v19
	v_lshlrev_b64 v[4:5], 3, v[4:5]
	v_mov_b32_e32 v6, s27
	v_add_co_u32_e32 v4, vcc, s26, v4
	v_addc_co_u32_e32 v5, vcc, v6, v5, vcc
	s_waitcnt lgkmcnt(0)
	global_store_dwordx2 v[4:5], v[2:3], off
	s_branch .LBB197_47
.LBB197_50:
	s_endpgm
	.section	.rodata,"a",@progbits
	.p2align	6, 0x0
	.amdhsa_kernel _ZN9rocsparseL23csrgemm_fill_wf_per_rowILj256ELj8ELj16ELj137ElidEEvT4_S1_PKS1_S3_NS_24const_host_device_scalarIT5_EEPKT3_S3_PKS5_S9_S3_SB_S6_S9_S3_SB_S9_PS1_PS5_21rocsparse_index_base_SE_SE_SE_bbb
		.amdhsa_group_segment_fixed_size 6144
		.amdhsa_private_segment_fixed_size 0
		.amdhsa_kernarg_size 156
		.amdhsa_user_sgpr_count 6
		.amdhsa_user_sgpr_private_segment_buffer 1
		.amdhsa_user_sgpr_dispatch_ptr 0
		.amdhsa_user_sgpr_queue_ptr 0
		.amdhsa_user_sgpr_kernarg_segment_ptr 1
		.amdhsa_user_sgpr_dispatch_id 0
		.amdhsa_user_sgpr_flat_scratch_init 0
		.amdhsa_user_sgpr_kernarg_preload_length 0
		.amdhsa_user_sgpr_kernarg_preload_offset 0
		.amdhsa_user_sgpr_private_segment_size 0
		.amdhsa_uses_dynamic_stack 0
		.amdhsa_system_sgpr_private_segment_wavefront_offset 0
		.amdhsa_system_sgpr_workgroup_id_x 1
		.amdhsa_system_sgpr_workgroup_id_y 0
		.amdhsa_system_sgpr_workgroup_id_z 0
		.amdhsa_system_sgpr_workgroup_info 0
		.amdhsa_system_vgpr_workitem_id 0
		.amdhsa_next_free_vgpr 30
		.amdhsa_next_free_sgpr 52
		.amdhsa_accum_offset 32
		.amdhsa_reserve_vcc 1
		.amdhsa_reserve_flat_scratch 0
		.amdhsa_float_round_mode_32 0
		.amdhsa_float_round_mode_16_64 0
		.amdhsa_float_denorm_mode_32 3
		.amdhsa_float_denorm_mode_16_64 3
		.amdhsa_dx10_clamp 1
		.amdhsa_ieee_mode 1
		.amdhsa_fp16_overflow 0
		.amdhsa_tg_split 0
		.amdhsa_exception_fp_ieee_invalid_op 0
		.amdhsa_exception_fp_denorm_src 0
		.amdhsa_exception_fp_ieee_div_zero 0
		.amdhsa_exception_fp_ieee_overflow 0
		.amdhsa_exception_fp_ieee_underflow 0
		.amdhsa_exception_fp_ieee_inexact 0
		.amdhsa_exception_int_div_zero 0
	.end_amdhsa_kernel
	.section	.text._ZN9rocsparseL23csrgemm_fill_wf_per_rowILj256ELj8ELj16ELj137ElidEEvT4_S1_PKS1_S3_NS_24const_host_device_scalarIT5_EEPKT3_S3_PKS5_S9_S3_SB_S6_S9_S3_SB_S9_PS1_PS5_21rocsparse_index_base_SE_SE_SE_bbb,"axG",@progbits,_ZN9rocsparseL23csrgemm_fill_wf_per_rowILj256ELj8ELj16ELj137ElidEEvT4_S1_PKS1_S3_NS_24const_host_device_scalarIT5_EEPKT3_S3_PKS5_S9_S3_SB_S6_S9_S3_SB_S9_PS1_PS5_21rocsparse_index_base_SE_SE_SE_bbb,comdat
.Lfunc_end197:
	.size	_ZN9rocsparseL23csrgemm_fill_wf_per_rowILj256ELj8ELj16ELj137ElidEEvT4_S1_PKS1_S3_NS_24const_host_device_scalarIT5_EEPKT3_S3_PKS5_S9_S3_SB_S6_S9_S3_SB_S9_PS1_PS5_21rocsparse_index_base_SE_SE_SE_bbb, .Lfunc_end197-_ZN9rocsparseL23csrgemm_fill_wf_per_rowILj256ELj8ELj16ELj137ElidEEvT4_S1_PKS1_S3_NS_24const_host_device_scalarIT5_EEPKT3_S3_PKS5_S9_S3_SB_S6_S9_S3_SB_S9_PS1_PS5_21rocsparse_index_base_SE_SE_SE_bbb
                                        ; -- End function
	.section	.AMDGPU.csdata,"",@progbits
; Kernel info:
; codeLenInByte = 2024
; NumSgprs: 56
; NumVgprs: 30
; NumAgprs: 0
; TotalNumVgprs: 30
; ScratchSize: 0
; MemoryBound: 0
; FloatMode: 240
; IeeeMode: 1
; LDSByteSize: 6144 bytes/workgroup (compile time only)
; SGPRBlocks: 6
; VGPRBlocks: 3
; NumSGPRsForWavesPerEU: 56
; NumVGPRsForWavesPerEU: 30
; AccumOffset: 32
; Occupancy: 8
; WaveLimiterHint : 1
; COMPUTE_PGM_RSRC2:SCRATCH_EN: 0
; COMPUTE_PGM_RSRC2:USER_SGPR: 6
; COMPUTE_PGM_RSRC2:TRAP_HANDLER: 0
; COMPUTE_PGM_RSRC2:TGID_X_EN: 1
; COMPUTE_PGM_RSRC2:TGID_Y_EN: 0
; COMPUTE_PGM_RSRC2:TGID_Z_EN: 0
; COMPUTE_PGM_RSRC2:TIDIG_COMP_CNT: 0
; COMPUTE_PGM_RSRC3_GFX90A:ACCUM_OFFSET: 7
; COMPUTE_PGM_RSRC3_GFX90A:TG_SPLIT: 0
	.section	.text._ZN9rocsparseL23csrgemm_fill_wf_per_rowILj256ELj16ELj32ELj137ElidEEvT4_S1_PKS1_S3_NS_24const_host_device_scalarIT5_EEPKT3_S3_PKS5_S9_S3_SB_S6_S9_S3_SB_S9_PS1_PS5_21rocsparse_index_base_SE_SE_SE_bbb,"axG",@progbits,_ZN9rocsparseL23csrgemm_fill_wf_per_rowILj256ELj16ELj32ELj137ElidEEvT4_S1_PKS1_S3_NS_24const_host_device_scalarIT5_EEPKT3_S3_PKS5_S9_S3_SB_S6_S9_S3_SB_S9_PS1_PS5_21rocsparse_index_base_SE_SE_SE_bbb,comdat
	.globl	_ZN9rocsparseL23csrgemm_fill_wf_per_rowILj256ELj16ELj32ELj137ElidEEvT4_S1_PKS1_S3_NS_24const_host_device_scalarIT5_EEPKT3_S3_PKS5_S9_S3_SB_S6_S9_S3_SB_S9_PS1_PS5_21rocsparse_index_base_SE_SE_SE_bbb ; -- Begin function _ZN9rocsparseL23csrgemm_fill_wf_per_rowILj256ELj16ELj32ELj137ElidEEvT4_S1_PKS1_S3_NS_24const_host_device_scalarIT5_EEPKT3_S3_PKS5_S9_S3_SB_S6_S9_S3_SB_S9_PS1_PS5_21rocsparse_index_base_SE_SE_SE_bbb
	.p2align	8
	.type	_ZN9rocsparseL23csrgemm_fill_wf_per_rowILj256ELj16ELj32ELj137ElidEEvT4_S1_PKS1_S3_NS_24const_host_device_scalarIT5_EEPKT3_S3_PKS5_S9_S3_SB_S6_S9_S3_SB_S9_PS1_PS5_21rocsparse_index_base_SE_SE_SE_bbb,@function
_ZN9rocsparseL23csrgemm_fill_wf_per_rowILj256ELj16ELj32ELj137ElidEEvT4_S1_PKS1_S3_NS_24const_host_device_scalarIT5_EEPKT3_S3_PKS5_S9_S3_SB_S6_S9_S3_SB_S9_PS1_PS5_21rocsparse_index_base_SE_SE_SE_bbb: ; @_ZN9rocsparseL23csrgemm_fill_wf_per_rowILj256ELj16ELj32ELj137ElidEEvT4_S1_PKS1_S3_NS_24const_host_device_scalarIT5_EEPKT3_S3_PKS5_S9_S3_SB_S6_S9_S3_SB_S9_PS1_PS5_21rocsparse_index_base_SE_SE_SE_bbb
; %bb.0:
	s_load_dword s7, s[4:5], 0x98
	s_load_dwordx4 s[0:3], s[4:5], 0x88
	s_load_dwordx2 s[8:9], s[4:5], 0x18
	s_load_dwordx2 s[42:43], s[4:5], 0x50
	s_waitcnt lgkmcnt(0)
	s_and_b32 s10, 1, s7
	s_bitcmp1_b32 s7, 16
	s_cselect_b64 s[44:45], -1, 0
	s_cmp_eq_u32 s10, 1
	s_cselect_b64 s[40:41], -1, 0
	s_and_b64 s[10:11], s[40:41], exec
	s_cselect_b32 s11, s9, 0
	s_cselect_b32 s10, s8, 0
	s_xor_b64 s[12:13], s[40:41], -1
	s_or_b64 s[12:13], s[12:13], s[44:45]
	s_and_b64 vcc, exec, s[12:13]
	v_pk_mov_b32 v[8:9], s[10:11], s[10:11] op_sel:[0,1]
	s_cbranch_vccnz .LBB198_2
; %bb.1:
	v_pk_mov_b32 v[2:3], s[8:9], s[8:9] op_sel:[0,1]
	flat_load_dwordx2 v[8:9], v[2:3]
.LBB198_2:
	s_load_dwordx4 s[24:27], s[4:5], 0x78
	s_load_dwordx8 s[8:15], s[4:5], 0x58
	s_load_dwordx4 s[28:31], s[4:5], 0x40
	s_load_dwordx4 s[36:39], s[4:5], 0x8
	s_load_dwordx8 s[16:23], s[4:5], 0x20
	s_bitcmp1_b32 s7, 8
	s_cselect_b64 s[34:35], -1, 0
	s_and_b64 s[46:47], s[34:35], exec
	s_cselect_b32 s47, s43, 0
	s_cselect_b32 s46, s42, 0
	s_xor_b64 s[48:49], s[34:35], -1
	s_or_b64 s[44:45], s[48:49], s[44:45]
	s_and_b64 vcc, exec, s[44:45]
	v_pk_mov_b32 v[4:5], s[46:47], s[46:47] op_sel:[0,1]
	s_cbranch_vccnz .LBB198_4
; %bb.3:
	v_pk_mov_b32 v[2:3], s[42:43], s[42:43] op_sel:[0,1]
	flat_load_dwordx2 v[4:5], v[2:3]
.LBB198_4:
	s_load_dwordx2 s[4:5], s[4:5], 0x0
	v_and_b32_e32 v23, 15, v0
	v_lshrrev_b32_e32 v2, 4, v0
	v_lshlrev_b32_e32 v0, 3, v23
	v_lshl_or_b32 v19, v2, 8, v0
	v_lshlrev_b32_e32 v0, 7, v2
	v_lshlrev_b32_e32 v1, 2, v23
	s_movk_i32 s7, 0x1000
	v_or_b32_e32 v18, -16, v23
	v_or3_b32 v20, v0, v1, s7
	v_mov_b32_e32 v0, 0
	s_mov_b64 s[42:43], 0
	s_waitcnt lgkmcnt(0)
	v_mov_b32_e32 v3, s5
	v_mov_b32_e32 v1, v0
	;; [unrolled: 1-line block ×5, first 2 shown]
.LBB198_5:                              ; =>This Inner Loop Header: Depth=1
	v_add_co_u32_e32 v10, vcc, 16, v10
	s_xor_b64 s[44:45], vcc, -1
	s_and_b64 s[44:45], exec, s[44:45]
	ds_write_b32 v6, v3
	ds_write_b64 v7, v[0:1]
	v_add_u32_e32 v7, 0x80, v7
	s_or_b64 s[42:43], s[44:45], s[42:43]
	v_add_u32_e32 v6, 64, v6
	s_andn2_b64 exec, exec, s[42:43]
	s_cbranch_execnz .LBB198_5
; %bb.6:
	s_or_b64 exec, exec, s[42:43]
	s_lshl_b32 s6, s6, 4
	s_and_b32 s6, s6, 0xffffff0
	v_or_b32_e32 v0, s6, v2
	v_cmp_gt_i32_e32 vcc, s4, v0
	s_waitcnt lgkmcnt(0)
	s_and_saveexec_b64 s[6:7], vcc
	s_cbranch_execz .LBB198_50
; %bb.7:
	s_cmp_eq_u64 s[38:39], 0
	s_cbranch_scc1 .LBB198_9
; %bb.8:
	s_load_dword s4, s[36:37], 0x0
	v_mov_b32_e32 v3, s39
	s_waitcnt lgkmcnt(0)
	v_add_u32_e32 v0, s4, v0
	v_ashrrev_i32_e32 v1, 31, v0
	v_lshlrev_b64 v[0:1], 2, v[0:1]
	v_add_co_u32_e32 v0, vcc, s38, v0
	v_addc_co_u32_e32 v1, vcc, v3, v1, vcc
	global_load_dword v0, v[0:1], off
.LBB198_9:
	v_mov_b32_e32 v1, 0x1000
	v_lshl_or_b32 v21, v2, 7, v1
	s_waitcnt vmcnt(0)
	v_ashrrev_i32_e32 v1, 31, v0
	v_lshlrev_b32_e32 v22, 8, v2
	s_andn2_b64 vcc, exec, s[40:41]
	v_lshlrev_b64 v[6:7], 3, v[0:1]
	s_cbranch_vccnz .LBB198_29
; %bb.10:
	v_mov_b32_e32 v1, s17
	v_add_co_u32_e32 v0, vcc, s16, v6
	v_addc_co_u32_e32 v1, vcc, v1, v7, vcc
	global_load_dwordx4 v[0:3], v[0:1], off
	v_subrev_co_u32_e32 v12, vcc, s0, v23
	v_subb_co_u32_e64 v13, s[6:7], 0, 0, vcc
	s_mov_b32 s4, 0
	s_waitcnt vmcnt(0)
	v_subrev_co_u32_e32 v10, vcc, s0, v2
	v_subbrev_co_u32_e32 v11, vcc, 0, v3, vcc
	v_add_co_u32_e32 v12, vcc, v0, v12
	v_addc_co_u32_e32 v13, vcc, v1, v13, vcc
	v_cmp_lt_i64_e32 vcc, v[12:13], v[10:11]
	s_and_saveexec_b64 s[6:7], vcc
	s_cbranch_execz .LBB198_28
; %bb.11:
	s_mov_b32 s33, s1
	s_mov_b64 s[16:17], 0
	v_mov_b32_e32 v24, s19
	v_mov_b32_e32 v25, s23
	s_branch .LBB198_13
.LBB198_12:                             ;   in Loop: Header=BB198_13 Depth=1
	s_or_b64 exec, exec, s[36:37]
	v_add_co_u32_e32 v12, vcc, 16, v12
	v_addc_co_u32_e32 v13, vcc, 0, v13, vcc
	v_cmp_ge_i64_e32 vcc, v[12:13], v[10:11]
	s_or_b64 s[16:17], vcc, s[16:17]
	s_andn2_b64 exec, exec, s[16:17]
	s_cbranch_execz .LBB198_28
.LBB198_13:                             ; =>This Loop Header: Depth=1
                                        ;     Child Loop BB198_16 Depth 2
                                        ;       Child Loop BB198_18 Depth 3
	v_lshlrev_b64 v[0:1], 2, v[12:13]
	v_add_co_u32_e32 v0, vcc, s18, v0
	v_addc_co_u32_e32 v1, vcc, v24, v1, vcc
	global_load_dword v0, v[0:1], off
	s_waitcnt vmcnt(0)
	v_subrev_u32_e32 v0, s0, v0
	v_ashrrev_i32_e32 v1, 31, v0
	v_lshlrev_b64 v[0:1], 3, v[0:1]
	v_add_co_u32_e32 v0, vcc, s22, v0
	v_addc_co_u32_e32 v1, vcc, v25, v1, vcc
	global_load_dwordx4 v[0:3], v[0:1], off
	s_waitcnt vmcnt(0)
	v_cmp_lt_i64_e32 vcc, v[0:1], v[2:3]
	s_and_saveexec_b64 s[36:37], vcc
	s_cbranch_execz .LBB198_12
; %bb.14:                               ;   in Loop: Header=BB198_13 Depth=1
	v_lshlrev_b64 v[14:15], 3, v[12:13]
	v_mov_b32_e32 v16, s21
	v_add_co_u32_e32 v14, vcc, s20, v14
	v_addc_co_u32_e32 v15, vcc, v16, v15, vcc
	global_load_dwordx2 v[14:15], v[14:15], off
	v_mov_b32_e32 v16, s4
	v_subrev_co_u32_e32 v2, vcc, s33, v2
	v_subb_co_u32_e32 v3, vcc, v3, v16, vcc
	v_subrev_co_u32_e32 v0, vcc, s33, v0
	v_subb_co_u32_e32 v1, vcc, v1, v16, vcc
	s_mov_b64 s[38:39], 0
	s_waitcnt vmcnt(0)
	v_mul_f64 v[14:15], v[8:9], v[14:15]
	s_branch .LBB198_16
.LBB198_15:                             ;   in Loop: Header=BB198_16 Depth=2
	s_or_b64 exec, exec, s[40:41]
	v_add_co_u32_e32 v0, vcc, 1, v0
	v_addc_co_u32_e32 v1, vcc, 0, v1, vcc
	v_cmp_ge_i64_e32 vcc, v[0:1], v[2:3]
	s_or_b64 s[38:39], vcc, s[38:39]
	s_andn2_b64 exec, exec, s[38:39]
	s_cbranch_execz .LBB198_12
.LBB198_16:                             ;   Parent Loop BB198_13 Depth=1
                                        ; =>  This Loop Header: Depth=2
                                        ;       Child Loop BB198_18 Depth 3
	v_lshlrev_b64 v[16:17], 2, v[0:1]
	v_mov_b32_e32 v26, s29
	v_add_co_u32_e32 v16, vcc, s28, v16
	v_addc_co_u32_e32 v17, vcc, v26, v17, vcc
	global_load_dword v26, v[16:17], off
	v_lshlrev_b64 v[16:17], 3, v[0:1]
	v_mov_b32_e32 v27, s31
	v_add_co_u32_e32 v16, vcc, s30, v16
	v_addc_co_u32_e32 v17, vcc, v27, v17, vcc
	global_load_dwordx2 v[16:17], v[16:17], off
	s_mov_b64 s[40:41], 0
	s_waitcnt vmcnt(1)
	v_subrev_u32_e32 v26, s1, v26
	v_lshl_add_u32 v27, v26, 3, v26
	v_and_b32_e32 v27, 31, v27
	s_waitcnt vmcnt(0)
	v_mul_f64 v[16:17], v[14:15], v[16:17]
	s_branch .LBB198_18
.LBB198_17:                             ;   in Loop: Header=BB198_18 Depth=3
	s_or_b64 exec, exec, s[42:43]
	s_xor_b64 s[42:43], s[44:45], -1
	s_and_b64 s[42:43], exec, s[42:43]
	s_or_b64 s[40:41], s[42:43], s[40:41]
	s_andn2_b64 exec, exec, s[40:41]
	s_cbranch_execz .LBB198_15
.LBB198_18:                             ;   Parent Loop BB198_13 Depth=1
                                        ;     Parent Loop BB198_16 Depth=2
                                        ; =>    This Inner Loop Header: Depth=3
	v_lshl_add_u32 v28, v27, 2, v21
	ds_read_b32 v29, v28
                                        ; implicit-def: $sgpr44_sgpr45
	s_waitcnt lgkmcnt(0)
	v_cmp_ne_u32_e32 vcc, v29, v26
	s_and_saveexec_b64 s[42:43], vcc
	s_xor_b64 s[42:43], exec, s[42:43]
	s_cbranch_execz .LBB198_26
; %bb.19:                               ;   in Loop: Header=BB198_18 Depth=3
	v_cmp_ne_u32_e32 vcc, s5, v29
                                        ; implicit-def: $sgpr44_sgpr45
	s_and_saveexec_b64 s[46:47], vcc
	s_xor_b64 s[46:47], exec, s[46:47]
; %bb.20:                               ;   in Loop: Header=BB198_18 Depth=3
	v_add_u32_e32 v27, 1, v27
	v_and_b32_e32 v27, 31, v27
	s_mov_b64 s[44:45], -1
                                        ; implicit-def: $vgpr28
; %bb.21:                               ;   in Loop: Header=BB198_18 Depth=3
	s_andn2_saveexec_b64 s[46:47], s[46:47]
	s_cbranch_execz .LBB198_25
; %bb.22:                               ;   in Loop: Header=BB198_18 Depth=3
	v_mov_b32_e32 v29, s5
	ds_cmpst_rtn_b32 v28, v28, v29, v26
	s_mov_b64 s[48:49], -1
	s_waitcnt lgkmcnt(0)
	v_cmp_eq_u32_e32 vcc, s5, v28
	s_and_saveexec_b64 s[50:51], vcc
	s_cbranch_execz .LBB198_24
; %bb.23:                               ;   in Loop: Header=BB198_18 Depth=3
	v_lshl_add_u32 v28, v27, 3, v22
	ds_add_f64 v28, v[16:17]
	s_xor_b64 s[48:49], exec, -1
.LBB198_24:                             ;   in Loop: Header=BB198_18 Depth=3
	s_or_b64 exec, exec, s[50:51]
	s_andn2_b64 s[44:45], s[44:45], exec
	s_and_b64 s[48:49], s[48:49], exec
	s_or_b64 s[44:45], s[44:45], s[48:49]
.LBB198_25:                             ;   in Loop: Header=BB198_18 Depth=3
	s_or_b64 exec, exec, s[46:47]
	s_and_b64 s[44:45], s[44:45], exec
.LBB198_26:                             ;   in Loop: Header=BB198_18 Depth=3
	s_andn2_saveexec_b64 s[42:43], s[42:43]
	s_cbranch_execz .LBB198_17
; %bb.27:                               ;   in Loop: Header=BB198_18 Depth=3
	v_lshl_add_u32 v28, v27, 3, v22
	ds_add_f64 v28, v[16:17]
	s_andn2_b64 s[44:45], s[44:45], exec
	s_branch .LBB198_17
.LBB198_28:
	s_or_b64 exec, exec, s[6:7]
.LBB198_29:
	s_andn2_b64 vcc, exec, s[34:35]
	s_cbranch_vccnz .LBB198_46
; %bb.30:
	v_mov_b32_e32 v1, s9
	v_add_co_u32_e32 v0, vcc, s8, v6
	v_addc_co_u32_e32 v1, vcc, v1, v7, vcc
	global_load_dwordx4 v[8:11], v[0:1], off
	v_subrev_co_u32_e32 v2, vcc, s3, v23
	v_subb_co_u32_e64 v3, s[0:1], 0, 0, vcc
	s_waitcnt vmcnt(0)
	v_subrev_co_u32_e32 v0, vcc, s3, v10
	v_subbrev_co_u32_e32 v1, vcc, 0, v11, vcc
	v_add_co_u32_e32 v2, vcc, v8, v2
	v_addc_co_u32_e32 v3, vcc, v9, v3, vcc
	v_cmp_lt_i64_e32 vcc, v[2:3], v[0:1]
	s_and_saveexec_b64 s[0:1], vcc
	s_cbranch_execz .LBB198_45
; %bb.31:
	s_mov_b64 s[6:7], 0
	v_mov_b32_e32 v10, s11
	v_mov_b32_e32 v11, s13
	s_branch .LBB198_33
.LBB198_32:                             ;   in Loop: Header=BB198_33 Depth=1
	s_or_b64 exec, exec, s[8:9]
	v_add_co_u32_e32 v2, vcc, 16, v2
	v_addc_co_u32_e32 v3, vcc, 0, v3, vcc
	v_cmp_ge_i64_e32 vcc, v[2:3], v[0:1]
	s_or_b64 s[6:7], vcc, s[6:7]
	s_andn2_b64 exec, exec, s[6:7]
	s_cbranch_execz .LBB198_45
.LBB198_33:                             ; =>This Loop Header: Depth=1
                                        ;     Child Loop BB198_35 Depth 2
	v_lshlrev_b64 v[8:9], 2, v[2:3]
	v_add_co_u32_e32 v8, vcc, s10, v8
	v_addc_co_u32_e32 v9, vcc, v10, v9, vcc
	global_load_dword v12, v[8:9], off
	v_lshlrev_b64 v[8:9], 3, v[2:3]
	v_add_co_u32_e32 v8, vcc, s12, v8
	v_addc_co_u32_e32 v9, vcc, v11, v9, vcc
	global_load_dwordx2 v[8:9], v[8:9], off
	s_mov_b64 s[8:9], 0
	s_waitcnt vmcnt(1)
	v_subrev_u32_e32 v12, s3, v12
	v_lshl_add_u32 v13, v12, 3, v12
	v_and_b32_e32 v13, 31, v13
	s_waitcnt vmcnt(0)
	v_mul_f64 v[8:9], v[4:5], v[8:9]
	s_branch .LBB198_35
.LBB198_34:                             ;   in Loop: Header=BB198_35 Depth=2
	s_or_b64 exec, exec, s[16:17]
	s_xor_b64 s[16:17], s[18:19], -1
	s_and_b64 s[16:17], exec, s[16:17]
	s_or_b64 s[8:9], s[16:17], s[8:9]
	s_andn2_b64 exec, exec, s[8:9]
	s_cbranch_execz .LBB198_32
.LBB198_35:                             ;   Parent Loop BB198_33 Depth=1
                                        ; =>  This Inner Loop Header: Depth=2
	v_lshl_add_u32 v14, v13, 2, v21
	ds_read_b32 v15, v14
                                        ; implicit-def: $sgpr18_sgpr19
	s_waitcnt lgkmcnt(0)
	v_cmp_ne_u32_e32 vcc, v15, v12
	s_and_saveexec_b64 s[16:17], vcc
	s_xor_b64 s[16:17], exec, s[16:17]
	s_cbranch_execz .LBB198_43
; %bb.36:                               ;   in Loop: Header=BB198_35 Depth=2
	v_cmp_ne_u32_e32 vcc, s5, v15
                                        ; implicit-def: $sgpr18_sgpr19
	s_and_saveexec_b64 s[20:21], vcc
	s_xor_b64 s[20:21], exec, s[20:21]
; %bb.37:                               ;   in Loop: Header=BB198_35 Depth=2
	v_add_u32_e32 v13, 1, v13
	v_and_b32_e32 v13, 31, v13
	s_mov_b64 s[18:19], -1
                                        ; implicit-def: $vgpr14
; %bb.38:                               ;   in Loop: Header=BB198_35 Depth=2
	s_andn2_saveexec_b64 s[20:21], s[20:21]
	s_cbranch_execz .LBB198_42
; %bb.39:                               ;   in Loop: Header=BB198_35 Depth=2
	v_mov_b32_e32 v15, s5
	ds_cmpst_rtn_b32 v14, v14, v15, v12
	s_mov_b64 s[22:23], -1
	s_waitcnt lgkmcnt(0)
	v_cmp_eq_u32_e32 vcc, s5, v14
	s_and_saveexec_b64 s[28:29], vcc
	s_cbranch_execz .LBB198_41
; %bb.40:                               ;   in Loop: Header=BB198_35 Depth=2
	v_lshl_add_u32 v14, v13, 3, v22
	ds_add_f64 v14, v[8:9]
	s_xor_b64 s[22:23], exec, -1
.LBB198_41:                             ;   in Loop: Header=BB198_35 Depth=2
	s_or_b64 exec, exec, s[28:29]
	s_andn2_b64 s[18:19], s[18:19], exec
	s_and_b64 s[22:23], s[22:23], exec
	s_or_b64 s[18:19], s[18:19], s[22:23]
.LBB198_42:                             ;   in Loop: Header=BB198_35 Depth=2
	s_or_b64 exec, exec, s[20:21]
	s_and_b64 s[18:19], s[18:19], exec
.LBB198_43:                             ;   in Loop: Header=BB198_35 Depth=2
	s_andn2_saveexec_b64 s[16:17], s[16:17]
	s_cbranch_execz .LBB198_34
; %bb.44:                               ;   in Loop: Header=BB198_35 Depth=2
	v_lshl_add_u32 v14, v13, 3, v22
	ds_add_f64 v14, v[8:9]
	s_andn2_b64 s[18:19], s[18:19], exec
	s_branch .LBB198_34
.LBB198_45:
	s_or_b64 exec, exec, s[0:1]
.LBB198_46:
	v_mov_b32_e32 v1, s15
	v_add_co_u32_e32 v0, vcc, s14, v6
	v_addc_co_u32_e32 v1, vcc, v1, v7, vcc
	s_waitcnt lgkmcnt(0)
	global_load_dwordx2 v[0:1], v[0:1], off
	s_mov_b64 s[0:1], 0
	s_waitcnt vmcnt(0)
	v_subrev_co_u32_e32 v0, vcc, s2, v0
	v_subbrev_co_u32_e32 v1, vcc, 0, v1, vcc
	s_branch .LBB198_48
.LBB198_47:                             ;   in Loop: Header=BB198_48 Depth=1
	s_or_b64 exec, exec, s[6:7]
	v_add_co_u32_e32 v18, vcc, 16, v18
	s_xor_b64 s[6:7], vcc, -1
	s_and_b64 s[6:7], exec, s[6:7]
	v_add_u32_e32 v19, 0x80, v19
	s_or_b64 s[0:1], s[6:7], s[0:1]
	v_add_u32_e32 v20, 64, v20
	s_andn2_b64 exec, exec, s[0:1]
	s_cbranch_execz .LBB198_50
.LBB198_48:                             ; =>This Inner Loop Header: Depth=1
	ds_read_b32 v2, v20
	s_waitcnt lgkmcnt(0)
	v_cmp_gt_i32_e32 vcc, s5, v2
	s_and_saveexec_b64 s[6:7], vcc
	s_cbranch_execz .LBB198_47
; %bb.49:                               ;   in Loop: Header=BB198_48 Depth=1
	ds_read_b128 v[4:7], v21
	ds_read_b128 v[8:11], v21 offset:16
	ds_read_b128 v[12:15], v21 offset:32
	;; [unrolled: 1-line block ×3, first 2 shown]
	s_waitcnt lgkmcnt(3)
	v_cmp_gt_i32_e32 vcc, v2, v4
	v_cndmask_b32_e64 v3, 0, 1, vcc
	v_add_co_u32_e32 v3, vcc, v0, v3
	v_addc_co_u32_e32 v4, vcc, 0, v1, vcc
	v_cmp_gt_i32_e32 vcc, v2, v5
	v_cndmask_b32_e64 v5, 0, 1, vcc
	v_add_co_u32_e32 v3, vcc, v3, v5
	v_addc_co_u32_e32 v4, vcc, 0, v4, vcc
	v_cmp_gt_i32_e32 vcc, v2, v6
	v_cndmask_b32_e64 v5, 0, 1, vcc
	v_add_co_u32_e32 v3, vcc, v3, v5
	v_addc_co_u32_e32 v4, vcc, 0, v4, vcc
	v_cmp_gt_i32_e32 vcc, v2, v7
	v_cndmask_b32_e64 v5, 0, 1, vcc
	v_add_co_u32_e32 v3, vcc, v3, v5
	v_addc_co_u32_e32 v4, vcc, 0, v4, vcc
	s_waitcnt lgkmcnt(2)
	v_cmp_gt_i32_e32 vcc, v2, v8
	v_cndmask_b32_e64 v5, 0, 1, vcc
	v_add_co_u32_e32 v3, vcc, v3, v5
	v_addc_co_u32_e32 v4, vcc, 0, v4, vcc
	v_cmp_gt_i32_e32 vcc, v2, v9
	v_cndmask_b32_e64 v5, 0, 1, vcc
	v_add_co_u32_e32 v3, vcc, v3, v5
	v_addc_co_u32_e32 v4, vcc, 0, v4, vcc
	v_cmp_gt_i32_e32 vcc, v2, v10
	v_cndmask_b32_e64 v5, 0, 1, vcc
	v_add_co_u32_e32 v3, vcc, v3, v5
	v_addc_co_u32_e32 v4, vcc, 0, v4, vcc
	v_cmp_gt_i32_e32 vcc, v2, v11
	v_cndmask_b32_e64 v5, 0, 1, vcc
	v_add_co_u32_e32 v3, vcc, v3, v5
	v_addc_co_u32_e32 v4, vcc, 0, v4, vcc
	;; [unrolled: 17-line block ×3, first 2 shown]
	s_waitcnt lgkmcnt(0)
	v_cmp_gt_i32_e32 vcc, v2, v22
	v_cndmask_b32_e64 v5, 0, 1, vcc
	v_add_co_u32_e32 v3, vcc, v3, v5
	v_addc_co_u32_e32 v4, vcc, 0, v4, vcc
	v_cmp_gt_i32_e32 vcc, v2, v23
	v_cndmask_b32_e64 v5, 0, 1, vcc
	v_add_co_u32_e32 v3, vcc, v3, v5
	v_addc_co_u32_e32 v4, vcc, 0, v4, vcc
	v_cmp_gt_i32_e32 vcc, v2, v24
	v_cndmask_b32_e64 v5, 0, 1, vcc
	v_add_co_u32_e32 v3, vcc, v3, v5
	v_addc_co_u32_e32 v8, vcc, 0, v4, vcc
	ds_read_b128 v[4:7], v21 offset:64
	v_cmp_gt_i32_e32 vcc, v2, v25
	v_cndmask_b32_e64 v9, 0, 1, vcc
	v_add_co_u32_e32 v3, vcc, v3, v9
	v_addc_co_u32_e32 v12, vcc, 0, v8, vcc
	ds_read_b128 v[8:11], v21 offset:80
	s_waitcnt lgkmcnt(1)
	v_cmp_gt_i32_e32 vcc, v2, v4
	v_cndmask_b32_e64 v4, 0, 1, vcc
	v_add_co_u32_e32 v3, vcc, v3, v4
	v_addc_co_u32_e32 v4, vcc, 0, v12, vcc
	v_cmp_gt_i32_e32 vcc, v2, v5
	v_cndmask_b32_e64 v5, 0, 1, vcc
	v_add_co_u32_e32 v3, vcc, v3, v5
	v_addc_co_u32_e32 v4, vcc, 0, v4, vcc
	v_cmp_gt_i32_e32 vcc, v2, v6
	v_cndmask_b32_e64 v5, 0, 1, vcc
	v_add_co_u32_e32 v3, vcc, v3, v5
	v_addc_co_u32_e32 v4, vcc, 0, v4, vcc
	v_cmp_gt_i32_e32 vcc, v2, v7
	v_cndmask_b32_e64 v5, 0, 1, vcc
	v_add_co_u32_e32 v3, vcc, v3, v5
	v_addc_co_u32_e32 v4, vcc, 0, v4, vcc
	s_waitcnt lgkmcnt(0)
	v_cmp_gt_i32_e32 vcc, v2, v8
	v_cndmask_b32_e64 v5, 0, 1, vcc
	v_add_co_u32_e32 v3, vcc, v3, v5
	v_addc_co_u32_e32 v4, vcc, 0, v4, vcc
	v_cmp_gt_i32_e32 vcc, v2, v9
	v_cndmask_b32_e64 v5, 0, 1, vcc
	v_add_co_u32_e32 v3, vcc, v3, v5
	v_addc_co_u32_e32 v4, vcc, 0, v4, vcc
	v_cmp_gt_i32_e32 vcc, v2, v10
	v_cndmask_b32_e64 v5, 0, 1, vcc
	v_add_co_u32_e32 v3, vcc, v3, v5
	v_addc_co_u32_e32 v8, vcc, 0, v4, vcc
	ds_read_b128 v[4:7], v21 offset:96
	v_cmp_gt_i32_e32 vcc, v2, v11
	v_cndmask_b32_e64 v9, 0, 1, vcc
	v_add_co_u32_e32 v3, vcc, v3, v9
	v_addc_co_u32_e32 v12, vcc, 0, v8, vcc
	ds_read_b128 v[8:11], v21 offset:112
	s_waitcnt lgkmcnt(1)
	v_cmp_gt_i32_e32 vcc, v2, v4
	v_cndmask_b32_e64 v4, 0, 1, vcc
	v_add_co_u32_e32 v3, vcc, v3, v4
	v_addc_co_u32_e32 v4, vcc, 0, v12, vcc
	v_cmp_gt_i32_e32 vcc, v2, v5
	v_cndmask_b32_e64 v5, 0, 1, vcc
	v_add_co_u32_e32 v3, vcc, v3, v5
	v_addc_co_u32_e32 v4, vcc, 0, v4, vcc
	;; [unrolled: 4-line block ×4, first 2 shown]
	s_waitcnt lgkmcnt(0)
	v_cmp_gt_i32_e32 vcc, v2, v8
	v_cndmask_b32_e64 v5, 0, 1, vcc
	v_add_co_u32_e32 v3, vcc, v3, v5
	v_addc_co_u32_e32 v4, vcc, 0, v4, vcc
	v_cmp_gt_i32_e32 vcc, v2, v9
	v_cndmask_b32_e64 v5, 0, 1, vcc
	v_add_co_u32_e32 v3, vcc, v3, v5
	v_addc_co_u32_e32 v4, vcc, 0, v4, vcc
	;; [unrolled: 4-line block ×4, first 2 shown]
	v_add_u32_e32 v6, s2, v2
	v_lshlrev_b64 v[2:3], 2, v[4:5]
	v_mov_b32_e32 v7, s25
	v_add_co_u32_e32 v2, vcc, s24, v2
	v_addc_co_u32_e32 v3, vcc, v7, v3, vcc
	global_store_dword v[2:3], v6, off
	ds_read_b64 v[2:3], v19
	v_lshlrev_b64 v[4:5], 3, v[4:5]
	v_mov_b32_e32 v6, s27
	v_add_co_u32_e32 v4, vcc, s26, v4
	v_addc_co_u32_e32 v5, vcc, v6, v5, vcc
	s_waitcnt lgkmcnt(0)
	global_store_dwordx2 v[4:5], v[2:3], off
	s_branch .LBB198_47
.LBB198_50:
	s_endpgm
	.section	.rodata,"a",@progbits
	.p2align	6, 0x0
	.amdhsa_kernel _ZN9rocsparseL23csrgemm_fill_wf_per_rowILj256ELj16ELj32ELj137ElidEEvT4_S1_PKS1_S3_NS_24const_host_device_scalarIT5_EEPKT3_S3_PKS5_S9_S3_SB_S6_S9_S3_SB_S9_PS1_PS5_21rocsparse_index_base_SE_SE_SE_bbb
		.amdhsa_group_segment_fixed_size 6144
		.amdhsa_private_segment_fixed_size 0
		.amdhsa_kernarg_size 156
		.amdhsa_user_sgpr_count 6
		.amdhsa_user_sgpr_private_segment_buffer 1
		.amdhsa_user_sgpr_dispatch_ptr 0
		.amdhsa_user_sgpr_queue_ptr 0
		.amdhsa_user_sgpr_kernarg_segment_ptr 1
		.amdhsa_user_sgpr_dispatch_id 0
		.amdhsa_user_sgpr_flat_scratch_init 0
		.amdhsa_user_sgpr_kernarg_preload_length 0
		.amdhsa_user_sgpr_kernarg_preload_offset 0
		.amdhsa_user_sgpr_private_segment_size 0
		.amdhsa_uses_dynamic_stack 0
		.amdhsa_system_sgpr_private_segment_wavefront_offset 0
		.amdhsa_system_sgpr_workgroup_id_x 1
		.amdhsa_system_sgpr_workgroup_id_y 0
		.amdhsa_system_sgpr_workgroup_id_z 0
		.amdhsa_system_sgpr_workgroup_info 0
		.amdhsa_system_vgpr_workitem_id 0
		.amdhsa_next_free_vgpr 30
		.amdhsa_next_free_sgpr 52
		.amdhsa_accum_offset 32
		.amdhsa_reserve_vcc 1
		.amdhsa_reserve_flat_scratch 0
		.amdhsa_float_round_mode_32 0
		.amdhsa_float_round_mode_16_64 0
		.amdhsa_float_denorm_mode_32 3
		.amdhsa_float_denorm_mode_16_64 3
		.amdhsa_dx10_clamp 1
		.amdhsa_ieee_mode 1
		.amdhsa_fp16_overflow 0
		.amdhsa_tg_split 0
		.amdhsa_exception_fp_ieee_invalid_op 0
		.amdhsa_exception_fp_denorm_src 0
		.amdhsa_exception_fp_ieee_div_zero 0
		.amdhsa_exception_fp_ieee_overflow 0
		.amdhsa_exception_fp_ieee_underflow 0
		.amdhsa_exception_fp_ieee_inexact 0
		.amdhsa_exception_int_div_zero 0
	.end_amdhsa_kernel
	.section	.text._ZN9rocsparseL23csrgemm_fill_wf_per_rowILj256ELj16ELj32ELj137ElidEEvT4_S1_PKS1_S3_NS_24const_host_device_scalarIT5_EEPKT3_S3_PKS5_S9_S3_SB_S6_S9_S3_SB_S9_PS1_PS5_21rocsparse_index_base_SE_SE_SE_bbb,"axG",@progbits,_ZN9rocsparseL23csrgemm_fill_wf_per_rowILj256ELj16ELj32ELj137ElidEEvT4_S1_PKS1_S3_NS_24const_host_device_scalarIT5_EEPKT3_S3_PKS5_S9_S3_SB_S6_S9_S3_SB_S9_PS1_PS5_21rocsparse_index_base_SE_SE_SE_bbb,comdat
.Lfunc_end198:
	.size	_ZN9rocsparseL23csrgemm_fill_wf_per_rowILj256ELj16ELj32ELj137ElidEEvT4_S1_PKS1_S3_NS_24const_host_device_scalarIT5_EEPKT3_S3_PKS5_S9_S3_SB_S6_S9_S3_SB_S9_PS1_PS5_21rocsparse_index_base_SE_SE_SE_bbb, .Lfunc_end198-_ZN9rocsparseL23csrgemm_fill_wf_per_rowILj256ELj16ELj32ELj137ElidEEvT4_S1_PKS1_S3_NS_24const_host_device_scalarIT5_EEPKT3_S3_PKS5_S9_S3_SB_S6_S9_S3_SB_S9_PS1_PS5_21rocsparse_index_base_SE_SE_SE_bbb
                                        ; -- End function
	.section	.AMDGPU.csdata,"",@progbits
; Kernel info:
; codeLenInByte = 2400
; NumSgprs: 56
; NumVgprs: 30
; NumAgprs: 0
; TotalNumVgprs: 30
; ScratchSize: 0
; MemoryBound: 0
; FloatMode: 240
; IeeeMode: 1
; LDSByteSize: 6144 bytes/workgroup (compile time only)
; SGPRBlocks: 6
; VGPRBlocks: 3
; NumSGPRsForWavesPerEU: 56
; NumVGPRsForWavesPerEU: 30
; AccumOffset: 32
; Occupancy: 8
; WaveLimiterHint : 1
; COMPUTE_PGM_RSRC2:SCRATCH_EN: 0
; COMPUTE_PGM_RSRC2:USER_SGPR: 6
; COMPUTE_PGM_RSRC2:TRAP_HANDLER: 0
; COMPUTE_PGM_RSRC2:TGID_X_EN: 1
; COMPUTE_PGM_RSRC2:TGID_Y_EN: 0
; COMPUTE_PGM_RSRC2:TGID_Z_EN: 0
; COMPUTE_PGM_RSRC2:TIDIG_COMP_CNT: 0
; COMPUTE_PGM_RSRC3_GFX90A:ACCUM_OFFSET: 7
; COMPUTE_PGM_RSRC3_GFX90A:TG_SPLIT: 0
	.section	.text._ZN9rocsparseL26csrgemm_fill_block_per_rowILj128ELj16ELj256ELj137ELj32ElidEEvT5_PKS1_S3_NS_24const_host_device_scalarIT6_EEPKT4_S3_PKS5_S9_S3_SB_S6_S9_S3_SB_S9_PS1_PS5_21rocsparse_index_base_SE_SE_SE_bbb,"axG",@progbits,_ZN9rocsparseL26csrgemm_fill_block_per_rowILj128ELj16ELj256ELj137ELj32ElidEEvT5_PKS1_S3_NS_24const_host_device_scalarIT6_EEPKT4_S3_PKS5_S9_S3_SB_S6_S9_S3_SB_S9_PS1_PS5_21rocsparse_index_base_SE_SE_SE_bbb,comdat
	.globl	_ZN9rocsparseL26csrgemm_fill_block_per_rowILj128ELj16ELj256ELj137ELj32ElidEEvT5_PKS1_S3_NS_24const_host_device_scalarIT6_EEPKT4_S3_PKS5_S9_S3_SB_S6_S9_S3_SB_S9_PS1_PS5_21rocsparse_index_base_SE_SE_SE_bbb ; -- Begin function _ZN9rocsparseL26csrgemm_fill_block_per_rowILj128ELj16ELj256ELj137ELj32ElidEEvT5_PKS1_S3_NS_24const_host_device_scalarIT6_EEPKT4_S3_PKS5_S9_S3_SB_S6_S9_S3_SB_S9_PS1_PS5_21rocsparse_index_base_SE_SE_SE_bbb
	.p2align	8
	.type	_ZN9rocsparseL26csrgemm_fill_block_per_rowILj128ELj16ELj256ELj137ELj32ElidEEvT5_PKS1_S3_NS_24const_host_device_scalarIT6_EEPKT4_S3_PKS5_S9_S3_SB_S6_S9_S3_SB_S9_PS1_PS5_21rocsparse_index_base_SE_SE_SE_bbb,@function
_ZN9rocsparseL26csrgemm_fill_block_per_rowILj128ELj16ELj256ELj137ELj32ElidEEvT5_PKS1_S3_NS_24const_host_device_scalarIT6_EEPKT4_S3_PKS5_S9_S3_SB_S6_S9_S3_SB_S9_PS1_PS5_21rocsparse_index_base_SE_SE_SE_bbb: ; @_ZN9rocsparseL26csrgemm_fill_block_per_rowILj128ELj16ELj256ELj137ELj32ElidEEvT5_PKS1_S3_NS_24const_host_device_scalarIT6_EEPKT4_S3_PKS5_S9_S3_SB_S6_S9_S3_SB_S9_PS1_PS5_21rocsparse_index_base_SE_SE_SE_bbb
; %bb.0:
	s_load_dword s7, s[4:5], 0x98
	s_load_dwordx2 s[2:3], s[4:5], 0x18
	s_load_dwordx2 s[0:1], s[4:5], 0x50
	s_waitcnt lgkmcnt(0)
	s_and_b32 s10, 1, s7
	s_bitcmp1_b32 s7, 16
	s_cselect_b64 s[8:9], -1, 0
	s_cmp_eq_u32 s10, 1
	s_cselect_b64 s[44:45], -1, 0
	s_and_b64 s[10:11], s[44:45], exec
	s_cselect_b32 s11, s3, 0
	s_cselect_b32 s10, s2, 0
	s_xor_b64 s[12:13], s[44:45], -1
	s_or_b64 s[12:13], s[12:13], s[8:9]
	s_and_b64 vcc, exec, s[12:13]
	v_pk_mov_b32 v[4:5], s[10:11], s[10:11] op_sel:[0,1]
	s_cbranch_vccnz .LBB199_2
; %bb.1:
	v_pk_mov_b32 v[2:3], s[2:3], s[2:3] op_sel:[0,1]
	flat_load_dwordx2 v[4:5], v[2:3]
.LBB199_2:
	s_bitcmp1_b32 s7, 8
	s_load_dwordx4 s[24:27], s[4:5], 0x88
	s_cselect_b64 s[2:3], -1, 0
	s_and_b64 s[10:11], s[2:3], exec
	s_cselect_b32 s11, s1, 0
	s_cselect_b32 s10, s0, 0
	s_xor_b64 s[12:13], s[2:3], -1
	s_or_b64 s[8:9], s[12:13], s[8:9]
	s_and_b64 vcc, exec, s[8:9]
	v_pk_mov_b32 v[2:3], s[10:11], s[10:11] op_sel:[0,1]
	s_cbranch_vccnz .LBB199_4
; %bb.3:
	v_pk_mov_b32 v[2:3], s[0:1], s[0:1] op_sel:[0,1]
	flat_load_dwordx2 v[2:3], v[2:3]
.LBB199_4:
	s_load_dwordx4 s[28:31], s[4:5], 0x78
	s_load_dwordx8 s[8:15], s[4:5], 0x58
	s_load_dwordx4 s[36:39], s[4:5], 0x40
	s_load_dwordx8 s[16:23], s[4:5], 0x20
	s_load_dwordx4 s[40:43], s[4:5], 0x8
	s_load_dword s33, s[4:5], 0x0
	s_movk_i32 s0, 0x100
	v_cmp_gt_u32_e64 s[0:1], s0, v0
	v_lshl_add_u32 v16, v0, 3, 0
	v_lshl_add_u32 v1, v0, 2, 0
	s_and_saveexec_b64 s[4:5], s[0:1]
	s_cbranch_execz .LBB199_7
; %bb.5:
	v_mov_b32_e32 v6, 0
	v_add_u32_e32 v8, 0x400, v16
	v_or_b32_e32 v9, 0xffffff80, v0
	v_lshl_add_u32 v10, v0, 2, 0
	s_mov_b64 s[34:35], 0
	s_waitcnt lgkmcnt(0)
	v_mov_b32_e32 v11, s33
	v_mov_b32_e32 v7, v6
.LBB199_6:                              ; =>This Inner Loop Header: Depth=1
	v_add_co_u32_e32 v9, vcc, 0x80, v9
	s_xor_b64 s[46:47], vcc, -1
	s_and_b64 s[46:47], exec, s[46:47]
	ds_write_b32 v10, v11
	ds_write_b64 v8, v[6:7]
	v_add_u32_e32 v8, 0x400, v8
	s_or_b64 s[34:35], s[46:47], s[34:35]
	v_add_u32_e32 v10, 0x200, v10
	s_andn2_b64 exec, exec, s[34:35]
	s_cbranch_execnz .LBB199_6
.LBB199_7:
	s_or_b64 exec, exec, s[4:5]
	s_waitcnt lgkmcnt(0)
	s_barrier
	s_load_dword s4, s[40:41], 0x0
	s_mov_b32 s5, 0
	s_waitcnt lgkmcnt(0)
	s_add_i32 s4, s4, s6
	s_lshl_b64 s[4:5], s[4:5], 2
	s_add_u32 s4, s42, s4
	s_addc_u32 s5, s43, s5
	s_load_dword s34, s[4:5], 0x0
	s_and_b64 vcc, exec, s[44:45]
	s_cbranch_vccz .LBB199_27
; %bb.8:
	s_waitcnt lgkmcnt(0)
	s_ashr_i32 s35, s34, 31
	s_lshl_b64 s[4:5], s[34:35], 3
	s_add_u32 s4, s16, s4
	s_addc_u32 s5, s17, s5
	s_load_dwordx4 s[40:43], s[4:5], 0x0
	v_lshrrev_b32_e32 v6, 4, v0
	v_subrev_co_u32_e32 v6, vcc, s24, v6
	v_subb_co_u32_e64 v7, s[6:7], 0, 0, vcc
	s_waitcnt lgkmcnt(0)
	s_sub_u32 s4, s42, s24
	v_mov_b32_e32 v8, s41
	v_add_co_u32_e32 v6, vcc, s40, v6
	s_subb_u32 s5, s43, 0
	v_addc_co_u32_e32 v7, vcc, v8, v7, vcc
	v_cmp_gt_i64_e32 vcc, s[4:5], v[6:7]
	s_and_saveexec_b64 s[6:7], vcc
	s_cbranch_execz .LBB199_26
; %bb.9:
	v_and_b32_e32 v8, 15, v0
	v_subrev_co_u32_e32 v17, vcc, s25, v8
	s_mov_b32 s40, 0
	v_subb_co_u32_e64 v18, s[16:17], 0, 0, vcc
	s_mov_b32 s35, s25
	s_mov_b64 s[16:17], 0
	v_mov_b32_e32 v19, s19
	v_mov_b32_e32 v20, s23
	;; [unrolled: 1-line block ×3, first 2 shown]
	s_movk_i32 s19, 0x89
	s_branch .LBB199_11
.LBB199_10:                             ;   in Loop: Header=BB199_11 Depth=1
	s_or_b64 exec, exec, s[40:41]
	v_add_co_u32_e32 v6, vcc, 8, v6
	v_addc_co_u32_e32 v7, vcc, 0, v7, vcc
	v_cmp_le_i64_e32 vcc, s[4:5], v[6:7]
	s_or_b64 s[16:17], vcc, s[16:17]
	s_andn2_b64 exec, exec, s[16:17]
	s_cbranch_execz .LBB199_26
.LBB199_11:                             ; =>This Loop Header: Depth=1
                                        ;     Child Loop BB199_14 Depth 2
                                        ;       Child Loop BB199_16 Depth 3
	v_lshlrev_b64 v[8:9], 2, v[6:7]
	v_add_co_u32_e32 v8, vcc, s18, v8
	v_addc_co_u32_e32 v9, vcc, v19, v9, vcc
	global_load_dword v8, v[8:9], off
	s_waitcnt vmcnt(0)
	v_subrev_u32_e32 v8, s24, v8
	v_ashrrev_i32_e32 v9, 31, v8
	v_lshlrev_b64 v[8:9], 3, v[8:9]
	v_add_co_u32_e32 v8, vcc, s22, v8
	v_addc_co_u32_e32 v9, vcc, v20, v9, vcc
	global_load_dwordx4 v[10:13], v[8:9], off
	s_waitcnt vmcnt(0)
	v_subrev_co_u32_e32 v8, vcc, s35, v12
	v_subb_co_u32_e32 v9, vcc, v13, v21, vcc
	v_add_co_u32_e32 v10, vcc, v10, v17
	v_addc_co_u32_e32 v11, vcc, v11, v18, vcc
	v_cmp_lt_i64_e32 vcc, v[10:11], v[8:9]
	s_and_saveexec_b64 s[40:41], vcc
	s_cbranch_execz .LBB199_10
; %bb.12:                               ;   in Loop: Header=BB199_11 Depth=1
	v_lshlrev_b64 v[12:13], 3, v[6:7]
	v_mov_b32_e32 v14, s21
	v_add_co_u32_e32 v12, vcc, s20, v12
	v_addc_co_u32_e32 v13, vcc, v14, v13, vcc
	global_load_dwordx2 v[12:13], v[12:13], off
	s_mov_b64 s[42:43], 0
	s_waitcnt vmcnt(0)
	v_mul_f64 v[12:13], v[4:5], v[12:13]
	s_branch .LBB199_14
.LBB199_13:                             ;   in Loop: Header=BB199_14 Depth=2
	s_or_b64 exec, exec, s[44:45]
	v_add_co_u32_e32 v10, vcc, 16, v10
	v_addc_co_u32_e32 v11, vcc, 0, v11, vcc
	v_cmp_ge_i64_e32 vcc, v[10:11], v[8:9]
	s_or_b64 s[42:43], vcc, s[42:43]
	s_andn2_b64 exec, exec, s[42:43]
	s_cbranch_execz .LBB199_10
.LBB199_14:                             ;   Parent Loop BB199_11 Depth=1
                                        ; =>  This Loop Header: Depth=2
                                        ;       Child Loop BB199_16 Depth 3
	v_lshlrev_b64 v[14:15], 2, v[10:11]
	v_mov_b32_e32 v22, s37
	v_add_co_u32_e32 v14, vcc, s36, v14
	v_addc_co_u32_e32 v15, vcc, v22, v15, vcc
	global_load_dword v22, v[14:15], off
	v_lshlrev_b64 v[14:15], 3, v[10:11]
	v_mov_b32_e32 v23, s39
	v_add_co_u32_e32 v14, vcc, s38, v14
	v_addc_co_u32_e32 v15, vcc, v23, v15, vcc
	global_load_dwordx2 v[14:15], v[14:15], off
	s_mov_b64 s[44:45], 0
	s_waitcnt vmcnt(1)
	v_subrev_u32_e32 v22, s25, v22
	v_mul_lo_u32 v23, v22, s19
	v_and_b32_e32 v23, 0xff, v23
	s_waitcnt vmcnt(0)
	v_mul_f64 v[14:15], v[12:13], v[14:15]
	s_branch .LBB199_16
.LBB199_15:                             ;   in Loop: Header=BB199_16 Depth=3
	s_or_b64 exec, exec, s[46:47]
	s_xor_b64 s[46:47], s[48:49], -1
	s_and_b64 s[46:47], exec, s[46:47]
	s_or_b64 s[44:45], s[46:47], s[44:45]
	s_andn2_b64 exec, exec, s[44:45]
	s_cbranch_execz .LBB199_13
.LBB199_16:                             ;   Parent Loop BB199_11 Depth=1
                                        ;     Parent Loop BB199_14 Depth=2
                                        ; =>    This Inner Loop Header: Depth=3
	v_lshl_add_u32 v24, v23, 2, 0
	ds_read_b32 v25, v24
                                        ; implicit-def: $sgpr48_sgpr49
	s_waitcnt lgkmcnt(0)
	v_cmp_ne_u32_e32 vcc, v25, v22
	s_and_saveexec_b64 s[46:47], vcc
	s_xor_b64 s[46:47], exec, s[46:47]
	s_cbranch_execz .LBB199_24
; %bb.17:                               ;   in Loop: Header=BB199_16 Depth=3
	v_cmp_ne_u32_e32 vcc, s33, v25
                                        ; implicit-def: $sgpr48_sgpr49
	s_and_saveexec_b64 s[50:51], vcc
	s_xor_b64 s[50:51], exec, s[50:51]
; %bb.18:                               ;   in Loop: Header=BB199_16 Depth=3
	v_add_u32_e32 v23, 1, v23
	v_and_b32_e32 v23, 0xff, v23
	s_mov_b64 s[48:49], -1
                                        ; implicit-def: $vgpr24
; %bb.19:                               ;   in Loop: Header=BB199_16 Depth=3
	s_andn2_saveexec_b64 s[50:51], s[50:51]
	s_cbranch_execz .LBB199_23
; %bb.20:                               ;   in Loop: Header=BB199_16 Depth=3
	v_mov_b32_e32 v25, s33
	ds_cmpst_rtn_b32 v25, v24, v25, v22
	s_mov_b64 s[52:53], -1
	s_waitcnt lgkmcnt(0)
	v_cmp_eq_u32_e32 vcc, s33, v25
	s_and_saveexec_b64 s[54:55], vcc
	s_cbranch_execz .LBB199_22
; %bb.21:                               ;   in Loop: Header=BB199_16 Depth=3
	v_lshl_add_u32 v24, v23, 2, v24
	ds_add_f64 v24, v[14:15] offset:1024
	s_xor_b64 s[52:53], exec, -1
.LBB199_22:                             ;   in Loop: Header=BB199_16 Depth=3
	s_or_b64 exec, exec, s[54:55]
	s_andn2_b64 s[48:49], s[48:49], exec
	s_and_b64 s[52:53], s[52:53], exec
	s_or_b64 s[48:49], s[48:49], s[52:53]
.LBB199_23:                             ;   in Loop: Header=BB199_16 Depth=3
	s_or_b64 exec, exec, s[50:51]
	s_and_b64 s[48:49], s[48:49], exec
                                        ; implicit-def: $vgpr24
.LBB199_24:                             ;   in Loop: Header=BB199_16 Depth=3
	s_andn2_saveexec_b64 s[46:47], s[46:47]
	s_cbranch_execz .LBB199_15
; %bb.25:                               ;   in Loop: Header=BB199_16 Depth=3
	v_lshl_add_u32 v24, v23, 2, v24
	ds_add_f64 v24, v[14:15] offset:1024
	s_andn2_b64 s[48:49], s[48:49], exec
	s_branch .LBB199_15
.LBB199_26:
	s_or_b64 exec, exec, s[6:7]
.LBB199_27:
	s_andn2_b64 vcc, exec, s[2:3]
	s_cbranch_vccnz .LBB199_44
; %bb.28:
	s_waitcnt lgkmcnt(0)
	s_ashr_i32 s35, s34, 31
	s_lshl_b64 s[2:3], s[34:35], 3
	s_add_u32 s2, s8, s2
	s_addc_u32 s3, s9, s3
	s_load_dwordx4 s[4:7], s[2:3], 0x0
	s_waitcnt vmcnt(0)
	v_subrev_co_u32_e32 v4, vcc, s27, v0
	v_subb_co_u32_e64 v5, s[2:3], 0, 0, vcc
	s_waitcnt lgkmcnt(0)
	s_sub_u32 s2, s6, s27
	v_mov_b32_e32 v6, s5
	v_add_co_u32_e32 v4, vcc, s4, v4
	s_subb_u32 s3, s7, 0
	v_addc_co_u32_e32 v5, vcc, v6, v5, vcc
	v_cmp_gt_i64_e32 vcc, s[2:3], v[4:5]
	s_and_saveexec_b64 s[4:5], vcc
	s_cbranch_execz .LBB199_43
; %bb.29:
	s_mov_b64 s[6:7], 0
	v_mov_b32_e32 v8, s11
	v_mov_b32_e32 v9, s13
	s_movk_i32 s11, 0x89
	s_branch .LBB199_31
.LBB199_30:                             ;   in Loop: Header=BB199_31 Depth=1
	s_or_b64 exec, exec, s[8:9]
	v_add_co_u32_e32 v4, vcc, 0x80, v4
	v_addc_co_u32_e32 v5, vcc, 0, v5, vcc
	v_cmp_le_i64_e32 vcc, s[2:3], v[4:5]
	s_or_b64 s[6:7], vcc, s[6:7]
	s_andn2_b64 exec, exec, s[6:7]
	s_cbranch_execz .LBB199_43
.LBB199_31:                             ; =>This Loop Header: Depth=1
                                        ;     Child Loop BB199_33 Depth 2
	v_lshlrev_b64 v[6:7], 2, v[4:5]
	v_add_co_u32_e32 v6, vcc, s10, v6
	v_addc_co_u32_e32 v7, vcc, v8, v7, vcc
	global_load_dword v10, v[6:7], off
	v_lshlrev_b64 v[6:7], 3, v[4:5]
	v_add_co_u32_e32 v6, vcc, s12, v6
	v_addc_co_u32_e32 v7, vcc, v9, v7, vcc
	global_load_dwordx2 v[6:7], v[6:7], off
	s_mov_b64 s[8:9], 0
	s_waitcnt vmcnt(1)
	v_subrev_u32_e32 v10, s27, v10
	v_mul_lo_u32 v11, v10, s11
	v_and_b32_e32 v11, 0xff, v11
	s_waitcnt vmcnt(0)
	v_mul_f64 v[6:7], v[2:3], v[6:7]
	s_branch .LBB199_33
.LBB199_32:                             ;   in Loop: Header=BB199_33 Depth=2
	s_or_b64 exec, exec, s[16:17]
	s_xor_b64 s[16:17], s[18:19], -1
	s_and_b64 s[16:17], exec, s[16:17]
	s_or_b64 s[8:9], s[16:17], s[8:9]
	s_andn2_b64 exec, exec, s[8:9]
	s_cbranch_execz .LBB199_30
.LBB199_33:                             ;   Parent Loop BB199_31 Depth=1
                                        ; =>  This Inner Loop Header: Depth=2
	v_lshl_add_u32 v12, v11, 2, 0
	ds_read_b32 v13, v12
                                        ; implicit-def: $sgpr18_sgpr19
	s_waitcnt lgkmcnt(0)
	v_cmp_ne_u32_e32 vcc, v13, v10
	s_and_saveexec_b64 s[16:17], vcc
	s_xor_b64 s[16:17], exec, s[16:17]
	s_cbranch_execz .LBB199_41
; %bb.34:                               ;   in Loop: Header=BB199_33 Depth=2
	v_cmp_ne_u32_e32 vcc, s33, v13
                                        ; implicit-def: $sgpr18_sgpr19
	s_and_saveexec_b64 s[20:21], vcc
	s_xor_b64 s[20:21], exec, s[20:21]
; %bb.35:                               ;   in Loop: Header=BB199_33 Depth=2
	v_add_u32_e32 v11, 1, v11
	v_and_b32_e32 v11, 0xff, v11
	s_mov_b64 s[18:19], -1
                                        ; implicit-def: $vgpr12
; %bb.36:                               ;   in Loop: Header=BB199_33 Depth=2
	s_andn2_saveexec_b64 s[20:21], s[20:21]
	s_cbranch_execz .LBB199_40
; %bb.37:                               ;   in Loop: Header=BB199_33 Depth=2
	v_mov_b32_e32 v13, s33
	ds_cmpst_rtn_b32 v13, v12, v13, v10
	s_mov_b64 s[22:23], -1
	s_waitcnt lgkmcnt(0)
	v_cmp_eq_u32_e32 vcc, s33, v13
	s_and_saveexec_b64 s[24:25], vcc
	s_cbranch_execz .LBB199_39
; %bb.38:                               ;   in Loop: Header=BB199_33 Depth=2
	v_lshl_add_u32 v12, v11, 2, v12
	ds_add_f64 v12, v[6:7] offset:1024
	s_xor_b64 s[22:23], exec, -1
.LBB199_39:                             ;   in Loop: Header=BB199_33 Depth=2
	s_or_b64 exec, exec, s[24:25]
	s_andn2_b64 s[18:19], s[18:19], exec
	s_and_b64 s[22:23], s[22:23], exec
	s_or_b64 s[18:19], s[18:19], s[22:23]
.LBB199_40:                             ;   in Loop: Header=BB199_33 Depth=2
	s_or_b64 exec, exec, s[20:21]
	s_and_b64 s[18:19], s[18:19], exec
                                        ; implicit-def: $vgpr12
.LBB199_41:                             ;   in Loop: Header=BB199_33 Depth=2
	s_andn2_saveexec_b64 s[16:17], s[16:17]
	s_cbranch_execz .LBB199_32
; %bb.42:                               ;   in Loop: Header=BB199_33 Depth=2
	v_lshl_add_u32 v12, v11, 2, v12
	ds_add_f64 v12, v[6:7] offset:1024
	s_andn2_b64 s[18:19], s[18:19], exec
	s_branch .LBB199_32
.LBB199_43:
	s_or_b64 exec, exec, s[4:5]
.LBB199_44:
	s_waitcnt lgkmcnt(0)
	s_barrier
	s_and_saveexec_b64 s[8:9], s[0:1]
	s_cbranch_execz .LBB199_57
; %bb.45:
	s_waitcnt vmcnt(0)
	v_mbcnt_lo_u32_b32 v2, -1, 0
	v_mbcnt_hi_u32_b32 v2, -1, v2
	v_lshrrev_b32_e32 v4, 3, v0
	v_sub_u32_e32 v2, 63, v2
	v_and_b32_e32 v4, 12, v4
	s_movk_i32 s0, 0x7f
	s_movk_i32 s6, 0x5f
	v_mov_b32_e32 v6, 0
	v_lshrrev_b64 v[2:3], v2, -1
	v_add_u32_e32 v7, 0, v4
	v_cmp_eq_u32_e64 s[0:1], s0, v0
	v_cmp_lt_u32_e64 s[2:3], 31, v0
	v_cmp_lt_u32_e64 s[4:5], 63, v0
	;; [unrolled: 1-line block ×3, first 2 shown]
	v_add_u32_e32 v8, 0x400, v16
	v_or_b32_e32 v9, 0xffffff80, v0
	s_mov_b64 s[10:11], 0
	v_mov_b32_e32 v10, 0
	s_branch .LBB199_47
.LBB199_46:                             ;   in Loop: Header=BB199_47 Depth=1
	s_or_b64 exec, exec, s[12:13]
	s_waitcnt lgkmcnt(0)
	s_barrier
	ds_read_b32 v4, v6 offset:3084
	v_add_co_u32_e32 v9, vcc, 0x80, v9
	s_xor_b64 s[12:13], vcc, -1
	s_and_b64 s[12:13], exec, s[12:13]
	v_add_u32_e32 v8, 0x400, v8
	s_waitcnt lgkmcnt(0)
	v_add_u32_e32 v10, v4, v10
	s_or_b64 s[10:11], s[12:13], s[10:11]
	v_add_u32_e32 v1, 0x200, v1
	s_andn2_b64 exec, exec, s[10:11]
	s_cbranch_execz .LBB199_57
.LBB199_47:                             ; =>This Inner Loop Header: Depth=1
	ds_read_b32 v11, v1
	ds_read_b64 v[4:5], v8
	s_waitcnt lgkmcnt(0)
	s_barrier
	v_cmp_gt_i32_e32 vcc, s33, v11
	v_and_b32_e32 v13, vcc_lo, v2
	s_bcnt1_i32_b64 s12, vcc
	v_and_b32_e32 v12, vcc_hi, v3
	v_bcnt_u32_b32 v13, v13, 0
	v_bcnt_u32_b32 v12, v12, v13
	v_mov_b32_e32 v13, s12
	ds_write_b32 v7, v13 offset:3072
	s_waitcnt lgkmcnt(0)
	s_barrier
	s_and_saveexec_b64 s[12:13], s[2:3]
	s_cbranch_execnz .LBB199_52
; %bb.48:                               ;   in Loop: Header=BB199_47 Depth=1
	s_or_b64 exec, exec, s[12:13]
	s_and_saveexec_b64 s[12:13], s[4:5]
	s_cbranch_execnz .LBB199_53
.LBB199_49:                             ;   in Loop: Header=BB199_47 Depth=1
	s_or_b64 exec, exec, s[12:13]
	s_and_saveexec_b64 s[12:13], s[6:7]
	s_cbranch_execnz .LBB199_54
.LBB199_50:                             ;   in Loop: Header=BB199_47 Depth=1
	s_or_b64 exec, exec, s[12:13]
	s_and_saveexec_b64 s[12:13], vcc
	s_cbranch_execnz .LBB199_55
.LBB199_51:                             ;   in Loop: Header=BB199_47 Depth=1
	s_or_b64 exec, exec, s[12:13]
	s_and_saveexec_b64 s[12:13], s[0:1]
	s_cbranch_execz .LBB199_46
	s_branch .LBB199_56
.LBB199_52:                             ;   in Loop: Header=BB199_47 Depth=1
	ds_read_b32 v13, v6 offset:3072
	s_waitcnt lgkmcnt(0)
	v_add_u32_e32 v12, v13, v12
	s_or_b64 exec, exec, s[12:13]
	s_and_saveexec_b64 s[12:13], s[4:5]
	s_cbranch_execz .LBB199_49
.LBB199_53:                             ;   in Loop: Header=BB199_47 Depth=1
	ds_read_b32 v13, v6 offset:3076
	s_waitcnt lgkmcnt(0)
	v_add_u32_e32 v12, v13, v12
	s_or_b64 exec, exec, s[12:13]
	s_and_saveexec_b64 s[12:13], s[6:7]
	s_cbranch_execz .LBB199_50
.LBB199_54:                             ;   in Loop: Header=BB199_47 Depth=1
	ds_read_b32 v13, v6 offset:3080
	s_waitcnt lgkmcnt(0)
	v_add_u32_e32 v12, v13, v12
	s_or_b64 exec, exec, s[12:13]
	s_and_saveexec_b64 s[12:13], vcc
	s_cbranch_execz .LBB199_51
.LBB199_55:                             ;   in Loop: Header=BB199_47 Depth=1
	v_add3_u32 v13, v10, -1, v12
	v_lshl_add_u32 v14, v13, 2, 0
	v_lshl_add_u32 v13, v13, 3, 0
	ds_write_b32 v14, v11
	ds_write_b64 v13, v[4:5] offset:1024
	s_or_b64 exec, exec, s[12:13]
	s_and_saveexec_b64 s[12:13], s[0:1]
	s_cbranch_execz .LBB199_46
.LBB199_56:                             ;   in Loop: Header=BB199_47 Depth=1
	ds_write_b32 v6, v12 offset:3084
	s_branch .LBB199_46
.LBB199_57:
	s_or_b64 exec, exec, s[8:9]
	s_ashr_i32 s35, s34, 31
	s_lshl_b64 s[0:1], s[34:35], 3
	s_add_u32 s0, s14, s0
	s_addc_u32 s1, s15, s1
	s_load_dwordx4 s[0:3], s[0:1], 0x0
	s_waitcnt lgkmcnt(0)
	s_sub_i32 s8, s2, s0
	v_cmp_gt_i32_e32 vcc, s8, v0
	s_and_saveexec_b64 s[4:5], vcc
	s_cbranch_execz .LBB199_67
; %bb.58:
	s_sub_u32 s4, s0, s26
	s_subb_u32 s5, s1, 0
	s_and_b32 s9, s8, 7
	s_sub_i32 s0, s0, s2
	s_cmp_lt_u32 s0, -7
	s_cselect_b64 s[0:1], -1, 0
	s_and_b32 s10, s8, -8
	s_cmp_lg_u32 s9, 0
	v_cndmask_b32_e64 v1, 0, 1, s[0:1]
	s_cselect_b64 s[2:3], -1, 0
	v_cmp_ne_u32_e64 s[0:1], 1, v1
	v_cndmask_b32_e64 v1, 0, 1, s[2:3]
	s_mov_b64 s[6:7], 0
	v_cmp_ne_u32_e64 s[2:3], 1, v1
	s_waitcnt vmcnt(0)
	s_branch .LBB199_60
.LBB199_59:                             ;   in Loop: Header=BB199_60 Depth=1
	v_lshlrev_b64 v[6:7], 2, v[4:5]
	v_mov_b32_e32 v8, s29
	v_add_co_u32_e32 v6, vcc, s28, v6
	s_waitcnt lgkmcnt(1)
	v_add_u32_e32 v1, s26, v1
	v_addc_co_u32_e32 v7, vcc, v8, v7, vcc
	v_lshlrev_b64 v[4:5], 3, v[4:5]
	global_store_dword v[6:7], v1, off
	v_mov_b32_e32 v1, s31
	v_add_co_u32_e32 v4, vcc, s30, v4
	v_addc_co_u32_e32 v5, vcc, v1, v5, vcc
	v_add_u32_e32 v0, 0x80, v0
	v_cmp_le_i32_e32 vcc, s8, v0
	s_or_b64 s[6:7], vcc, s[6:7]
	s_waitcnt lgkmcnt(0)
	global_store_dwordx2 v[4:5], v[2:3], off
	s_andn2_b64 exec, exec, s[6:7]
	s_cbranch_execz .LBB199_67
.LBB199_60:                             ; =>This Loop Header: Depth=1
                                        ;     Child Loop BB199_62 Depth 2
                                        ;     Child Loop BB199_66 Depth 2
	v_lshlrev_b32_e32 v1, 2, v0
	v_add_u32_e32 v2, 0, v1
	v_add_u32_e32 v3, v2, v1
	ds_read_b32 v1, v2
	ds_read_b64 v[2:3], v3 offset:1024
	s_and_b64 vcc, exec, s[0:1]
	v_pk_mov_b32 v[4:5], s[4:5], s[4:5] op_sel:[0,1]
	s_mov_b32 s11, 0
	s_cbranch_vccnz .LBB199_64
; %bb.61:                               ;   in Loop: Header=BB199_60 Depth=1
	s_mov_b32 s12, 0
	v_pk_mov_b32 v[4:5], s[4:5], s[4:5] op_sel:[0,1]
.LBB199_62:                             ;   Parent Loop BB199_60 Depth=1
                                        ; =>  This Inner Loop Header: Depth=2
	v_mov_b32_e32 v12, s12
	ds_read2_b32 v[6:7], v12 offset1:1
	ds_read2_b32 v[8:9], v12 offset0:2 offset1:3
	ds_read2_b32 v[10:11], v12 offset0:4 offset1:5
	;; [unrolled: 1-line block ×3, first 2 shown]
	s_add_i32 s11, s11, 8
	s_waitcnt lgkmcnt(3)
	v_cmp_gt_i32_e32 vcc, v1, v6
	v_cndmask_b32_e64 v6, 0, 1, vcc
	v_cmp_gt_i32_e32 vcc, v1, v7
	v_cndmask_b32_e64 v7, 0, 1, vcc
	s_waitcnt lgkmcnt(2)
	v_cmp_gt_i32_e32 vcc, v1, v8
	v_cndmask_b32_e64 v8, 0, 1, vcc
	v_cmp_gt_i32_e32 vcc, v1, v9
	v_cndmask_b32_e64 v9, 0, 1, vcc
	;; [unrolled: 5-line block ×4, first 2 shown]
	v_add_co_u32_e32 v4, vcc, v4, v6
	v_addc_co_u32_e32 v5, vcc, 0, v5, vcc
	v_add_co_u32_e32 v4, vcc, v4, v7
	v_addc_co_u32_e32 v5, vcc, 0, v5, vcc
	;; [unrolled: 2-line block ×7, first 2 shown]
	s_add_i32 s12, s12, 32
	v_add_co_u32_e32 v4, vcc, v4, v13
	s_cmp_eq_u32 s10, s11
	v_addc_co_u32_e32 v5, vcc, 0, v5, vcc
	s_cbranch_scc0 .LBB199_62
; %bb.63:                               ;   in Loop: Header=BB199_60 Depth=1
	s_mov_b32 s11, s10
.LBB199_64:                             ;   in Loop: Header=BB199_60 Depth=1
	s_and_b64 vcc, exec, s[2:3]
	s_cbranch_vccnz .LBB199_59
; %bb.65:                               ;   in Loop: Header=BB199_60 Depth=1
	s_lshl_b32 s11, s11, 2
	s_add_i32 s11, s11, 0
	s_mov_b32 s12, s9
.LBB199_66:                             ;   Parent Loop BB199_60 Depth=1
                                        ; =>  This Inner Loop Header: Depth=2
	v_mov_b32_e32 v6, s11
	ds_read_b32 v6, v6
	s_add_i32 s11, s11, 4
	s_add_i32 s12, s12, -1
	s_cmp_lg_u32 s12, 0
	s_waitcnt lgkmcnt(0)
	v_cmp_gt_i32_e32 vcc, v1, v6
	v_cndmask_b32_e64 v6, 0, 1, vcc
	v_add_co_u32_e32 v4, vcc, v4, v6
	v_addc_co_u32_e32 v5, vcc, 0, v5, vcc
	s_cbranch_scc1 .LBB199_66
	s_branch .LBB199_59
.LBB199_67:
	s_endpgm
	.section	.rodata,"a",@progbits
	.p2align	6, 0x0
	.amdhsa_kernel _ZN9rocsparseL26csrgemm_fill_block_per_rowILj128ELj16ELj256ELj137ELj32ElidEEvT5_PKS1_S3_NS_24const_host_device_scalarIT6_EEPKT4_S3_PKS5_S9_S3_SB_S6_S9_S3_SB_S9_PS1_PS5_21rocsparse_index_base_SE_SE_SE_bbb
		.amdhsa_group_segment_fixed_size 0
		.amdhsa_private_segment_fixed_size 0
		.amdhsa_kernarg_size 156
		.amdhsa_user_sgpr_count 6
		.amdhsa_user_sgpr_private_segment_buffer 1
		.amdhsa_user_sgpr_dispatch_ptr 0
		.amdhsa_user_sgpr_queue_ptr 0
		.amdhsa_user_sgpr_kernarg_segment_ptr 1
		.amdhsa_user_sgpr_dispatch_id 0
		.amdhsa_user_sgpr_flat_scratch_init 0
		.amdhsa_user_sgpr_kernarg_preload_length 0
		.amdhsa_user_sgpr_kernarg_preload_offset 0
		.amdhsa_user_sgpr_private_segment_size 0
		.amdhsa_uses_dynamic_stack 0
		.amdhsa_system_sgpr_private_segment_wavefront_offset 0
		.amdhsa_system_sgpr_workgroup_id_x 1
		.amdhsa_system_sgpr_workgroup_id_y 0
		.amdhsa_system_sgpr_workgroup_id_z 0
		.amdhsa_system_sgpr_workgroup_info 0
		.amdhsa_system_vgpr_workitem_id 0
		.amdhsa_next_free_vgpr 26
		.amdhsa_next_free_sgpr 56
		.amdhsa_accum_offset 28
		.amdhsa_reserve_vcc 1
		.amdhsa_reserve_flat_scratch 0
		.amdhsa_float_round_mode_32 0
		.amdhsa_float_round_mode_16_64 0
		.amdhsa_float_denorm_mode_32 3
		.amdhsa_float_denorm_mode_16_64 3
		.amdhsa_dx10_clamp 1
		.amdhsa_ieee_mode 1
		.amdhsa_fp16_overflow 0
		.amdhsa_tg_split 0
		.amdhsa_exception_fp_ieee_invalid_op 0
		.amdhsa_exception_fp_denorm_src 0
		.amdhsa_exception_fp_ieee_div_zero 0
		.amdhsa_exception_fp_ieee_overflow 0
		.amdhsa_exception_fp_ieee_underflow 0
		.amdhsa_exception_fp_ieee_inexact 0
		.amdhsa_exception_int_div_zero 0
	.end_amdhsa_kernel
	.section	.text._ZN9rocsparseL26csrgemm_fill_block_per_rowILj128ELj16ELj256ELj137ELj32ElidEEvT5_PKS1_S3_NS_24const_host_device_scalarIT6_EEPKT4_S3_PKS5_S9_S3_SB_S6_S9_S3_SB_S9_PS1_PS5_21rocsparse_index_base_SE_SE_SE_bbb,"axG",@progbits,_ZN9rocsparseL26csrgemm_fill_block_per_rowILj128ELj16ELj256ELj137ELj32ElidEEvT5_PKS1_S3_NS_24const_host_device_scalarIT6_EEPKT4_S3_PKS5_S9_S3_SB_S6_S9_S3_SB_S9_PS1_PS5_21rocsparse_index_base_SE_SE_SE_bbb,comdat
.Lfunc_end199:
	.size	_ZN9rocsparseL26csrgemm_fill_block_per_rowILj128ELj16ELj256ELj137ELj32ElidEEvT5_PKS1_S3_NS_24const_host_device_scalarIT6_EEPKT4_S3_PKS5_S9_S3_SB_S6_S9_S3_SB_S9_PS1_PS5_21rocsparse_index_base_SE_SE_SE_bbb, .Lfunc_end199-_ZN9rocsparseL26csrgemm_fill_block_per_rowILj128ELj16ELj256ELj137ELj32ElidEEvT5_PKS1_S3_NS_24const_host_device_scalarIT6_EEPKT4_S3_PKS5_S9_S3_SB_S6_S9_S3_SB_S9_PS1_PS5_21rocsparse_index_base_SE_SE_SE_bbb
                                        ; -- End function
	.section	.AMDGPU.csdata,"",@progbits
; Kernel info:
; codeLenInByte = 2568
; NumSgprs: 60
; NumVgprs: 26
; NumAgprs: 0
; TotalNumVgprs: 26
; ScratchSize: 0
; MemoryBound: 0
; FloatMode: 240
; IeeeMode: 1
; LDSByteSize: 0 bytes/workgroup (compile time only)
; SGPRBlocks: 7
; VGPRBlocks: 3
; NumSGPRsForWavesPerEU: 60
; NumVGPRsForWavesPerEU: 26
; AccumOffset: 28
; Occupancy: 8
; WaveLimiterHint : 1
; COMPUTE_PGM_RSRC2:SCRATCH_EN: 0
; COMPUTE_PGM_RSRC2:USER_SGPR: 6
; COMPUTE_PGM_RSRC2:TRAP_HANDLER: 0
; COMPUTE_PGM_RSRC2:TGID_X_EN: 1
; COMPUTE_PGM_RSRC2:TGID_Y_EN: 0
; COMPUTE_PGM_RSRC2:TGID_Z_EN: 0
; COMPUTE_PGM_RSRC2:TIDIG_COMP_CNT: 0
; COMPUTE_PGM_RSRC3_GFX90A:ACCUM_OFFSET: 6
; COMPUTE_PGM_RSRC3_GFX90A:TG_SPLIT: 0
	.section	.text._ZN9rocsparseL26csrgemm_fill_block_per_rowILj128ELj16ELj256ELj137ELj64ElidEEvT5_PKS1_S3_NS_24const_host_device_scalarIT6_EEPKT4_S3_PKS5_S9_S3_SB_S6_S9_S3_SB_S9_PS1_PS5_21rocsparse_index_base_SE_SE_SE_bbb,"axG",@progbits,_ZN9rocsparseL26csrgemm_fill_block_per_rowILj128ELj16ELj256ELj137ELj64ElidEEvT5_PKS1_S3_NS_24const_host_device_scalarIT6_EEPKT4_S3_PKS5_S9_S3_SB_S6_S9_S3_SB_S9_PS1_PS5_21rocsparse_index_base_SE_SE_SE_bbb,comdat
	.globl	_ZN9rocsparseL26csrgemm_fill_block_per_rowILj128ELj16ELj256ELj137ELj64ElidEEvT5_PKS1_S3_NS_24const_host_device_scalarIT6_EEPKT4_S3_PKS5_S9_S3_SB_S6_S9_S3_SB_S9_PS1_PS5_21rocsparse_index_base_SE_SE_SE_bbb ; -- Begin function _ZN9rocsparseL26csrgemm_fill_block_per_rowILj128ELj16ELj256ELj137ELj64ElidEEvT5_PKS1_S3_NS_24const_host_device_scalarIT6_EEPKT4_S3_PKS5_S9_S3_SB_S6_S9_S3_SB_S9_PS1_PS5_21rocsparse_index_base_SE_SE_SE_bbb
	.p2align	8
	.type	_ZN9rocsparseL26csrgemm_fill_block_per_rowILj128ELj16ELj256ELj137ELj64ElidEEvT5_PKS1_S3_NS_24const_host_device_scalarIT6_EEPKT4_S3_PKS5_S9_S3_SB_S6_S9_S3_SB_S9_PS1_PS5_21rocsparse_index_base_SE_SE_SE_bbb,@function
_ZN9rocsparseL26csrgemm_fill_block_per_rowILj128ELj16ELj256ELj137ELj64ElidEEvT5_PKS1_S3_NS_24const_host_device_scalarIT6_EEPKT4_S3_PKS5_S9_S3_SB_S6_S9_S3_SB_S9_PS1_PS5_21rocsparse_index_base_SE_SE_SE_bbb: ; @_ZN9rocsparseL26csrgemm_fill_block_per_rowILj128ELj16ELj256ELj137ELj64ElidEEvT5_PKS1_S3_NS_24const_host_device_scalarIT6_EEPKT4_S3_PKS5_S9_S3_SB_S6_S9_S3_SB_S9_PS1_PS5_21rocsparse_index_base_SE_SE_SE_bbb
; %bb.0:
	s_load_dword s7, s[4:5], 0x98
	s_load_dwordx2 s[2:3], s[4:5], 0x18
	s_load_dwordx2 s[0:1], s[4:5], 0x50
	s_waitcnt lgkmcnt(0)
	s_and_b32 s10, 1, s7
	s_bitcmp1_b32 s7, 16
	s_cselect_b64 s[8:9], -1, 0
	s_cmp_eq_u32 s10, 1
	s_cselect_b64 s[34:35], -1, 0
	s_and_b64 s[10:11], s[34:35], exec
	s_cselect_b32 s11, s3, 0
	s_cselect_b32 s10, s2, 0
	s_xor_b64 s[12:13], s[34:35], -1
	s_or_b64 s[12:13], s[12:13], s[8:9]
	s_and_b64 vcc, exec, s[12:13]
	v_pk_mov_b32 v[4:5], s[10:11], s[10:11] op_sel:[0,1]
	s_cbranch_vccnz .LBB200_2
; %bb.1:
	v_pk_mov_b32 v[2:3], s[2:3], s[2:3] op_sel:[0,1]
	flat_load_dwordx2 v[4:5], v[2:3]
.LBB200_2:
	s_bitcmp1_b32 s7, 8
	s_load_dwordx4 s[24:27], s[4:5], 0x88
	s_cselect_b64 s[2:3], -1, 0
	s_and_b64 s[10:11], s[2:3], exec
	s_cselect_b32 s11, s1, 0
	s_cselect_b32 s10, s0, 0
	s_xor_b64 s[12:13], s[2:3], -1
	s_or_b64 s[8:9], s[12:13], s[8:9]
	s_and_b64 vcc, exec, s[8:9]
	v_pk_mov_b32 v[2:3], s[10:11], s[10:11] op_sel:[0,1]
	s_cbranch_vccnz .LBB200_4
; %bb.3:
	v_pk_mov_b32 v[2:3], s[0:1], s[0:1] op_sel:[0,1]
	flat_load_dwordx2 v[2:3], v[2:3]
.LBB200_4:
	s_load_dwordx4 s[28:31], s[4:5], 0x78
	s_load_dwordx8 s[8:15], s[4:5], 0x58
	s_load_dwordx4 s[36:39], s[4:5], 0x40
	s_load_dwordx8 s[16:23], s[4:5], 0x20
	s_load_dwordx4 s[40:43], s[4:5], 0x8
	s_load_dword s33, s[4:5], 0x0
	s_movk_i32 s0, 0x100
	v_cmp_gt_u32_e64 s[0:1], s0, v0
	v_lshl_add_u32 v16, v0, 3, 0
	v_lshl_add_u32 v1, v0, 2, 0
	s_and_saveexec_b64 s[4:5], s[0:1]
	s_cbranch_execz .LBB200_7
; %bb.5:
	v_mov_b32_e32 v6, 0
	v_add_u32_e32 v8, 0x400, v16
	v_or_b32_e32 v9, 0xffffff80, v0
	v_lshl_add_u32 v10, v0, 2, 0
	s_mov_b64 s[44:45], 0
	s_waitcnt lgkmcnt(0)
	v_mov_b32_e32 v11, s33
	v_mov_b32_e32 v7, v6
.LBB200_6:                              ; =>This Inner Loop Header: Depth=1
	v_add_co_u32_e32 v9, vcc, 0x80, v9
	s_xor_b64 s[46:47], vcc, -1
	s_and_b64 s[46:47], exec, s[46:47]
	ds_write_b32 v10, v11
	ds_write_b64 v8, v[6:7]
	v_add_u32_e32 v8, 0x400, v8
	s_or_b64 s[44:45], s[46:47], s[44:45]
	v_add_u32_e32 v10, 0x200, v10
	s_andn2_b64 exec, exec, s[44:45]
	s_cbranch_execnz .LBB200_6
.LBB200_7:
	s_or_b64 exec, exec, s[4:5]
	s_waitcnt lgkmcnt(0)
	s_barrier
	s_load_dword s4, s[40:41], 0x0
	s_mov_b32 s5, 0
	v_lshrrev_b32_e32 v17, 4, v0
	s_waitcnt lgkmcnt(0)
	s_add_i32 s4, s4, s6
	s_lshl_b64 s[4:5], s[4:5], 2
	s_add_u32 s4, s42, s4
	s_addc_u32 s5, s43, s5
	s_load_dword s4, s[4:5], 0x0
	s_and_b64 vcc, exec, s[34:35]
	s_cbranch_vccz .LBB200_27
; %bb.8:
	s_waitcnt lgkmcnt(0)
	s_ashr_i32 s5, s4, 31
	s_lshl_b64 s[6:7], s[4:5], 3
	s_add_u32 s6, s16, s6
	s_addc_u32 s7, s17, s7
	s_load_dwordx4 s[40:43], s[6:7], 0x0
	v_subrev_co_u32_e32 v6, vcc, s24, v17
	v_subb_co_u32_e64 v7, s[6:7], 0, 0, vcc
	s_waitcnt lgkmcnt(0)
	s_sub_u32 s6, s42, s24
	v_mov_b32_e32 v8, s41
	v_add_co_u32_e32 v6, vcc, s40, v6
	s_subb_u32 s7, s43, 0
	v_addc_co_u32_e32 v7, vcc, v8, v7, vcc
	v_cmp_gt_i64_e32 vcc, s[6:7], v[6:7]
	s_and_saveexec_b64 s[16:17], vcc
	s_cbranch_execz .LBB200_26
; %bb.9:
	v_and_b32_e32 v8, 15, v0
	v_subrev_co_u32_e32 v18, vcc, s25, v8
	s_mov_b32 s40, 0
	v_subb_co_u32_e64 v19, s[34:35], 0, 0, vcc
	s_mov_b32 s5, s25
	s_mov_b64 s[34:35], 0
	v_mov_b32_e32 v20, s19
	v_mov_b32_e32 v21, s23
	;; [unrolled: 1-line block ×3, first 2 shown]
	s_movk_i32 s19, 0x89
	s_branch .LBB200_11
.LBB200_10:                             ;   in Loop: Header=BB200_11 Depth=1
	s_or_b64 exec, exec, s[40:41]
	v_add_co_u32_e32 v6, vcc, 8, v6
	v_addc_co_u32_e32 v7, vcc, 0, v7, vcc
	v_cmp_le_i64_e32 vcc, s[6:7], v[6:7]
	s_or_b64 s[34:35], vcc, s[34:35]
	s_andn2_b64 exec, exec, s[34:35]
	s_cbranch_execz .LBB200_26
.LBB200_11:                             ; =>This Loop Header: Depth=1
                                        ;     Child Loop BB200_14 Depth 2
                                        ;       Child Loop BB200_16 Depth 3
	v_lshlrev_b64 v[8:9], 2, v[6:7]
	v_add_co_u32_e32 v8, vcc, s18, v8
	v_addc_co_u32_e32 v9, vcc, v20, v9, vcc
	global_load_dword v8, v[8:9], off
	s_waitcnt vmcnt(0)
	v_subrev_u32_e32 v8, s24, v8
	v_ashrrev_i32_e32 v9, 31, v8
	v_lshlrev_b64 v[8:9], 3, v[8:9]
	v_add_co_u32_e32 v8, vcc, s22, v8
	v_addc_co_u32_e32 v9, vcc, v21, v9, vcc
	global_load_dwordx4 v[10:13], v[8:9], off
	s_waitcnt vmcnt(0)
	v_subrev_co_u32_e32 v8, vcc, s5, v12
	v_subb_co_u32_e32 v9, vcc, v13, v22, vcc
	v_add_co_u32_e32 v10, vcc, v10, v18
	v_addc_co_u32_e32 v11, vcc, v11, v19, vcc
	v_cmp_lt_i64_e32 vcc, v[10:11], v[8:9]
	s_and_saveexec_b64 s[40:41], vcc
	s_cbranch_execz .LBB200_10
; %bb.12:                               ;   in Loop: Header=BB200_11 Depth=1
	v_lshlrev_b64 v[12:13], 3, v[6:7]
	v_mov_b32_e32 v14, s21
	v_add_co_u32_e32 v12, vcc, s20, v12
	v_addc_co_u32_e32 v13, vcc, v14, v13, vcc
	global_load_dwordx2 v[12:13], v[12:13], off
	s_mov_b64 s[42:43], 0
	s_waitcnt vmcnt(0)
	v_mul_f64 v[12:13], v[4:5], v[12:13]
	s_branch .LBB200_14
.LBB200_13:                             ;   in Loop: Header=BB200_14 Depth=2
	s_or_b64 exec, exec, s[44:45]
	v_add_co_u32_e32 v10, vcc, 16, v10
	v_addc_co_u32_e32 v11, vcc, 0, v11, vcc
	v_cmp_ge_i64_e32 vcc, v[10:11], v[8:9]
	s_or_b64 s[42:43], vcc, s[42:43]
	s_andn2_b64 exec, exec, s[42:43]
	s_cbranch_execz .LBB200_10
.LBB200_14:                             ;   Parent Loop BB200_11 Depth=1
                                        ; =>  This Loop Header: Depth=2
                                        ;       Child Loop BB200_16 Depth 3
	v_lshlrev_b64 v[14:15], 2, v[10:11]
	v_mov_b32_e32 v23, s37
	v_add_co_u32_e32 v14, vcc, s36, v14
	v_addc_co_u32_e32 v15, vcc, v23, v15, vcc
	global_load_dword v23, v[14:15], off
	v_lshlrev_b64 v[14:15], 3, v[10:11]
	v_mov_b32_e32 v24, s39
	v_add_co_u32_e32 v14, vcc, s38, v14
	v_addc_co_u32_e32 v15, vcc, v24, v15, vcc
	global_load_dwordx2 v[14:15], v[14:15], off
	s_mov_b64 s[44:45], 0
	s_waitcnt vmcnt(1)
	v_subrev_u32_e32 v23, s25, v23
	v_mul_lo_u32 v24, v23, s19
	v_and_b32_e32 v24, 0xff, v24
	s_waitcnt vmcnt(0)
	v_mul_f64 v[14:15], v[12:13], v[14:15]
	s_branch .LBB200_16
.LBB200_15:                             ;   in Loop: Header=BB200_16 Depth=3
	s_or_b64 exec, exec, s[46:47]
	s_xor_b64 s[46:47], s[48:49], -1
	s_and_b64 s[46:47], exec, s[46:47]
	s_or_b64 s[44:45], s[46:47], s[44:45]
	s_andn2_b64 exec, exec, s[44:45]
	s_cbranch_execz .LBB200_13
.LBB200_16:                             ;   Parent Loop BB200_11 Depth=1
                                        ;     Parent Loop BB200_14 Depth=2
                                        ; =>    This Inner Loop Header: Depth=3
	v_lshl_add_u32 v25, v24, 2, 0
	ds_read_b32 v26, v25
                                        ; implicit-def: $sgpr48_sgpr49
	s_waitcnt lgkmcnt(0)
	v_cmp_ne_u32_e32 vcc, v26, v23
	s_and_saveexec_b64 s[46:47], vcc
	s_xor_b64 s[46:47], exec, s[46:47]
	s_cbranch_execz .LBB200_24
; %bb.17:                               ;   in Loop: Header=BB200_16 Depth=3
	v_cmp_ne_u32_e32 vcc, s33, v26
                                        ; implicit-def: $sgpr48_sgpr49
	s_and_saveexec_b64 s[50:51], vcc
	s_xor_b64 s[50:51], exec, s[50:51]
; %bb.18:                               ;   in Loop: Header=BB200_16 Depth=3
	v_add_u32_e32 v24, 1, v24
	v_and_b32_e32 v24, 0xff, v24
	s_mov_b64 s[48:49], -1
                                        ; implicit-def: $vgpr25
; %bb.19:                               ;   in Loop: Header=BB200_16 Depth=3
	s_andn2_saveexec_b64 s[50:51], s[50:51]
	s_cbranch_execz .LBB200_23
; %bb.20:                               ;   in Loop: Header=BB200_16 Depth=3
	v_mov_b32_e32 v26, s33
	ds_cmpst_rtn_b32 v26, v25, v26, v23
	s_mov_b64 s[52:53], -1
	s_waitcnt lgkmcnt(0)
	v_cmp_eq_u32_e32 vcc, s33, v26
	s_and_saveexec_b64 s[54:55], vcc
	s_cbranch_execz .LBB200_22
; %bb.21:                               ;   in Loop: Header=BB200_16 Depth=3
	v_lshl_add_u32 v25, v24, 2, v25
	ds_add_f64 v25, v[14:15] offset:1024
	s_xor_b64 s[52:53], exec, -1
.LBB200_22:                             ;   in Loop: Header=BB200_16 Depth=3
	s_or_b64 exec, exec, s[54:55]
	s_andn2_b64 s[48:49], s[48:49], exec
	s_and_b64 s[52:53], s[52:53], exec
	s_or_b64 s[48:49], s[48:49], s[52:53]
.LBB200_23:                             ;   in Loop: Header=BB200_16 Depth=3
	s_or_b64 exec, exec, s[50:51]
	s_and_b64 s[48:49], s[48:49], exec
                                        ; implicit-def: $vgpr25
.LBB200_24:                             ;   in Loop: Header=BB200_16 Depth=3
	s_andn2_saveexec_b64 s[46:47], s[46:47]
	s_cbranch_execz .LBB200_15
; %bb.25:                               ;   in Loop: Header=BB200_16 Depth=3
	v_lshl_add_u32 v25, v24, 2, v25
	ds_add_f64 v25, v[14:15] offset:1024
	s_andn2_b64 s[48:49], s[48:49], exec
	s_branch .LBB200_15
.LBB200_26:
	s_or_b64 exec, exec, s[16:17]
.LBB200_27:
	s_andn2_b64 vcc, exec, s[2:3]
	s_cbranch_vccnz .LBB200_44
; %bb.28:
	s_waitcnt lgkmcnt(0)
	s_ashr_i32 s5, s4, 31
	s_lshl_b64 s[2:3], s[4:5], 3
	s_add_u32 s2, s8, s2
	s_addc_u32 s3, s9, s3
	s_load_dwordx4 s[16:19], s[2:3], 0x0
	s_waitcnt vmcnt(0)
	v_subrev_co_u32_e32 v4, vcc, s27, v0
	v_subb_co_u32_e64 v5, s[2:3], 0, 0, vcc
	s_waitcnt lgkmcnt(0)
	s_sub_u32 s2, s18, s27
	v_mov_b32_e32 v6, s17
	v_add_co_u32_e32 v4, vcc, s16, v4
	s_subb_u32 s3, s19, 0
	v_addc_co_u32_e32 v5, vcc, v6, v5, vcc
	v_cmp_gt_i64_e32 vcc, s[2:3], v[4:5]
	s_and_saveexec_b64 s[6:7], vcc
	s_cbranch_execz .LBB200_43
; %bb.29:
	s_mov_b64 s[8:9], 0
	v_mov_b32_e32 v8, s11
	v_mov_b32_e32 v9, s13
	s_movk_i32 s5, 0x89
	s_branch .LBB200_31
.LBB200_30:                             ;   in Loop: Header=BB200_31 Depth=1
	s_or_b64 exec, exec, s[16:17]
	v_add_co_u32_e32 v4, vcc, 0x80, v4
	v_addc_co_u32_e32 v5, vcc, 0, v5, vcc
	v_cmp_le_i64_e32 vcc, s[2:3], v[4:5]
	s_or_b64 s[8:9], vcc, s[8:9]
	s_andn2_b64 exec, exec, s[8:9]
	s_cbranch_execz .LBB200_43
.LBB200_31:                             ; =>This Loop Header: Depth=1
                                        ;     Child Loop BB200_33 Depth 2
	v_lshlrev_b64 v[6:7], 2, v[4:5]
	v_add_co_u32_e32 v6, vcc, s10, v6
	v_addc_co_u32_e32 v7, vcc, v8, v7, vcc
	global_load_dword v10, v[6:7], off
	v_lshlrev_b64 v[6:7], 3, v[4:5]
	v_add_co_u32_e32 v6, vcc, s12, v6
	v_addc_co_u32_e32 v7, vcc, v9, v7, vcc
	global_load_dwordx2 v[6:7], v[6:7], off
	s_mov_b64 s[16:17], 0
	s_waitcnt vmcnt(1)
	v_subrev_u32_e32 v10, s27, v10
	v_mul_lo_u32 v11, v10, s5
	v_and_b32_e32 v11, 0xff, v11
	s_waitcnt vmcnt(0)
	v_mul_f64 v[6:7], v[2:3], v[6:7]
	s_branch .LBB200_33
.LBB200_32:                             ;   in Loop: Header=BB200_33 Depth=2
	s_or_b64 exec, exec, s[18:19]
	s_xor_b64 s[18:19], s[20:21], -1
	s_and_b64 s[18:19], exec, s[18:19]
	s_or_b64 s[16:17], s[18:19], s[16:17]
	s_andn2_b64 exec, exec, s[16:17]
	s_cbranch_execz .LBB200_30
.LBB200_33:                             ;   Parent Loop BB200_31 Depth=1
                                        ; =>  This Inner Loop Header: Depth=2
	v_lshl_add_u32 v12, v11, 2, 0
	ds_read_b32 v13, v12
                                        ; implicit-def: $sgpr20_sgpr21
	s_waitcnt lgkmcnt(0)
	v_cmp_ne_u32_e32 vcc, v13, v10
	s_and_saveexec_b64 s[18:19], vcc
	s_xor_b64 s[18:19], exec, s[18:19]
	s_cbranch_execz .LBB200_41
; %bb.34:                               ;   in Loop: Header=BB200_33 Depth=2
	v_cmp_ne_u32_e32 vcc, s33, v13
                                        ; implicit-def: $sgpr20_sgpr21
	s_and_saveexec_b64 s[22:23], vcc
	s_xor_b64 s[22:23], exec, s[22:23]
; %bb.35:                               ;   in Loop: Header=BB200_33 Depth=2
	v_add_u32_e32 v11, 1, v11
	v_and_b32_e32 v11, 0xff, v11
	s_mov_b64 s[20:21], -1
                                        ; implicit-def: $vgpr12
; %bb.36:                               ;   in Loop: Header=BB200_33 Depth=2
	s_andn2_saveexec_b64 s[22:23], s[22:23]
	s_cbranch_execz .LBB200_40
; %bb.37:                               ;   in Loop: Header=BB200_33 Depth=2
	v_mov_b32_e32 v13, s33
	ds_cmpst_rtn_b32 v13, v12, v13, v10
	s_mov_b64 s[24:25], -1
	s_waitcnt lgkmcnt(0)
	v_cmp_eq_u32_e32 vcc, s33, v13
	s_and_saveexec_b64 s[34:35], vcc
	s_cbranch_execz .LBB200_39
; %bb.38:                               ;   in Loop: Header=BB200_33 Depth=2
	v_lshl_add_u32 v12, v11, 2, v12
	ds_add_f64 v12, v[6:7] offset:1024
	s_xor_b64 s[24:25], exec, -1
.LBB200_39:                             ;   in Loop: Header=BB200_33 Depth=2
	s_or_b64 exec, exec, s[34:35]
	s_andn2_b64 s[20:21], s[20:21], exec
	s_and_b64 s[24:25], s[24:25], exec
	s_or_b64 s[20:21], s[20:21], s[24:25]
.LBB200_40:                             ;   in Loop: Header=BB200_33 Depth=2
	s_or_b64 exec, exec, s[22:23]
	s_and_b64 s[20:21], s[20:21], exec
                                        ; implicit-def: $vgpr12
.LBB200_41:                             ;   in Loop: Header=BB200_33 Depth=2
	s_andn2_saveexec_b64 s[18:19], s[18:19]
	s_cbranch_execz .LBB200_32
; %bb.42:                               ;   in Loop: Header=BB200_33 Depth=2
	v_lshl_add_u32 v12, v11, 2, v12
	ds_add_f64 v12, v[6:7] offset:1024
	s_andn2_b64 s[20:21], s[20:21], exec
	s_branch .LBB200_32
.LBB200_43:
	s_or_b64 exec, exec, s[6:7]
.LBB200_44:
	s_waitcnt lgkmcnt(0)
	s_barrier
	s_and_saveexec_b64 s[6:7], s[0:1]
	s_cbranch_execz .LBB200_53
; %bb.45:
	s_waitcnt vmcnt(0)
	v_mbcnt_lo_u32_b32 v2, -1, 0
	v_mbcnt_hi_u32_b32 v2, -1, v2
	v_sub_u32_e32 v2, 63, v2
	v_and_b32_e32 v4, 4, v17
	s_movk_i32 s2, 0x7f
	v_mov_b32_e32 v6, 0
	v_lshrrev_b64 v[2:3], v2, -1
	v_add_u32_e32 v7, 0, v4
	v_cmp_lt_u32_e64 s[0:1], 63, v0
	v_cmp_eq_u32_e64 s[2:3], s2, v0
	v_add_u32_e32 v8, 0x400, v16
	v_or_b32_e32 v9, 0xffffff80, v0
	s_mov_b64 s[8:9], 0
	v_mov_b32_e32 v10, 0
	s_branch .LBB200_47
.LBB200_46:                             ;   in Loop: Header=BB200_47 Depth=1
	s_or_b64 exec, exec, s[10:11]
	s_waitcnt lgkmcnt(0)
	s_barrier
	ds_read_b32 v4, v6 offset:3076
	v_add_co_u32_e32 v9, vcc, 0x80, v9
	s_xor_b64 s[10:11], vcc, -1
	s_and_b64 s[10:11], exec, s[10:11]
	v_add_u32_e32 v8, 0x400, v8
	s_waitcnt lgkmcnt(0)
	v_add_u32_e32 v10, v4, v10
	s_or_b64 s[8:9], s[10:11], s[8:9]
	v_add_u32_e32 v1, 0x200, v1
	s_andn2_b64 exec, exec, s[8:9]
	s_cbranch_execz .LBB200_53
.LBB200_47:                             ; =>This Inner Loop Header: Depth=1
	ds_read_b32 v11, v1
	ds_read_b64 v[4:5], v8
	s_waitcnt lgkmcnt(0)
	s_barrier
	v_cmp_gt_i32_e32 vcc, s33, v11
	v_and_b32_e32 v13, vcc_lo, v2
	s_bcnt1_i32_b64 s5, vcc
	v_and_b32_e32 v12, vcc_hi, v3
	v_bcnt_u32_b32 v13, v13, 0
	v_bcnt_u32_b32 v12, v12, v13
	v_mov_b32_e32 v13, s5
	ds_write_b32 v7, v13 offset:3072
	s_waitcnt lgkmcnt(0)
	s_barrier
	s_and_saveexec_b64 s[10:11], s[0:1]
	s_cbranch_execnz .LBB200_50
; %bb.48:                               ;   in Loop: Header=BB200_47 Depth=1
	s_or_b64 exec, exec, s[10:11]
	s_and_saveexec_b64 s[10:11], vcc
	s_cbranch_execnz .LBB200_51
.LBB200_49:                             ;   in Loop: Header=BB200_47 Depth=1
	s_or_b64 exec, exec, s[10:11]
	s_and_saveexec_b64 s[10:11], s[2:3]
	s_cbranch_execz .LBB200_46
	s_branch .LBB200_52
.LBB200_50:                             ;   in Loop: Header=BB200_47 Depth=1
	ds_read_b32 v13, v6 offset:3072
	s_waitcnt lgkmcnt(0)
	v_add_u32_e32 v12, v13, v12
	s_or_b64 exec, exec, s[10:11]
	s_and_saveexec_b64 s[10:11], vcc
	s_cbranch_execz .LBB200_49
.LBB200_51:                             ;   in Loop: Header=BB200_47 Depth=1
	v_add3_u32 v13, v10, -1, v12
	v_lshl_add_u32 v14, v13, 2, 0
	v_lshl_add_u32 v13, v13, 3, 0
	ds_write_b32 v14, v11
	ds_write_b64 v13, v[4:5] offset:1024
	s_or_b64 exec, exec, s[10:11]
	s_and_saveexec_b64 s[10:11], s[2:3]
	s_cbranch_execz .LBB200_46
.LBB200_52:                             ;   in Loop: Header=BB200_47 Depth=1
	ds_write_b32 v6, v12 offset:3076
	s_branch .LBB200_46
.LBB200_53:
	s_or_b64 exec, exec, s[6:7]
	s_ashr_i32 s5, s4, 31
	s_lshl_b64 s[0:1], s[4:5], 3
	s_add_u32 s0, s14, s0
	s_addc_u32 s1, s15, s1
	s_load_dwordx4 s[0:3], s[0:1], 0x0
	s_waitcnt lgkmcnt(0)
	s_sub_i32 s8, s2, s0
	v_cmp_gt_i32_e32 vcc, s8, v0
	s_and_saveexec_b64 s[4:5], vcc
	s_cbranch_execz .LBB200_63
; %bb.54:
	s_sub_u32 s4, s0, s26
	s_subb_u32 s5, s1, 0
	s_and_b32 s9, s8, 7
	s_sub_i32 s0, s0, s2
	s_cmp_lt_u32 s0, -7
	s_cselect_b64 s[0:1], -1, 0
	s_and_b32 s10, s8, -8
	s_cmp_lg_u32 s9, 0
	v_cndmask_b32_e64 v1, 0, 1, s[0:1]
	s_cselect_b64 s[2:3], -1, 0
	v_cmp_ne_u32_e64 s[0:1], 1, v1
	v_cndmask_b32_e64 v1, 0, 1, s[2:3]
	s_mov_b64 s[6:7], 0
	v_cmp_ne_u32_e64 s[2:3], 1, v1
	s_waitcnt vmcnt(0)
	s_branch .LBB200_56
.LBB200_55:                             ;   in Loop: Header=BB200_56 Depth=1
	v_lshlrev_b64 v[6:7], 2, v[4:5]
	v_mov_b32_e32 v8, s29
	v_add_co_u32_e32 v6, vcc, s28, v6
	s_waitcnt lgkmcnt(1)
	v_add_u32_e32 v1, s26, v1
	v_addc_co_u32_e32 v7, vcc, v8, v7, vcc
	v_lshlrev_b64 v[4:5], 3, v[4:5]
	global_store_dword v[6:7], v1, off
	v_mov_b32_e32 v1, s31
	v_add_co_u32_e32 v4, vcc, s30, v4
	v_addc_co_u32_e32 v5, vcc, v1, v5, vcc
	v_add_u32_e32 v0, 0x80, v0
	v_cmp_le_i32_e32 vcc, s8, v0
	s_or_b64 s[6:7], vcc, s[6:7]
	s_waitcnt lgkmcnt(0)
	global_store_dwordx2 v[4:5], v[2:3], off
	s_andn2_b64 exec, exec, s[6:7]
	s_cbranch_execz .LBB200_63
.LBB200_56:                             ; =>This Loop Header: Depth=1
                                        ;     Child Loop BB200_58 Depth 2
                                        ;     Child Loop BB200_62 Depth 2
	v_lshlrev_b32_e32 v1, 2, v0
	v_add_u32_e32 v2, 0, v1
	v_add_u32_e32 v3, v2, v1
	ds_read_b32 v1, v2
	ds_read_b64 v[2:3], v3 offset:1024
	s_and_b64 vcc, exec, s[0:1]
	v_pk_mov_b32 v[4:5], s[4:5], s[4:5] op_sel:[0,1]
	s_mov_b32 s11, 0
	s_cbranch_vccnz .LBB200_60
; %bb.57:                               ;   in Loop: Header=BB200_56 Depth=1
	s_mov_b32 s12, 0
	v_pk_mov_b32 v[4:5], s[4:5], s[4:5] op_sel:[0,1]
.LBB200_58:                             ;   Parent Loop BB200_56 Depth=1
                                        ; =>  This Inner Loop Header: Depth=2
	v_mov_b32_e32 v12, s12
	ds_read2_b32 v[6:7], v12 offset1:1
	ds_read2_b32 v[8:9], v12 offset0:2 offset1:3
	ds_read2_b32 v[10:11], v12 offset0:4 offset1:5
	;; [unrolled: 1-line block ×3, first 2 shown]
	s_add_i32 s11, s11, 8
	s_waitcnt lgkmcnt(3)
	v_cmp_gt_i32_e32 vcc, v1, v6
	v_cndmask_b32_e64 v6, 0, 1, vcc
	v_cmp_gt_i32_e32 vcc, v1, v7
	v_cndmask_b32_e64 v7, 0, 1, vcc
	s_waitcnt lgkmcnt(2)
	v_cmp_gt_i32_e32 vcc, v1, v8
	v_cndmask_b32_e64 v8, 0, 1, vcc
	v_cmp_gt_i32_e32 vcc, v1, v9
	v_cndmask_b32_e64 v9, 0, 1, vcc
	;; [unrolled: 5-line block ×4, first 2 shown]
	v_add_co_u32_e32 v4, vcc, v4, v6
	v_addc_co_u32_e32 v5, vcc, 0, v5, vcc
	v_add_co_u32_e32 v4, vcc, v4, v7
	v_addc_co_u32_e32 v5, vcc, 0, v5, vcc
	;; [unrolled: 2-line block ×7, first 2 shown]
	s_add_i32 s12, s12, 32
	v_add_co_u32_e32 v4, vcc, v4, v13
	s_cmp_eq_u32 s10, s11
	v_addc_co_u32_e32 v5, vcc, 0, v5, vcc
	s_cbranch_scc0 .LBB200_58
; %bb.59:                               ;   in Loop: Header=BB200_56 Depth=1
	s_mov_b32 s11, s10
.LBB200_60:                             ;   in Loop: Header=BB200_56 Depth=1
	s_and_b64 vcc, exec, s[2:3]
	s_cbranch_vccnz .LBB200_55
; %bb.61:                               ;   in Loop: Header=BB200_56 Depth=1
	s_lshl_b32 s11, s11, 2
	s_add_i32 s11, s11, 0
	s_mov_b32 s12, s9
.LBB200_62:                             ;   Parent Loop BB200_56 Depth=1
                                        ; =>  This Inner Loop Header: Depth=2
	v_mov_b32_e32 v6, s11
	ds_read_b32 v6, v6
	s_add_i32 s11, s11, 4
	s_add_i32 s12, s12, -1
	s_cmp_lg_u32 s12, 0
	s_waitcnt lgkmcnt(0)
	v_cmp_gt_i32_e32 vcc, v1, v6
	v_cndmask_b32_e64 v6, 0, 1, vcc
	v_add_co_u32_e32 v4, vcc, v4, v6
	v_addc_co_u32_e32 v5, vcc, 0, v5, vcc
	s_cbranch_scc1 .LBB200_62
	s_branch .LBB200_55
.LBB200_63:
	s_endpgm
	.section	.rodata,"a",@progbits
	.p2align	6, 0x0
	.amdhsa_kernel _ZN9rocsparseL26csrgemm_fill_block_per_rowILj128ELj16ELj256ELj137ELj64ElidEEvT5_PKS1_S3_NS_24const_host_device_scalarIT6_EEPKT4_S3_PKS5_S9_S3_SB_S6_S9_S3_SB_S9_PS1_PS5_21rocsparse_index_base_SE_SE_SE_bbb
		.amdhsa_group_segment_fixed_size 0
		.amdhsa_private_segment_fixed_size 0
		.amdhsa_kernarg_size 156
		.amdhsa_user_sgpr_count 6
		.amdhsa_user_sgpr_private_segment_buffer 1
		.amdhsa_user_sgpr_dispatch_ptr 0
		.amdhsa_user_sgpr_queue_ptr 0
		.amdhsa_user_sgpr_kernarg_segment_ptr 1
		.amdhsa_user_sgpr_dispatch_id 0
		.amdhsa_user_sgpr_flat_scratch_init 0
		.amdhsa_user_sgpr_kernarg_preload_length 0
		.amdhsa_user_sgpr_kernarg_preload_offset 0
		.amdhsa_user_sgpr_private_segment_size 0
		.amdhsa_uses_dynamic_stack 0
		.amdhsa_system_sgpr_private_segment_wavefront_offset 0
		.amdhsa_system_sgpr_workgroup_id_x 1
		.amdhsa_system_sgpr_workgroup_id_y 0
		.amdhsa_system_sgpr_workgroup_id_z 0
		.amdhsa_system_sgpr_workgroup_info 0
		.amdhsa_system_vgpr_workitem_id 0
		.amdhsa_next_free_vgpr 27
		.amdhsa_next_free_sgpr 56
		.amdhsa_accum_offset 28
		.amdhsa_reserve_vcc 1
		.amdhsa_reserve_flat_scratch 0
		.amdhsa_float_round_mode_32 0
		.amdhsa_float_round_mode_16_64 0
		.amdhsa_float_denorm_mode_32 3
		.amdhsa_float_denorm_mode_16_64 3
		.amdhsa_dx10_clamp 1
		.amdhsa_ieee_mode 1
		.amdhsa_fp16_overflow 0
		.amdhsa_tg_split 0
		.amdhsa_exception_fp_ieee_invalid_op 0
		.amdhsa_exception_fp_denorm_src 0
		.amdhsa_exception_fp_ieee_div_zero 0
		.amdhsa_exception_fp_ieee_overflow 0
		.amdhsa_exception_fp_ieee_underflow 0
		.amdhsa_exception_fp_ieee_inexact 0
		.amdhsa_exception_int_div_zero 0
	.end_amdhsa_kernel
	.section	.text._ZN9rocsparseL26csrgemm_fill_block_per_rowILj128ELj16ELj256ELj137ELj64ElidEEvT5_PKS1_S3_NS_24const_host_device_scalarIT6_EEPKT4_S3_PKS5_S9_S3_SB_S6_S9_S3_SB_S9_PS1_PS5_21rocsparse_index_base_SE_SE_SE_bbb,"axG",@progbits,_ZN9rocsparseL26csrgemm_fill_block_per_rowILj128ELj16ELj256ELj137ELj64ElidEEvT5_PKS1_S3_NS_24const_host_device_scalarIT6_EEPKT4_S3_PKS5_S9_S3_SB_S6_S9_S3_SB_S9_PS1_PS5_21rocsparse_index_base_SE_SE_SE_bbb,comdat
.Lfunc_end200:
	.size	_ZN9rocsparseL26csrgemm_fill_block_per_rowILj128ELj16ELj256ELj137ELj64ElidEEvT5_PKS1_S3_NS_24const_host_device_scalarIT6_EEPKT4_S3_PKS5_S9_S3_SB_S6_S9_S3_SB_S9_PS1_PS5_21rocsparse_index_base_SE_SE_SE_bbb, .Lfunc_end200-_ZN9rocsparseL26csrgemm_fill_block_per_rowILj128ELj16ELj256ELj137ELj64ElidEEvT5_PKS1_S3_NS_24const_host_device_scalarIT6_EEPKT4_S3_PKS5_S9_S3_SB_S6_S9_S3_SB_S9_PS1_PS5_21rocsparse_index_base_SE_SE_SE_bbb
                                        ; -- End function
	.section	.AMDGPU.csdata,"",@progbits
; Kernel info:
; codeLenInByte = 2464
; NumSgprs: 60
; NumVgprs: 27
; NumAgprs: 0
; TotalNumVgprs: 27
; ScratchSize: 0
; MemoryBound: 0
; FloatMode: 240
; IeeeMode: 1
; LDSByteSize: 0 bytes/workgroup (compile time only)
; SGPRBlocks: 7
; VGPRBlocks: 3
; NumSGPRsForWavesPerEU: 60
; NumVGPRsForWavesPerEU: 27
; AccumOffset: 28
; Occupancy: 8
; WaveLimiterHint : 1
; COMPUTE_PGM_RSRC2:SCRATCH_EN: 0
; COMPUTE_PGM_RSRC2:USER_SGPR: 6
; COMPUTE_PGM_RSRC2:TRAP_HANDLER: 0
; COMPUTE_PGM_RSRC2:TGID_X_EN: 1
; COMPUTE_PGM_RSRC2:TGID_Y_EN: 0
; COMPUTE_PGM_RSRC2:TGID_Z_EN: 0
; COMPUTE_PGM_RSRC2:TIDIG_COMP_CNT: 0
; COMPUTE_PGM_RSRC3_GFX90A:ACCUM_OFFSET: 6
; COMPUTE_PGM_RSRC3_GFX90A:TG_SPLIT: 0
	.section	.text._ZN9rocsparseL26csrgemm_fill_block_per_rowILj256ELj32ELj512ELj137ELj32ElidEEvT5_PKS1_S3_NS_24const_host_device_scalarIT6_EEPKT4_S3_PKS5_S9_S3_SB_S6_S9_S3_SB_S9_PS1_PS5_21rocsparse_index_base_SE_SE_SE_bbb,"axG",@progbits,_ZN9rocsparseL26csrgemm_fill_block_per_rowILj256ELj32ELj512ELj137ELj32ElidEEvT5_PKS1_S3_NS_24const_host_device_scalarIT6_EEPKT4_S3_PKS5_S9_S3_SB_S6_S9_S3_SB_S9_PS1_PS5_21rocsparse_index_base_SE_SE_SE_bbb,comdat
	.globl	_ZN9rocsparseL26csrgemm_fill_block_per_rowILj256ELj32ELj512ELj137ELj32ElidEEvT5_PKS1_S3_NS_24const_host_device_scalarIT6_EEPKT4_S3_PKS5_S9_S3_SB_S6_S9_S3_SB_S9_PS1_PS5_21rocsparse_index_base_SE_SE_SE_bbb ; -- Begin function _ZN9rocsparseL26csrgemm_fill_block_per_rowILj256ELj32ELj512ELj137ELj32ElidEEvT5_PKS1_S3_NS_24const_host_device_scalarIT6_EEPKT4_S3_PKS5_S9_S3_SB_S6_S9_S3_SB_S9_PS1_PS5_21rocsparse_index_base_SE_SE_SE_bbb
	.p2align	8
	.type	_ZN9rocsparseL26csrgemm_fill_block_per_rowILj256ELj32ELj512ELj137ELj32ElidEEvT5_PKS1_S3_NS_24const_host_device_scalarIT6_EEPKT4_S3_PKS5_S9_S3_SB_S6_S9_S3_SB_S9_PS1_PS5_21rocsparse_index_base_SE_SE_SE_bbb,@function
_ZN9rocsparseL26csrgemm_fill_block_per_rowILj256ELj32ELj512ELj137ELj32ElidEEvT5_PKS1_S3_NS_24const_host_device_scalarIT6_EEPKT4_S3_PKS5_S9_S3_SB_S6_S9_S3_SB_S9_PS1_PS5_21rocsparse_index_base_SE_SE_SE_bbb: ; @_ZN9rocsparseL26csrgemm_fill_block_per_rowILj256ELj32ELj512ELj137ELj32ElidEEvT5_PKS1_S3_NS_24const_host_device_scalarIT6_EEPKT4_S3_PKS5_S9_S3_SB_S6_S9_S3_SB_S9_PS1_PS5_21rocsparse_index_base_SE_SE_SE_bbb
; %bb.0:
	s_load_dword s7, s[4:5], 0x98
	s_load_dwordx2 s[2:3], s[4:5], 0x18
	s_load_dwordx2 s[0:1], s[4:5], 0x50
	s_waitcnt lgkmcnt(0)
	s_and_b32 s10, 1, s7
	s_bitcmp1_b32 s7, 16
	s_cselect_b64 s[8:9], -1, 0
	s_cmp_eq_u32 s10, 1
	s_cselect_b64 s[44:45], -1, 0
	s_and_b64 s[10:11], s[44:45], exec
	s_cselect_b32 s11, s3, 0
	s_cselect_b32 s10, s2, 0
	s_xor_b64 s[12:13], s[44:45], -1
	s_or_b64 s[12:13], s[12:13], s[8:9]
	s_and_b64 vcc, exec, s[12:13]
	v_pk_mov_b32 v[4:5], s[10:11], s[10:11] op_sel:[0,1]
	s_cbranch_vccnz .LBB201_2
; %bb.1:
	v_pk_mov_b32 v[2:3], s[2:3], s[2:3] op_sel:[0,1]
	flat_load_dwordx2 v[4:5], v[2:3]
.LBB201_2:
	s_bitcmp1_b32 s7, 8
	s_load_dwordx4 s[28:31], s[4:5], 0x88
	s_cselect_b64 s[2:3], -1, 0
	s_and_b64 s[10:11], s[2:3], exec
	s_cselect_b32 s11, s1, 0
	s_cselect_b32 s10, s0, 0
	s_xor_b64 s[12:13], s[2:3], -1
	s_or_b64 s[8:9], s[12:13], s[8:9]
	s_and_b64 vcc, exec, s[8:9]
	v_pk_mov_b32 v[2:3], s[10:11], s[10:11] op_sel:[0,1]
	s_cbranch_vccnz .LBB201_4
; %bb.3:
	v_pk_mov_b32 v[2:3], s[0:1], s[0:1] op_sel:[0,1]
	flat_load_dwordx2 v[2:3], v[2:3]
.LBB201_4:
	s_load_dwordx4 s[36:39], s[4:5], 0x78
	s_load_dwordx8 s[12:19], s[4:5], 0x58
	s_load_dwordx4 s[8:11], s[4:5], 0x40
	s_load_dwordx8 s[20:27], s[4:5], 0x20
	s_load_dwordx4 s[40:43], s[4:5], 0x8
	s_load_dword s33, s[4:5], 0x0
	s_movk_i32 s0, 0x200
	v_cmp_gt_u32_e64 s[0:1], s0, v0
	v_lshl_add_u32 v16, v0, 3, 0
	v_lshl_add_u32 v1, v0, 2, 0
	s_and_saveexec_b64 s[4:5], s[0:1]
	s_cbranch_execz .LBB201_7
; %bb.5:
	v_mov_b32_e32 v6, 0
	v_add_u32_e32 v8, 0x800, v16
	v_or_b32_e32 v9, 0xffffff00, v0
	v_lshl_add_u32 v10, v0, 2, 0
	s_mov_b64 s[34:35], 0
	s_waitcnt lgkmcnt(0)
	v_mov_b32_e32 v11, s33
	v_mov_b32_e32 v7, v6
.LBB201_6:                              ; =>This Inner Loop Header: Depth=1
	v_add_co_u32_e32 v9, vcc, 0x100, v9
	s_xor_b64 s[46:47], vcc, -1
	s_and_b64 s[46:47], exec, s[46:47]
	ds_write_b32 v10, v11
	ds_write_b64 v8, v[6:7]
	v_add_u32_e32 v8, 0x800, v8
	s_or_b64 s[34:35], s[46:47], s[34:35]
	v_add_u32_e32 v10, 0x400, v10
	s_andn2_b64 exec, exec, s[34:35]
	s_cbranch_execnz .LBB201_6
.LBB201_7:
	s_or_b64 exec, exec, s[4:5]
	s_waitcnt lgkmcnt(0)
	s_barrier
	s_load_dword s4, s[40:41], 0x0
	s_mov_b32 s5, 0
	v_lshrrev_b32_e32 v17, 5, v0
	s_waitcnt lgkmcnt(0)
	s_add_i32 s4, s4, s6
	s_lshl_b64 s[4:5], s[4:5], 2
	s_add_u32 s4, s42, s4
	s_addc_u32 s5, s43, s5
	s_load_dword s34, s[4:5], 0x0
	s_and_b64 vcc, exec, s[44:45]
	s_cbranch_vccz .LBB201_27
; %bb.8:
	s_waitcnt lgkmcnt(0)
	s_ashr_i32 s35, s34, 31
	s_lshl_b64 s[4:5], s[34:35], 3
	s_add_u32 s4, s20, s4
	s_addc_u32 s5, s21, s5
	s_load_dwordx4 s[40:43], s[4:5], 0x0
	v_subrev_co_u32_e32 v6, vcc, s28, v17
	v_subb_co_u32_e64 v7, s[4:5], 0, 0, vcc
	s_waitcnt lgkmcnt(0)
	s_sub_u32 s4, s42, s28
	v_mov_b32_e32 v8, s41
	v_add_co_u32_e32 v6, vcc, s40, v6
	s_subb_u32 s5, s43, 0
	v_addc_co_u32_e32 v7, vcc, v8, v7, vcc
	v_cmp_gt_i64_e32 vcc, s[4:5], v[6:7]
	s_and_saveexec_b64 s[6:7], vcc
	s_cbranch_execz .LBB201_26
; %bb.9:
	v_and_b32_e32 v8, 31, v0
	v_subrev_co_u32_e32 v18, vcc, s29, v8
	s_mov_b32 s40, 0
	v_subb_co_u32_e64 v19, s[20:21], 0, 0, vcc
	s_mov_b32 s35, s29
	s_mov_b64 s[20:21], 0
	v_mov_b32_e32 v20, s23
	v_mov_b32_e32 v21, s27
	;; [unrolled: 1-line block ×3, first 2 shown]
	s_movk_i32 s23, 0x89
	s_branch .LBB201_11
.LBB201_10:                             ;   in Loop: Header=BB201_11 Depth=1
	s_or_b64 exec, exec, s[40:41]
	v_add_co_u32_e32 v6, vcc, 8, v6
	v_addc_co_u32_e32 v7, vcc, 0, v7, vcc
	v_cmp_le_i64_e32 vcc, s[4:5], v[6:7]
	s_or_b64 s[20:21], vcc, s[20:21]
	s_andn2_b64 exec, exec, s[20:21]
	s_cbranch_execz .LBB201_26
.LBB201_11:                             ; =>This Loop Header: Depth=1
                                        ;     Child Loop BB201_14 Depth 2
                                        ;       Child Loop BB201_16 Depth 3
	v_lshlrev_b64 v[8:9], 2, v[6:7]
	v_add_co_u32_e32 v8, vcc, s22, v8
	v_addc_co_u32_e32 v9, vcc, v20, v9, vcc
	global_load_dword v8, v[8:9], off
	s_waitcnt vmcnt(0)
	v_subrev_u32_e32 v8, s28, v8
	v_ashrrev_i32_e32 v9, 31, v8
	v_lshlrev_b64 v[8:9], 3, v[8:9]
	v_add_co_u32_e32 v8, vcc, s26, v8
	v_addc_co_u32_e32 v9, vcc, v21, v9, vcc
	global_load_dwordx4 v[10:13], v[8:9], off
	s_waitcnt vmcnt(0)
	v_subrev_co_u32_e32 v8, vcc, s35, v12
	v_subb_co_u32_e32 v9, vcc, v13, v22, vcc
	v_add_co_u32_e32 v10, vcc, v10, v18
	v_addc_co_u32_e32 v11, vcc, v11, v19, vcc
	v_cmp_lt_i64_e32 vcc, v[10:11], v[8:9]
	s_and_saveexec_b64 s[40:41], vcc
	s_cbranch_execz .LBB201_10
; %bb.12:                               ;   in Loop: Header=BB201_11 Depth=1
	v_lshlrev_b64 v[12:13], 3, v[6:7]
	v_mov_b32_e32 v14, s25
	v_add_co_u32_e32 v12, vcc, s24, v12
	v_addc_co_u32_e32 v13, vcc, v14, v13, vcc
	global_load_dwordx2 v[12:13], v[12:13], off
	s_mov_b64 s[42:43], 0
	s_waitcnt vmcnt(0)
	v_mul_f64 v[12:13], v[4:5], v[12:13]
	s_branch .LBB201_14
.LBB201_13:                             ;   in Loop: Header=BB201_14 Depth=2
	s_or_b64 exec, exec, s[44:45]
	v_add_co_u32_e32 v10, vcc, 32, v10
	v_addc_co_u32_e32 v11, vcc, 0, v11, vcc
	v_cmp_ge_i64_e32 vcc, v[10:11], v[8:9]
	s_or_b64 s[42:43], vcc, s[42:43]
	s_andn2_b64 exec, exec, s[42:43]
	s_cbranch_execz .LBB201_10
.LBB201_14:                             ;   Parent Loop BB201_11 Depth=1
                                        ; =>  This Loop Header: Depth=2
                                        ;       Child Loop BB201_16 Depth 3
	v_lshlrev_b64 v[14:15], 2, v[10:11]
	v_mov_b32_e32 v23, s9
	v_add_co_u32_e32 v14, vcc, s8, v14
	v_addc_co_u32_e32 v15, vcc, v23, v15, vcc
	global_load_dword v23, v[14:15], off
	v_lshlrev_b64 v[14:15], 3, v[10:11]
	v_mov_b32_e32 v24, s11
	v_add_co_u32_e32 v14, vcc, s10, v14
	v_addc_co_u32_e32 v15, vcc, v24, v15, vcc
	global_load_dwordx2 v[14:15], v[14:15], off
	s_mov_b64 s[44:45], 0
	s_waitcnt vmcnt(1)
	v_subrev_u32_e32 v23, s29, v23
	v_mul_lo_u32 v24, v23, s23
	v_and_b32_e32 v24, 0x1ff, v24
	s_waitcnt vmcnt(0)
	v_mul_f64 v[14:15], v[12:13], v[14:15]
	s_branch .LBB201_16
.LBB201_15:                             ;   in Loop: Header=BB201_16 Depth=3
	s_or_b64 exec, exec, s[46:47]
	s_xor_b64 s[46:47], s[48:49], -1
	s_and_b64 s[46:47], exec, s[46:47]
	s_or_b64 s[44:45], s[46:47], s[44:45]
	s_andn2_b64 exec, exec, s[44:45]
	s_cbranch_execz .LBB201_13
.LBB201_16:                             ;   Parent Loop BB201_11 Depth=1
                                        ;     Parent Loop BB201_14 Depth=2
                                        ; =>    This Inner Loop Header: Depth=3
	v_lshl_add_u32 v25, v24, 2, 0
	ds_read_b32 v26, v25
                                        ; implicit-def: $sgpr48_sgpr49
	s_waitcnt lgkmcnt(0)
	v_cmp_ne_u32_e32 vcc, v26, v23
	s_and_saveexec_b64 s[46:47], vcc
	s_xor_b64 s[46:47], exec, s[46:47]
	s_cbranch_execz .LBB201_24
; %bb.17:                               ;   in Loop: Header=BB201_16 Depth=3
	v_cmp_ne_u32_e32 vcc, s33, v26
                                        ; implicit-def: $sgpr48_sgpr49
	s_and_saveexec_b64 s[50:51], vcc
	s_xor_b64 s[50:51], exec, s[50:51]
; %bb.18:                               ;   in Loop: Header=BB201_16 Depth=3
	v_add_u32_e32 v24, 1, v24
	v_and_b32_e32 v24, 0x1ff, v24
	s_mov_b64 s[48:49], -1
                                        ; implicit-def: $vgpr25
; %bb.19:                               ;   in Loop: Header=BB201_16 Depth=3
	s_andn2_saveexec_b64 s[50:51], s[50:51]
	s_cbranch_execz .LBB201_23
; %bb.20:                               ;   in Loop: Header=BB201_16 Depth=3
	v_mov_b32_e32 v26, s33
	ds_cmpst_rtn_b32 v26, v25, v26, v23
	s_mov_b64 s[52:53], -1
	s_waitcnt lgkmcnt(0)
	v_cmp_eq_u32_e32 vcc, s33, v26
	s_and_saveexec_b64 s[54:55], vcc
	s_cbranch_execz .LBB201_22
; %bb.21:                               ;   in Loop: Header=BB201_16 Depth=3
	v_lshl_add_u32 v25, v24, 2, v25
	ds_add_f64 v25, v[14:15] offset:2048
	s_xor_b64 s[52:53], exec, -1
.LBB201_22:                             ;   in Loop: Header=BB201_16 Depth=3
	s_or_b64 exec, exec, s[54:55]
	s_andn2_b64 s[48:49], s[48:49], exec
	s_and_b64 s[52:53], s[52:53], exec
	s_or_b64 s[48:49], s[48:49], s[52:53]
.LBB201_23:                             ;   in Loop: Header=BB201_16 Depth=3
	s_or_b64 exec, exec, s[50:51]
	s_and_b64 s[48:49], s[48:49], exec
                                        ; implicit-def: $vgpr25
.LBB201_24:                             ;   in Loop: Header=BB201_16 Depth=3
	s_andn2_saveexec_b64 s[46:47], s[46:47]
	s_cbranch_execz .LBB201_15
; %bb.25:                               ;   in Loop: Header=BB201_16 Depth=3
	v_lshl_add_u32 v25, v24, 2, v25
	ds_add_f64 v25, v[14:15] offset:2048
	s_andn2_b64 s[48:49], s[48:49], exec
	s_branch .LBB201_15
.LBB201_26:
	s_or_b64 exec, exec, s[6:7]
.LBB201_27:
	s_andn2_b64 vcc, exec, s[2:3]
	s_cbranch_vccnz .LBB201_44
; %bb.28:
	s_waitcnt lgkmcnt(0)
	s_ashr_i32 s35, s34, 31
	s_lshl_b64 s[2:3], s[34:35], 3
	s_add_u32 s2, s12, s2
	s_addc_u32 s3, s13, s3
	s_load_dwordx4 s[4:7], s[2:3], 0x0
	s_waitcnt vmcnt(0)
	v_subrev_co_u32_e32 v4, vcc, s31, v0
	v_subb_co_u32_e64 v5, s[2:3], 0, 0, vcc
	s_waitcnt lgkmcnt(0)
	s_sub_u32 s2, s6, s31
	v_mov_b32_e32 v6, s5
	v_add_co_u32_e32 v4, vcc, s4, v4
	s_subb_u32 s3, s7, 0
	v_addc_co_u32_e32 v5, vcc, v6, v5, vcc
	v_cmp_gt_i64_e32 vcc, s[2:3], v[4:5]
	s_and_saveexec_b64 s[4:5], vcc
	s_cbranch_execz .LBB201_43
; %bb.29:
	s_mov_b64 s[6:7], 0
	v_mov_b32_e32 v8, s15
	v_mov_b32_e32 v9, s17
	s_movk_i32 s15, 0x89
	s_branch .LBB201_31
.LBB201_30:                             ;   in Loop: Header=BB201_31 Depth=1
	s_or_b64 exec, exec, s[8:9]
	v_add_co_u32_e32 v4, vcc, 0x100, v4
	v_addc_co_u32_e32 v5, vcc, 0, v5, vcc
	v_cmp_le_i64_e32 vcc, s[2:3], v[4:5]
	s_or_b64 s[6:7], vcc, s[6:7]
	s_andn2_b64 exec, exec, s[6:7]
	s_cbranch_execz .LBB201_43
.LBB201_31:                             ; =>This Loop Header: Depth=1
                                        ;     Child Loop BB201_33 Depth 2
	v_lshlrev_b64 v[6:7], 2, v[4:5]
	v_add_co_u32_e32 v6, vcc, s14, v6
	v_addc_co_u32_e32 v7, vcc, v8, v7, vcc
	global_load_dword v10, v[6:7], off
	v_lshlrev_b64 v[6:7], 3, v[4:5]
	v_add_co_u32_e32 v6, vcc, s16, v6
	v_addc_co_u32_e32 v7, vcc, v9, v7, vcc
	global_load_dwordx2 v[6:7], v[6:7], off
	s_mov_b64 s[8:9], 0
	s_waitcnt vmcnt(1)
	v_subrev_u32_e32 v10, s31, v10
	v_mul_lo_u32 v11, v10, s15
	v_and_b32_e32 v11, 0x1ff, v11
	s_waitcnt vmcnt(0)
	v_mul_f64 v[6:7], v[2:3], v[6:7]
	s_branch .LBB201_33
.LBB201_32:                             ;   in Loop: Header=BB201_33 Depth=2
	s_or_b64 exec, exec, s[10:11]
	s_xor_b64 s[10:11], s[12:13], -1
	s_and_b64 s[10:11], exec, s[10:11]
	s_or_b64 s[8:9], s[10:11], s[8:9]
	s_andn2_b64 exec, exec, s[8:9]
	s_cbranch_execz .LBB201_30
.LBB201_33:                             ;   Parent Loop BB201_31 Depth=1
                                        ; =>  This Inner Loop Header: Depth=2
	v_lshl_add_u32 v12, v11, 2, 0
	ds_read_b32 v13, v12
                                        ; implicit-def: $sgpr12_sgpr13
	s_waitcnt lgkmcnt(0)
	v_cmp_ne_u32_e32 vcc, v13, v10
	s_and_saveexec_b64 s[10:11], vcc
	s_xor_b64 s[10:11], exec, s[10:11]
	s_cbranch_execz .LBB201_41
; %bb.34:                               ;   in Loop: Header=BB201_33 Depth=2
	v_cmp_ne_u32_e32 vcc, s33, v13
                                        ; implicit-def: $sgpr12_sgpr13
	s_and_saveexec_b64 s[20:21], vcc
	s_xor_b64 s[20:21], exec, s[20:21]
; %bb.35:                               ;   in Loop: Header=BB201_33 Depth=2
	v_add_u32_e32 v11, 1, v11
	v_and_b32_e32 v11, 0x1ff, v11
	s_mov_b64 s[12:13], -1
                                        ; implicit-def: $vgpr12
; %bb.36:                               ;   in Loop: Header=BB201_33 Depth=2
	s_andn2_saveexec_b64 s[20:21], s[20:21]
	s_cbranch_execz .LBB201_40
; %bb.37:                               ;   in Loop: Header=BB201_33 Depth=2
	v_mov_b32_e32 v13, s33
	ds_cmpst_rtn_b32 v13, v12, v13, v10
	s_mov_b64 s[22:23], -1
	s_waitcnt lgkmcnt(0)
	v_cmp_eq_u32_e32 vcc, s33, v13
	s_and_saveexec_b64 s[24:25], vcc
	s_cbranch_execz .LBB201_39
; %bb.38:                               ;   in Loop: Header=BB201_33 Depth=2
	v_lshl_add_u32 v12, v11, 2, v12
	ds_add_f64 v12, v[6:7] offset:2048
	s_xor_b64 s[22:23], exec, -1
.LBB201_39:                             ;   in Loop: Header=BB201_33 Depth=2
	s_or_b64 exec, exec, s[24:25]
	s_andn2_b64 s[12:13], s[12:13], exec
	s_and_b64 s[22:23], s[22:23], exec
	s_or_b64 s[12:13], s[12:13], s[22:23]
.LBB201_40:                             ;   in Loop: Header=BB201_33 Depth=2
	s_or_b64 exec, exec, s[20:21]
	s_and_b64 s[12:13], s[12:13], exec
                                        ; implicit-def: $vgpr12
.LBB201_41:                             ;   in Loop: Header=BB201_33 Depth=2
	s_andn2_saveexec_b64 s[10:11], s[10:11]
	s_cbranch_execz .LBB201_32
; %bb.42:                               ;   in Loop: Header=BB201_33 Depth=2
	v_lshl_add_u32 v12, v11, 2, v12
	ds_add_f64 v12, v[6:7] offset:2048
	s_andn2_b64 s[12:13], s[12:13], exec
	s_branch .LBB201_32
.LBB201_43:
	s_or_b64 exec, exec, s[4:5]
.LBB201_44:
	s_waitcnt lgkmcnt(0)
	s_barrier
	s_and_saveexec_b64 s[16:17], s[0:1]
	s_cbranch_execz .LBB201_65
; %bb.45:
	s_waitcnt vmcnt(0)
	v_mbcnt_lo_u32_b32 v2, -1, 0
	v_mbcnt_hi_u32_b32 v2, -1, v2
	v_sub_u32_e32 v2, 63, v2
	s_movk_i32 s0, 0xff
	s_movk_i32 s6, 0x5f
	;; [unrolled: 1-line block ×6, first 2 shown]
	v_mov_b32_e32 v6, 0
	v_lshrrev_b64 v[2:3], v2, -1
	v_lshl_add_u32 v7, v17, 2, 0
	v_cmp_eq_u32_e64 s[0:1], s0, v0
	v_cmp_lt_u32_e64 s[2:3], 31, v0
	v_cmp_lt_u32_e64 s[4:5], 63, v0
	;; [unrolled: 1-line block ×7, first 2 shown]
	v_add_u32_e32 v8, 0x800, v16
	v_or_b32_e32 v9, 0xffffff00, v0
	s_mov_b64 s[20:21], 0
	v_mov_b32_e32 v10, 0
	s_branch .LBB201_47
.LBB201_46:                             ;   in Loop: Header=BB201_47 Depth=1
	s_or_b64 exec, exec, s[22:23]
	s_waitcnt lgkmcnt(0)
	s_barrier
	ds_read_b32 v4, v6 offset:6172
	v_add_co_u32_e32 v9, vcc, 0x100, v9
	s_xor_b64 s[22:23], vcc, -1
	s_and_b64 s[22:23], exec, s[22:23]
	v_add_u32_e32 v8, 0x800, v8
	s_waitcnt lgkmcnt(0)
	v_add_u32_e32 v10, v4, v10
	s_or_b64 s[20:21], s[22:23], s[20:21]
	v_add_u32_e32 v1, 0x400, v1
	s_andn2_b64 exec, exec, s[20:21]
	s_cbranch_execz .LBB201_65
.LBB201_47:                             ; =>This Inner Loop Header: Depth=1
	ds_read_b32 v11, v1
	ds_read_b64 v[4:5], v8
	s_waitcnt lgkmcnt(0)
	s_barrier
	v_cmp_gt_i32_e32 vcc, s33, v11
	v_and_b32_e32 v13, vcc_lo, v2
	s_bcnt1_i32_b64 s22, vcc
	v_and_b32_e32 v12, vcc_hi, v3
	v_bcnt_u32_b32 v13, v13, 0
	v_bcnt_u32_b32 v12, v12, v13
	v_mov_b32_e32 v13, s22
	ds_write_b32 v7, v13 offset:6144
	s_waitcnt lgkmcnt(0)
	s_barrier
	s_and_saveexec_b64 s[22:23], s[2:3]
	s_cbranch_execnz .LBB201_56
; %bb.48:                               ;   in Loop: Header=BB201_47 Depth=1
	s_or_b64 exec, exec, s[22:23]
	s_and_saveexec_b64 s[22:23], s[4:5]
	s_cbranch_execnz .LBB201_57
.LBB201_49:                             ;   in Loop: Header=BB201_47 Depth=1
	s_or_b64 exec, exec, s[22:23]
	s_and_saveexec_b64 s[22:23], s[6:7]
	s_cbranch_execnz .LBB201_58
.LBB201_50:                             ;   in Loop: Header=BB201_47 Depth=1
	s_or_b64 exec, exec, s[22:23]
	s_and_saveexec_b64 s[22:23], s[8:9]
	s_cbranch_execnz .LBB201_59
.LBB201_51:                             ;   in Loop: Header=BB201_47 Depth=1
	s_or_b64 exec, exec, s[22:23]
	s_and_saveexec_b64 s[22:23], s[10:11]
	s_cbranch_execnz .LBB201_60
.LBB201_52:                             ;   in Loop: Header=BB201_47 Depth=1
	s_or_b64 exec, exec, s[22:23]
	s_and_saveexec_b64 s[22:23], s[12:13]
	s_cbranch_execnz .LBB201_61
.LBB201_53:                             ;   in Loop: Header=BB201_47 Depth=1
	s_or_b64 exec, exec, s[22:23]
	s_and_saveexec_b64 s[22:23], s[14:15]
	s_cbranch_execnz .LBB201_62
.LBB201_54:                             ;   in Loop: Header=BB201_47 Depth=1
	s_or_b64 exec, exec, s[22:23]
	s_and_saveexec_b64 s[22:23], vcc
	s_cbranch_execnz .LBB201_63
.LBB201_55:                             ;   in Loop: Header=BB201_47 Depth=1
	s_or_b64 exec, exec, s[22:23]
	s_and_saveexec_b64 s[22:23], s[0:1]
	s_cbranch_execz .LBB201_46
	s_branch .LBB201_64
.LBB201_56:                             ;   in Loop: Header=BB201_47 Depth=1
	ds_read_b32 v13, v6 offset:6144
	s_waitcnt lgkmcnt(0)
	v_add_u32_e32 v12, v13, v12
	s_or_b64 exec, exec, s[22:23]
	s_and_saveexec_b64 s[22:23], s[4:5]
	s_cbranch_execz .LBB201_49
.LBB201_57:                             ;   in Loop: Header=BB201_47 Depth=1
	ds_read_b32 v13, v6 offset:6148
	s_waitcnt lgkmcnt(0)
	v_add_u32_e32 v12, v13, v12
	s_or_b64 exec, exec, s[22:23]
	s_and_saveexec_b64 s[22:23], s[6:7]
	s_cbranch_execz .LBB201_50
.LBB201_58:                             ;   in Loop: Header=BB201_47 Depth=1
	ds_read_b32 v13, v6 offset:6152
	s_waitcnt lgkmcnt(0)
	v_add_u32_e32 v12, v13, v12
	s_or_b64 exec, exec, s[22:23]
	s_and_saveexec_b64 s[22:23], s[8:9]
	s_cbranch_execz .LBB201_51
.LBB201_59:                             ;   in Loop: Header=BB201_47 Depth=1
	ds_read_b32 v13, v6 offset:6156
	s_waitcnt lgkmcnt(0)
	v_add_u32_e32 v12, v13, v12
	s_or_b64 exec, exec, s[22:23]
	s_and_saveexec_b64 s[22:23], s[10:11]
	s_cbranch_execz .LBB201_52
.LBB201_60:                             ;   in Loop: Header=BB201_47 Depth=1
	ds_read_b32 v13, v6 offset:6160
	s_waitcnt lgkmcnt(0)
	v_add_u32_e32 v12, v13, v12
	s_or_b64 exec, exec, s[22:23]
	s_and_saveexec_b64 s[22:23], s[12:13]
	s_cbranch_execz .LBB201_53
.LBB201_61:                             ;   in Loop: Header=BB201_47 Depth=1
	ds_read_b32 v13, v6 offset:6164
	s_waitcnt lgkmcnt(0)
	v_add_u32_e32 v12, v13, v12
	s_or_b64 exec, exec, s[22:23]
	s_and_saveexec_b64 s[22:23], s[14:15]
	s_cbranch_execz .LBB201_54
.LBB201_62:                             ;   in Loop: Header=BB201_47 Depth=1
	ds_read_b32 v13, v6 offset:6168
	s_waitcnt lgkmcnt(0)
	v_add_u32_e32 v12, v13, v12
	s_or_b64 exec, exec, s[22:23]
	s_and_saveexec_b64 s[22:23], vcc
	s_cbranch_execz .LBB201_55
.LBB201_63:                             ;   in Loop: Header=BB201_47 Depth=1
	v_add3_u32 v13, v10, -1, v12
	v_lshl_add_u32 v14, v13, 2, 0
	v_lshl_add_u32 v13, v13, 3, 0
	ds_write_b32 v14, v11
	ds_write_b64 v13, v[4:5] offset:2048
	s_or_b64 exec, exec, s[22:23]
	s_and_saveexec_b64 s[22:23], s[0:1]
	s_cbranch_execz .LBB201_46
.LBB201_64:                             ;   in Loop: Header=BB201_47 Depth=1
	ds_write_b32 v6, v12 offset:6172
	s_branch .LBB201_46
.LBB201_65:
	s_or_b64 exec, exec, s[16:17]
	s_ashr_i32 s35, s34, 31
	s_lshl_b64 s[0:1], s[34:35], 3
	s_add_u32 s0, s18, s0
	s_addc_u32 s1, s19, s1
	s_load_dwordx4 s[0:3], s[0:1], 0x0
	s_waitcnt lgkmcnt(0)
	s_sub_i32 s8, s2, s0
	v_cmp_gt_i32_e32 vcc, s8, v0
	s_and_saveexec_b64 s[4:5], vcc
	s_cbranch_execz .LBB201_75
; %bb.66:
	s_sub_u32 s4, s0, s30
	s_subb_u32 s5, s1, 0
	s_and_b32 s9, s8, 7
	s_sub_i32 s0, s0, s2
	s_cmp_lt_u32 s0, -7
	s_cselect_b64 s[0:1], -1, 0
	s_and_b32 s10, s8, -8
	s_cmp_lg_u32 s9, 0
	v_cndmask_b32_e64 v1, 0, 1, s[0:1]
	s_cselect_b64 s[2:3], -1, 0
	v_cmp_ne_u32_e64 s[0:1], 1, v1
	v_cndmask_b32_e64 v1, 0, 1, s[2:3]
	s_mov_b64 s[6:7], 0
	v_cmp_ne_u32_e64 s[2:3], 1, v1
	s_waitcnt vmcnt(0)
	s_branch .LBB201_68
.LBB201_67:                             ;   in Loop: Header=BB201_68 Depth=1
	v_lshlrev_b64 v[6:7], 2, v[4:5]
	v_mov_b32_e32 v8, s37
	v_add_co_u32_e32 v6, vcc, s36, v6
	s_waitcnt lgkmcnt(1)
	v_add_u32_e32 v1, s30, v1
	v_addc_co_u32_e32 v7, vcc, v8, v7, vcc
	v_lshlrev_b64 v[4:5], 3, v[4:5]
	global_store_dword v[6:7], v1, off
	v_mov_b32_e32 v1, s39
	v_add_co_u32_e32 v4, vcc, s38, v4
	v_addc_co_u32_e32 v5, vcc, v1, v5, vcc
	v_add_u32_e32 v0, 0x100, v0
	v_cmp_le_i32_e32 vcc, s8, v0
	s_or_b64 s[6:7], vcc, s[6:7]
	s_waitcnt lgkmcnt(0)
	global_store_dwordx2 v[4:5], v[2:3], off
	s_andn2_b64 exec, exec, s[6:7]
	s_cbranch_execz .LBB201_75
.LBB201_68:                             ; =>This Loop Header: Depth=1
                                        ;     Child Loop BB201_70 Depth 2
                                        ;     Child Loop BB201_74 Depth 2
	v_lshlrev_b32_e32 v1, 2, v0
	v_add_u32_e32 v2, 0, v1
	v_add_u32_e32 v3, v2, v1
	ds_read_b32 v1, v2
	ds_read_b64 v[2:3], v3 offset:2048
	s_and_b64 vcc, exec, s[0:1]
	v_pk_mov_b32 v[4:5], s[4:5], s[4:5] op_sel:[0,1]
	s_mov_b32 s11, 0
	s_cbranch_vccnz .LBB201_72
; %bb.69:                               ;   in Loop: Header=BB201_68 Depth=1
	s_mov_b32 s12, 0
	v_pk_mov_b32 v[4:5], s[4:5], s[4:5] op_sel:[0,1]
.LBB201_70:                             ;   Parent Loop BB201_68 Depth=1
                                        ; =>  This Inner Loop Header: Depth=2
	v_mov_b32_e32 v12, s12
	ds_read2_b32 v[6:7], v12 offset1:1
	ds_read2_b32 v[8:9], v12 offset0:2 offset1:3
	ds_read2_b32 v[10:11], v12 offset0:4 offset1:5
	;; [unrolled: 1-line block ×3, first 2 shown]
	s_add_i32 s11, s11, 8
	s_waitcnt lgkmcnt(3)
	v_cmp_gt_i32_e32 vcc, v1, v6
	v_cndmask_b32_e64 v6, 0, 1, vcc
	v_cmp_gt_i32_e32 vcc, v1, v7
	v_cndmask_b32_e64 v7, 0, 1, vcc
	s_waitcnt lgkmcnt(2)
	v_cmp_gt_i32_e32 vcc, v1, v8
	v_cndmask_b32_e64 v8, 0, 1, vcc
	v_cmp_gt_i32_e32 vcc, v1, v9
	v_cndmask_b32_e64 v9, 0, 1, vcc
	;; [unrolled: 5-line block ×4, first 2 shown]
	v_add_co_u32_e32 v4, vcc, v4, v6
	v_addc_co_u32_e32 v5, vcc, 0, v5, vcc
	v_add_co_u32_e32 v4, vcc, v4, v7
	v_addc_co_u32_e32 v5, vcc, 0, v5, vcc
	v_add_co_u32_e32 v4, vcc, v4, v8
	v_addc_co_u32_e32 v5, vcc, 0, v5, vcc
	v_add_co_u32_e32 v4, vcc, v4, v9
	v_addc_co_u32_e32 v5, vcc, 0, v5, vcc
	v_add_co_u32_e32 v4, vcc, v4, v10
	v_addc_co_u32_e32 v5, vcc, 0, v5, vcc
	v_add_co_u32_e32 v4, vcc, v4, v11
	v_addc_co_u32_e32 v5, vcc, 0, v5, vcc
	v_add_co_u32_e32 v4, vcc, v4, v12
	v_addc_co_u32_e32 v5, vcc, 0, v5, vcc
	s_add_i32 s12, s12, 32
	v_add_co_u32_e32 v4, vcc, v4, v13
	s_cmp_eq_u32 s10, s11
	v_addc_co_u32_e32 v5, vcc, 0, v5, vcc
	s_cbranch_scc0 .LBB201_70
; %bb.71:                               ;   in Loop: Header=BB201_68 Depth=1
	s_mov_b32 s11, s10
.LBB201_72:                             ;   in Loop: Header=BB201_68 Depth=1
	s_and_b64 vcc, exec, s[2:3]
	s_cbranch_vccnz .LBB201_67
; %bb.73:                               ;   in Loop: Header=BB201_68 Depth=1
	s_lshl_b32 s11, s11, 2
	s_add_i32 s11, s11, 0
	s_mov_b32 s12, s9
.LBB201_74:                             ;   Parent Loop BB201_68 Depth=1
                                        ; =>  This Inner Loop Header: Depth=2
	v_mov_b32_e32 v6, s11
	ds_read_b32 v6, v6
	s_add_i32 s11, s11, 4
	s_add_i32 s12, s12, -1
	s_cmp_lg_u32 s12, 0
	s_waitcnt lgkmcnt(0)
	v_cmp_gt_i32_e32 vcc, v1, v6
	v_cndmask_b32_e64 v6, 0, 1, vcc
	v_add_co_u32_e32 v4, vcc, v4, v6
	v_addc_co_u32_e32 v5, vcc, 0, v5, vcc
	s_cbranch_scc1 .LBB201_74
	s_branch .LBB201_67
.LBB201_75:
	s_endpgm
	.section	.rodata,"a",@progbits
	.p2align	6, 0x0
	.amdhsa_kernel _ZN9rocsparseL26csrgemm_fill_block_per_rowILj256ELj32ELj512ELj137ELj32ElidEEvT5_PKS1_S3_NS_24const_host_device_scalarIT6_EEPKT4_S3_PKS5_S9_S3_SB_S6_S9_S3_SB_S9_PS1_PS5_21rocsparse_index_base_SE_SE_SE_bbb
		.amdhsa_group_segment_fixed_size 0
		.amdhsa_private_segment_fixed_size 0
		.amdhsa_kernarg_size 156
		.amdhsa_user_sgpr_count 6
		.amdhsa_user_sgpr_private_segment_buffer 1
		.amdhsa_user_sgpr_dispatch_ptr 0
		.amdhsa_user_sgpr_queue_ptr 0
		.amdhsa_user_sgpr_kernarg_segment_ptr 1
		.amdhsa_user_sgpr_dispatch_id 0
		.amdhsa_user_sgpr_flat_scratch_init 0
		.amdhsa_user_sgpr_kernarg_preload_length 0
		.amdhsa_user_sgpr_kernarg_preload_offset 0
		.amdhsa_user_sgpr_private_segment_size 0
		.amdhsa_uses_dynamic_stack 0
		.amdhsa_system_sgpr_private_segment_wavefront_offset 0
		.amdhsa_system_sgpr_workgroup_id_x 1
		.amdhsa_system_sgpr_workgroup_id_y 0
		.amdhsa_system_sgpr_workgroup_id_z 0
		.amdhsa_system_sgpr_workgroup_info 0
		.amdhsa_system_vgpr_workitem_id 0
		.amdhsa_next_free_vgpr 27
		.amdhsa_next_free_sgpr 56
		.amdhsa_accum_offset 28
		.amdhsa_reserve_vcc 1
		.amdhsa_reserve_flat_scratch 0
		.amdhsa_float_round_mode_32 0
		.amdhsa_float_round_mode_16_64 0
		.amdhsa_float_denorm_mode_32 3
		.amdhsa_float_denorm_mode_16_64 3
		.amdhsa_dx10_clamp 1
		.amdhsa_ieee_mode 1
		.amdhsa_fp16_overflow 0
		.amdhsa_tg_split 0
		.amdhsa_exception_fp_ieee_invalid_op 0
		.amdhsa_exception_fp_denorm_src 0
		.amdhsa_exception_fp_ieee_div_zero 0
		.amdhsa_exception_fp_ieee_overflow 0
		.amdhsa_exception_fp_ieee_underflow 0
		.amdhsa_exception_fp_ieee_inexact 0
		.amdhsa_exception_int_div_zero 0
	.end_amdhsa_kernel
	.section	.text._ZN9rocsparseL26csrgemm_fill_block_per_rowILj256ELj32ELj512ELj137ELj32ElidEEvT5_PKS1_S3_NS_24const_host_device_scalarIT6_EEPKT4_S3_PKS5_S9_S3_SB_S6_S9_S3_SB_S9_PS1_PS5_21rocsparse_index_base_SE_SE_SE_bbb,"axG",@progbits,_ZN9rocsparseL26csrgemm_fill_block_per_rowILj256ELj32ELj512ELj137ELj32ElidEEvT5_PKS1_S3_NS_24const_host_device_scalarIT6_EEPKT4_S3_PKS5_S9_S3_SB_S6_S9_S3_SB_S9_PS1_PS5_21rocsparse_index_base_SE_SE_SE_bbb,comdat
.Lfunc_end201:
	.size	_ZN9rocsparseL26csrgemm_fill_block_per_rowILj256ELj32ELj512ELj137ELj32ElidEEvT5_PKS1_S3_NS_24const_host_device_scalarIT6_EEPKT4_S3_PKS5_S9_S3_SB_S6_S9_S3_SB_S9_PS1_PS5_21rocsparse_index_base_SE_SE_SE_bbb, .Lfunc_end201-_ZN9rocsparseL26csrgemm_fill_block_per_rowILj256ELj32ELj512ELj137ELj32ElidEEvT5_PKS1_S3_NS_24const_host_device_scalarIT6_EEPKT4_S3_PKS5_S9_S3_SB_S6_S9_S3_SB_S9_PS1_PS5_21rocsparse_index_base_SE_SE_SE_bbb
                                        ; -- End function
	.section	.AMDGPU.csdata,"",@progbits
; Kernel info:
; codeLenInByte = 2772
; NumSgprs: 60
; NumVgprs: 27
; NumAgprs: 0
; TotalNumVgprs: 27
; ScratchSize: 0
; MemoryBound: 0
; FloatMode: 240
; IeeeMode: 1
; LDSByteSize: 0 bytes/workgroup (compile time only)
; SGPRBlocks: 7
; VGPRBlocks: 3
; NumSGPRsForWavesPerEU: 60
; NumVGPRsForWavesPerEU: 27
; AccumOffset: 28
; Occupancy: 8
; WaveLimiterHint : 1
; COMPUTE_PGM_RSRC2:SCRATCH_EN: 0
; COMPUTE_PGM_RSRC2:USER_SGPR: 6
; COMPUTE_PGM_RSRC2:TRAP_HANDLER: 0
; COMPUTE_PGM_RSRC2:TGID_X_EN: 1
; COMPUTE_PGM_RSRC2:TGID_Y_EN: 0
; COMPUTE_PGM_RSRC2:TGID_Z_EN: 0
; COMPUTE_PGM_RSRC2:TIDIG_COMP_CNT: 0
; COMPUTE_PGM_RSRC3_GFX90A:ACCUM_OFFSET: 6
; COMPUTE_PGM_RSRC3_GFX90A:TG_SPLIT: 0
	.section	.text._ZN9rocsparseL26csrgemm_fill_block_per_rowILj256ELj32ELj512ELj137ELj64ElidEEvT5_PKS1_S3_NS_24const_host_device_scalarIT6_EEPKT4_S3_PKS5_S9_S3_SB_S6_S9_S3_SB_S9_PS1_PS5_21rocsparse_index_base_SE_SE_SE_bbb,"axG",@progbits,_ZN9rocsparseL26csrgemm_fill_block_per_rowILj256ELj32ELj512ELj137ELj64ElidEEvT5_PKS1_S3_NS_24const_host_device_scalarIT6_EEPKT4_S3_PKS5_S9_S3_SB_S6_S9_S3_SB_S9_PS1_PS5_21rocsparse_index_base_SE_SE_SE_bbb,comdat
	.globl	_ZN9rocsparseL26csrgemm_fill_block_per_rowILj256ELj32ELj512ELj137ELj64ElidEEvT5_PKS1_S3_NS_24const_host_device_scalarIT6_EEPKT4_S3_PKS5_S9_S3_SB_S6_S9_S3_SB_S9_PS1_PS5_21rocsparse_index_base_SE_SE_SE_bbb ; -- Begin function _ZN9rocsparseL26csrgemm_fill_block_per_rowILj256ELj32ELj512ELj137ELj64ElidEEvT5_PKS1_S3_NS_24const_host_device_scalarIT6_EEPKT4_S3_PKS5_S9_S3_SB_S6_S9_S3_SB_S9_PS1_PS5_21rocsparse_index_base_SE_SE_SE_bbb
	.p2align	8
	.type	_ZN9rocsparseL26csrgemm_fill_block_per_rowILj256ELj32ELj512ELj137ELj64ElidEEvT5_PKS1_S3_NS_24const_host_device_scalarIT6_EEPKT4_S3_PKS5_S9_S3_SB_S6_S9_S3_SB_S9_PS1_PS5_21rocsparse_index_base_SE_SE_SE_bbb,@function
_ZN9rocsparseL26csrgemm_fill_block_per_rowILj256ELj32ELj512ELj137ELj64ElidEEvT5_PKS1_S3_NS_24const_host_device_scalarIT6_EEPKT4_S3_PKS5_S9_S3_SB_S6_S9_S3_SB_S9_PS1_PS5_21rocsparse_index_base_SE_SE_SE_bbb: ; @_ZN9rocsparseL26csrgemm_fill_block_per_rowILj256ELj32ELj512ELj137ELj64ElidEEvT5_PKS1_S3_NS_24const_host_device_scalarIT6_EEPKT4_S3_PKS5_S9_S3_SB_S6_S9_S3_SB_S9_PS1_PS5_21rocsparse_index_base_SE_SE_SE_bbb
; %bb.0:
	s_load_dword s7, s[4:5], 0x98
	s_load_dwordx2 s[2:3], s[4:5], 0x18
	s_load_dwordx2 s[0:1], s[4:5], 0x50
	s_waitcnt lgkmcnt(0)
	s_and_b32 s10, 1, s7
	s_bitcmp1_b32 s7, 16
	s_cselect_b64 s[8:9], -1, 0
	s_cmp_eq_u32 s10, 1
	s_cselect_b64 s[44:45], -1, 0
	s_and_b64 s[10:11], s[44:45], exec
	s_cselect_b32 s11, s3, 0
	s_cselect_b32 s10, s2, 0
	s_xor_b64 s[12:13], s[44:45], -1
	s_or_b64 s[12:13], s[12:13], s[8:9]
	s_and_b64 vcc, exec, s[12:13]
	v_pk_mov_b32 v[4:5], s[10:11], s[10:11] op_sel:[0,1]
	s_cbranch_vccnz .LBB202_2
; %bb.1:
	v_pk_mov_b32 v[2:3], s[2:3], s[2:3] op_sel:[0,1]
	flat_load_dwordx2 v[4:5], v[2:3]
.LBB202_2:
	s_bitcmp1_b32 s7, 8
	s_load_dwordx4 s[24:27], s[4:5], 0x88
	s_cselect_b64 s[2:3], -1, 0
	s_and_b64 s[10:11], s[2:3], exec
	s_cselect_b32 s11, s1, 0
	s_cselect_b32 s10, s0, 0
	s_xor_b64 s[12:13], s[2:3], -1
	s_or_b64 s[8:9], s[12:13], s[8:9]
	s_and_b64 vcc, exec, s[8:9]
	v_pk_mov_b32 v[2:3], s[10:11], s[10:11] op_sel:[0,1]
	s_cbranch_vccnz .LBB202_4
; %bb.3:
	v_pk_mov_b32 v[2:3], s[0:1], s[0:1] op_sel:[0,1]
	flat_load_dwordx2 v[2:3], v[2:3]
.LBB202_4:
	s_load_dwordx4 s[28:31], s[4:5], 0x78
	s_load_dwordx8 s[8:15], s[4:5], 0x58
	s_load_dwordx4 s[36:39], s[4:5], 0x40
	s_load_dwordx8 s[16:23], s[4:5], 0x20
	s_load_dwordx4 s[40:43], s[4:5], 0x8
	s_load_dword s33, s[4:5], 0x0
	s_movk_i32 s0, 0x200
	v_cmp_gt_u32_e64 s[0:1], s0, v0
	v_lshl_add_u32 v16, v0, 3, 0
	v_lshl_add_u32 v1, v0, 2, 0
	s_and_saveexec_b64 s[4:5], s[0:1]
	s_cbranch_execz .LBB202_7
; %bb.5:
	v_mov_b32_e32 v6, 0
	v_add_u32_e32 v8, 0x800, v16
	v_or_b32_e32 v9, 0xffffff00, v0
	v_lshl_add_u32 v10, v0, 2, 0
	s_mov_b64 s[34:35], 0
	s_waitcnt lgkmcnt(0)
	v_mov_b32_e32 v11, s33
	v_mov_b32_e32 v7, v6
.LBB202_6:                              ; =>This Inner Loop Header: Depth=1
	v_add_co_u32_e32 v9, vcc, 0x100, v9
	s_xor_b64 s[46:47], vcc, -1
	s_and_b64 s[46:47], exec, s[46:47]
	ds_write_b32 v10, v11
	ds_write_b64 v8, v[6:7]
	v_add_u32_e32 v8, 0x800, v8
	s_or_b64 s[34:35], s[46:47], s[34:35]
	v_add_u32_e32 v10, 0x400, v10
	s_andn2_b64 exec, exec, s[34:35]
	s_cbranch_execnz .LBB202_6
.LBB202_7:
	s_or_b64 exec, exec, s[4:5]
	s_waitcnt lgkmcnt(0)
	s_barrier
	s_load_dword s4, s[40:41], 0x0
	s_mov_b32 s5, 0
	s_waitcnt lgkmcnt(0)
	s_add_i32 s4, s4, s6
	s_lshl_b64 s[4:5], s[4:5], 2
	s_add_u32 s4, s42, s4
	s_addc_u32 s5, s43, s5
	s_load_dword s34, s[4:5], 0x0
	s_and_b64 vcc, exec, s[44:45]
	s_cbranch_vccz .LBB202_27
; %bb.8:
	s_waitcnt lgkmcnt(0)
	s_ashr_i32 s35, s34, 31
	s_lshl_b64 s[4:5], s[34:35], 3
	s_add_u32 s4, s16, s4
	s_addc_u32 s5, s17, s5
	s_load_dwordx4 s[40:43], s[4:5], 0x0
	v_lshrrev_b32_e32 v6, 5, v0
	v_subrev_co_u32_e32 v6, vcc, s24, v6
	v_subb_co_u32_e64 v7, s[6:7], 0, 0, vcc
	s_waitcnt lgkmcnt(0)
	s_sub_u32 s4, s42, s24
	v_mov_b32_e32 v8, s41
	v_add_co_u32_e32 v6, vcc, s40, v6
	s_subb_u32 s5, s43, 0
	v_addc_co_u32_e32 v7, vcc, v8, v7, vcc
	v_cmp_gt_i64_e32 vcc, s[4:5], v[6:7]
	s_and_saveexec_b64 s[6:7], vcc
	s_cbranch_execz .LBB202_26
; %bb.9:
	v_and_b32_e32 v8, 31, v0
	v_subrev_co_u32_e32 v17, vcc, s25, v8
	s_mov_b32 s40, 0
	v_subb_co_u32_e64 v18, s[16:17], 0, 0, vcc
	s_mov_b32 s35, s25
	s_mov_b64 s[16:17], 0
	v_mov_b32_e32 v19, s19
	v_mov_b32_e32 v20, s23
	;; [unrolled: 1-line block ×3, first 2 shown]
	s_movk_i32 s19, 0x89
	s_branch .LBB202_11
.LBB202_10:                             ;   in Loop: Header=BB202_11 Depth=1
	s_or_b64 exec, exec, s[40:41]
	v_add_co_u32_e32 v6, vcc, 8, v6
	v_addc_co_u32_e32 v7, vcc, 0, v7, vcc
	v_cmp_le_i64_e32 vcc, s[4:5], v[6:7]
	s_or_b64 s[16:17], vcc, s[16:17]
	s_andn2_b64 exec, exec, s[16:17]
	s_cbranch_execz .LBB202_26
.LBB202_11:                             ; =>This Loop Header: Depth=1
                                        ;     Child Loop BB202_14 Depth 2
                                        ;       Child Loop BB202_16 Depth 3
	v_lshlrev_b64 v[8:9], 2, v[6:7]
	v_add_co_u32_e32 v8, vcc, s18, v8
	v_addc_co_u32_e32 v9, vcc, v19, v9, vcc
	global_load_dword v8, v[8:9], off
	s_waitcnt vmcnt(0)
	v_subrev_u32_e32 v8, s24, v8
	v_ashrrev_i32_e32 v9, 31, v8
	v_lshlrev_b64 v[8:9], 3, v[8:9]
	v_add_co_u32_e32 v8, vcc, s22, v8
	v_addc_co_u32_e32 v9, vcc, v20, v9, vcc
	global_load_dwordx4 v[10:13], v[8:9], off
	s_waitcnt vmcnt(0)
	v_subrev_co_u32_e32 v8, vcc, s35, v12
	v_subb_co_u32_e32 v9, vcc, v13, v21, vcc
	v_add_co_u32_e32 v10, vcc, v10, v17
	v_addc_co_u32_e32 v11, vcc, v11, v18, vcc
	v_cmp_lt_i64_e32 vcc, v[10:11], v[8:9]
	s_and_saveexec_b64 s[40:41], vcc
	s_cbranch_execz .LBB202_10
; %bb.12:                               ;   in Loop: Header=BB202_11 Depth=1
	v_lshlrev_b64 v[12:13], 3, v[6:7]
	v_mov_b32_e32 v14, s21
	v_add_co_u32_e32 v12, vcc, s20, v12
	v_addc_co_u32_e32 v13, vcc, v14, v13, vcc
	global_load_dwordx2 v[12:13], v[12:13], off
	s_mov_b64 s[42:43], 0
	s_waitcnt vmcnt(0)
	v_mul_f64 v[12:13], v[4:5], v[12:13]
	s_branch .LBB202_14
.LBB202_13:                             ;   in Loop: Header=BB202_14 Depth=2
	s_or_b64 exec, exec, s[44:45]
	v_add_co_u32_e32 v10, vcc, 32, v10
	v_addc_co_u32_e32 v11, vcc, 0, v11, vcc
	v_cmp_ge_i64_e32 vcc, v[10:11], v[8:9]
	s_or_b64 s[42:43], vcc, s[42:43]
	s_andn2_b64 exec, exec, s[42:43]
	s_cbranch_execz .LBB202_10
.LBB202_14:                             ;   Parent Loop BB202_11 Depth=1
                                        ; =>  This Loop Header: Depth=2
                                        ;       Child Loop BB202_16 Depth 3
	v_lshlrev_b64 v[14:15], 2, v[10:11]
	v_mov_b32_e32 v22, s37
	v_add_co_u32_e32 v14, vcc, s36, v14
	v_addc_co_u32_e32 v15, vcc, v22, v15, vcc
	global_load_dword v22, v[14:15], off
	v_lshlrev_b64 v[14:15], 3, v[10:11]
	v_mov_b32_e32 v23, s39
	v_add_co_u32_e32 v14, vcc, s38, v14
	v_addc_co_u32_e32 v15, vcc, v23, v15, vcc
	global_load_dwordx2 v[14:15], v[14:15], off
	s_mov_b64 s[44:45], 0
	s_waitcnt vmcnt(1)
	v_subrev_u32_e32 v22, s25, v22
	v_mul_lo_u32 v23, v22, s19
	v_and_b32_e32 v23, 0x1ff, v23
	s_waitcnt vmcnt(0)
	v_mul_f64 v[14:15], v[12:13], v[14:15]
	s_branch .LBB202_16
.LBB202_15:                             ;   in Loop: Header=BB202_16 Depth=3
	s_or_b64 exec, exec, s[46:47]
	s_xor_b64 s[46:47], s[48:49], -1
	s_and_b64 s[46:47], exec, s[46:47]
	s_or_b64 s[44:45], s[46:47], s[44:45]
	s_andn2_b64 exec, exec, s[44:45]
	s_cbranch_execz .LBB202_13
.LBB202_16:                             ;   Parent Loop BB202_11 Depth=1
                                        ;     Parent Loop BB202_14 Depth=2
                                        ; =>    This Inner Loop Header: Depth=3
	v_lshl_add_u32 v24, v23, 2, 0
	ds_read_b32 v25, v24
                                        ; implicit-def: $sgpr48_sgpr49
	s_waitcnt lgkmcnt(0)
	v_cmp_ne_u32_e32 vcc, v25, v22
	s_and_saveexec_b64 s[46:47], vcc
	s_xor_b64 s[46:47], exec, s[46:47]
	s_cbranch_execz .LBB202_24
; %bb.17:                               ;   in Loop: Header=BB202_16 Depth=3
	v_cmp_ne_u32_e32 vcc, s33, v25
                                        ; implicit-def: $sgpr48_sgpr49
	s_and_saveexec_b64 s[50:51], vcc
	s_xor_b64 s[50:51], exec, s[50:51]
; %bb.18:                               ;   in Loop: Header=BB202_16 Depth=3
	v_add_u32_e32 v23, 1, v23
	v_and_b32_e32 v23, 0x1ff, v23
	s_mov_b64 s[48:49], -1
                                        ; implicit-def: $vgpr24
; %bb.19:                               ;   in Loop: Header=BB202_16 Depth=3
	s_andn2_saveexec_b64 s[50:51], s[50:51]
	s_cbranch_execz .LBB202_23
; %bb.20:                               ;   in Loop: Header=BB202_16 Depth=3
	v_mov_b32_e32 v25, s33
	ds_cmpst_rtn_b32 v25, v24, v25, v22
	s_mov_b64 s[52:53], -1
	s_waitcnt lgkmcnt(0)
	v_cmp_eq_u32_e32 vcc, s33, v25
	s_and_saveexec_b64 s[54:55], vcc
	s_cbranch_execz .LBB202_22
; %bb.21:                               ;   in Loop: Header=BB202_16 Depth=3
	v_lshl_add_u32 v24, v23, 2, v24
	ds_add_f64 v24, v[14:15] offset:2048
	s_xor_b64 s[52:53], exec, -1
.LBB202_22:                             ;   in Loop: Header=BB202_16 Depth=3
	s_or_b64 exec, exec, s[54:55]
	s_andn2_b64 s[48:49], s[48:49], exec
	s_and_b64 s[52:53], s[52:53], exec
	s_or_b64 s[48:49], s[48:49], s[52:53]
.LBB202_23:                             ;   in Loop: Header=BB202_16 Depth=3
	s_or_b64 exec, exec, s[50:51]
	s_and_b64 s[48:49], s[48:49], exec
                                        ; implicit-def: $vgpr24
.LBB202_24:                             ;   in Loop: Header=BB202_16 Depth=3
	s_andn2_saveexec_b64 s[46:47], s[46:47]
	s_cbranch_execz .LBB202_15
; %bb.25:                               ;   in Loop: Header=BB202_16 Depth=3
	v_lshl_add_u32 v24, v23, 2, v24
	ds_add_f64 v24, v[14:15] offset:2048
	s_andn2_b64 s[48:49], s[48:49], exec
	s_branch .LBB202_15
.LBB202_26:
	s_or_b64 exec, exec, s[6:7]
.LBB202_27:
	s_andn2_b64 vcc, exec, s[2:3]
	s_cbranch_vccnz .LBB202_44
; %bb.28:
	s_waitcnt lgkmcnt(0)
	s_ashr_i32 s35, s34, 31
	s_lshl_b64 s[2:3], s[34:35], 3
	s_add_u32 s2, s8, s2
	s_addc_u32 s3, s9, s3
	s_load_dwordx4 s[4:7], s[2:3], 0x0
	s_waitcnt vmcnt(0)
	v_subrev_co_u32_e32 v4, vcc, s27, v0
	v_subb_co_u32_e64 v5, s[2:3], 0, 0, vcc
	s_waitcnt lgkmcnt(0)
	s_sub_u32 s2, s6, s27
	v_mov_b32_e32 v6, s5
	v_add_co_u32_e32 v4, vcc, s4, v4
	s_subb_u32 s3, s7, 0
	v_addc_co_u32_e32 v5, vcc, v6, v5, vcc
	v_cmp_gt_i64_e32 vcc, s[2:3], v[4:5]
	s_and_saveexec_b64 s[4:5], vcc
	s_cbranch_execz .LBB202_43
; %bb.29:
	s_mov_b64 s[6:7], 0
	v_mov_b32_e32 v8, s11
	v_mov_b32_e32 v9, s13
	s_movk_i32 s11, 0x89
	s_branch .LBB202_31
.LBB202_30:                             ;   in Loop: Header=BB202_31 Depth=1
	s_or_b64 exec, exec, s[8:9]
	v_add_co_u32_e32 v4, vcc, 0x100, v4
	v_addc_co_u32_e32 v5, vcc, 0, v5, vcc
	v_cmp_le_i64_e32 vcc, s[2:3], v[4:5]
	s_or_b64 s[6:7], vcc, s[6:7]
	s_andn2_b64 exec, exec, s[6:7]
	s_cbranch_execz .LBB202_43
.LBB202_31:                             ; =>This Loop Header: Depth=1
                                        ;     Child Loop BB202_33 Depth 2
	v_lshlrev_b64 v[6:7], 2, v[4:5]
	v_add_co_u32_e32 v6, vcc, s10, v6
	v_addc_co_u32_e32 v7, vcc, v8, v7, vcc
	global_load_dword v10, v[6:7], off
	v_lshlrev_b64 v[6:7], 3, v[4:5]
	v_add_co_u32_e32 v6, vcc, s12, v6
	v_addc_co_u32_e32 v7, vcc, v9, v7, vcc
	global_load_dwordx2 v[6:7], v[6:7], off
	s_mov_b64 s[8:9], 0
	s_waitcnt vmcnt(1)
	v_subrev_u32_e32 v10, s27, v10
	v_mul_lo_u32 v11, v10, s11
	v_and_b32_e32 v11, 0x1ff, v11
	s_waitcnt vmcnt(0)
	v_mul_f64 v[6:7], v[2:3], v[6:7]
	s_branch .LBB202_33
.LBB202_32:                             ;   in Loop: Header=BB202_33 Depth=2
	s_or_b64 exec, exec, s[16:17]
	s_xor_b64 s[16:17], s[18:19], -1
	s_and_b64 s[16:17], exec, s[16:17]
	s_or_b64 s[8:9], s[16:17], s[8:9]
	s_andn2_b64 exec, exec, s[8:9]
	s_cbranch_execz .LBB202_30
.LBB202_33:                             ;   Parent Loop BB202_31 Depth=1
                                        ; =>  This Inner Loop Header: Depth=2
	v_lshl_add_u32 v12, v11, 2, 0
	ds_read_b32 v13, v12
                                        ; implicit-def: $sgpr18_sgpr19
	s_waitcnt lgkmcnt(0)
	v_cmp_ne_u32_e32 vcc, v13, v10
	s_and_saveexec_b64 s[16:17], vcc
	s_xor_b64 s[16:17], exec, s[16:17]
	s_cbranch_execz .LBB202_41
; %bb.34:                               ;   in Loop: Header=BB202_33 Depth=2
	v_cmp_ne_u32_e32 vcc, s33, v13
                                        ; implicit-def: $sgpr18_sgpr19
	s_and_saveexec_b64 s[20:21], vcc
	s_xor_b64 s[20:21], exec, s[20:21]
; %bb.35:                               ;   in Loop: Header=BB202_33 Depth=2
	v_add_u32_e32 v11, 1, v11
	v_and_b32_e32 v11, 0x1ff, v11
	s_mov_b64 s[18:19], -1
                                        ; implicit-def: $vgpr12
; %bb.36:                               ;   in Loop: Header=BB202_33 Depth=2
	s_andn2_saveexec_b64 s[20:21], s[20:21]
	s_cbranch_execz .LBB202_40
; %bb.37:                               ;   in Loop: Header=BB202_33 Depth=2
	v_mov_b32_e32 v13, s33
	ds_cmpst_rtn_b32 v13, v12, v13, v10
	s_mov_b64 s[22:23], -1
	s_waitcnt lgkmcnt(0)
	v_cmp_eq_u32_e32 vcc, s33, v13
	s_and_saveexec_b64 s[24:25], vcc
	s_cbranch_execz .LBB202_39
; %bb.38:                               ;   in Loop: Header=BB202_33 Depth=2
	v_lshl_add_u32 v12, v11, 2, v12
	ds_add_f64 v12, v[6:7] offset:2048
	s_xor_b64 s[22:23], exec, -1
.LBB202_39:                             ;   in Loop: Header=BB202_33 Depth=2
	s_or_b64 exec, exec, s[24:25]
	s_andn2_b64 s[18:19], s[18:19], exec
	s_and_b64 s[22:23], s[22:23], exec
	s_or_b64 s[18:19], s[18:19], s[22:23]
.LBB202_40:                             ;   in Loop: Header=BB202_33 Depth=2
	s_or_b64 exec, exec, s[20:21]
	s_and_b64 s[18:19], s[18:19], exec
                                        ; implicit-def: $vgpr12
.LBB202_41:                             ;   in Loop: Header=BB202_33 Depth=2
	s_andn2_saveexec_b64 s[16:17], s[16:17]
	s_cbranch_execz .LBB202_32
; %bb.42:                               ;   in Loop: Header=BB202_33 Depth=2
	v_lshl_add_u32 v12, v11, 2, v12
	ds_add_f64 v12, v[6:7] offset:2048
	s_andn2_b64 s[18:19], s[18:19], exec
	s_branch .LBB202_32
.LBB202_43:
	s_or_b64 exec, exec, s[4:5]
.LBB202_44:
	s_waitcnt lgkmcnt(0)
	s_barrier
	s_and_saveexec_b64 s[8:9], s[0:1]
	s_cbranch_execz .LBB202_57
; %bb.45:
	s_waitcnt vmcnt(0)
	v_mbcnt_lo_u32_b32 v2, -1, 0
	v_mbcnt_hi_u32_b32 v2, -1, v2
	v_lshrrev_b32_e32 v4, 4, v0
	v_sub_u32_e32 v2, 63, v2
	v_and_b32_e32 v4, 12, v4
	s_movk_i32 s0, 0xff
	s_movk_i32 s4, 0x7f
	;; [unrolled: 1-line block ×3, first 2 shown]
	v_mov_b32_e32 v6, 0
	v_lshrrev_b64 v[2:3], v2, -1
	v_add_u32_e32 v7, 0, v4
	v_cmp_eq_u32_e64 s[0:1], s0, v0
	v_cmp_lt_u32_e64 s[2:3], 63, v0
	v_cmp_lt_u32_e64 s[4:5], s4, v0
	;; [unrolled: 1-line block ×3, first 2 shown]
	v_add_u32_e32 v8, 0x800, v16
	v_or_b32_e32 v9, 0xffffff00, v0
	s_mov_b64 s[10:11], 0
	v_mov_b32_e32 v10, 0
	s_branch .LBB202_47
.LBB202_46:                             ;   in Loop: Header=BB202_47 Depth=1
	s_or_b64 exec, exec, s[12:13]
	s_waitcnt lgkmcnt(0)
	s_barrier
	ds_read_b32 v4, v6 offset:6156
	v_add_co_u32_e32 v9, vcc, 0x100, v9
	s_xor_b64 s[12:13], vcc, -1
	s_and_b64 s[12:13], exec, s[12:13]
	v_add_u32_e32 v8, 0x800, v8
	s_waitcnt lgkmcnt(0)
	v_add_u32_e32 v10, v4, v10
	s_or_b64 s[10:11], s[12:13], s[10:11]
	v_add_u32_e32 v1, 0x400, v1
	s_andn2_b64 exec, exec, s[10:11]
	s_cbranch_execz .LBB202_57
.LBB202_47:                             ; =>This Inner Loop Header: Depth=1
	ds_read_b32 v11, v1
	ds_read_b64 v[4:5], v8
	s_waitcnt lgkmcnt(0)
	s_barrier
	v_cmp_gt_i32_e32 vcc, s33, v11
	v_and_b32_e32 v13, vcc_lo, v2
	s_bcnt1_i32_b64 s12, vcc
	v_and_b32_e32 v12, vcc_hi, v3
	v_bcnt_u32_b32 v13, v13, 0
	v_bcnt_u32_b32 v12, v12, v13
	v_mov_b32_e32 v13, s12
	ds_write_b32 v7, v13 offset:6144
	s_waitcnt lgkmcnt(0)
	s_barrier
	s_and_saveexec_b64 s[12:13], s[2:3]
	s_cbranch_execnz .LBB202_52
; %bb.48:                               ;   in Loop: Header=BB202_47 Depth=1
	s_or_b64 exec, exec, s[12:13]
	s_and_saveexec_b64 s[12:13], s[4:5]
	s_cbranch_execnz .LBB202_53
.LBB202_49:                             ;   in Loop: Header=BB202_47 Depth=1
	s_or_b64 exec, exec, s[12:13]
	s_and_saveexec_b64 s[12:13], s[6:7]
	s_cbranch_execnz .LBB202_54
.LBB202_50:                             ;   in Loop: Header=BB202_47 Depth=1
	s_or_b64 exec, exec, s[12:13]
	s_and_saveexec_b64 s[12:13], vcc
	s_cbranch_execnz .LBB202_55
.LBB202_51:                             ;   in Loop: Header=BB202_47 Depth=1
	s_or_b64 exec, exec, s[12:13]
	s_and_saveexec_b64 s[12:13], s[0:1]
	s_cbranch_execz .LBB202_46
	s_branch .LBB202_56
.LBB202_52:                             ;   in Loop: Header=BB202_47 Depth=1
	ds_read_b32 v13, v6 offset:6144
	s_waitcnt lgkmcnt(0)
	v_add_u32_e32 v12, v13, v12
	s_or_b64 exec, exec, s[12:13]
	s_and_saveexec_b64 s[12:13], s[4:5]
	s_cbranch_execz .LBB202_49
.LBB202_53:                             ;   in Loop: Header=BB202_47 Depth=1
	ds_read_b32 v13, v6 offset:6148
	s_waitcnt lgkmcnt(0)
	v_add_u32_e32 v12, v13, v12
	s_or_b64 exec, exec, s[12:13]
	s_and_saveexec_b64 s[12:13], s[6:7]
	s_cbranch_execz .LBB202_50
.LBB202_54:                             ;   in Loop: Header=BB202_47 Depth=1
	ds_read_b32 v13, v6 offset:6152
	s_waitcnt lgkmcnt(0)
	v_add_u32_e32 v12, v13, v12
	s_or_b64 exec, exec, s[12:13]
	s_and_saveexec_b64 s[12:13], vcc
	s_cbranch_execz .LBB202_51
.LBB202_55:                             ;   in Loop: Header=BB202_47 Depth=1
	v_add3_u32 v13, v10, -1, v12
	v_lshl_add_u32 v14, v13, 2, 0
	v_lshl_add_u32 v13, v13, 3, 0
	ds_write_b32 v14, v11
	ds_write_b64 v13, v[4:5] offset:2048
	s_or_b64 exec, exec, s[12:13]
	s_and_saveexec_b64 s[12:13], s[0:1]
	s_cbranch_execz .LBB202_46
.LBB202_56:                             ;   in Loop: Header=BB202_47 Depth=1
	ds_write_b32 v6, v12 offset:6156
	s_branch .LBB202_46
.LBB202_57:
	s_or_b64 exec, exec, s[8:9]
	s_ashr_i32 s35, s34, 31
	s_lshl_b64 s[0:1], s[34:35], 3
	s_add_u32 s0, s14, s0
	s_addc_u32 s1, s15, s1
	s_load_dwordx4 s[0:3], s[0:1], 0x0
	s_waitcnt lgkmcnt(0)
	s_sub_i32 s8, s2, s0
	v_cmp_gt_i32_e32 vcc, s8, v0
	s_and_saveexec_b64 s[4:5], vcc
	s_cbranch_execz .LBB202_67
; %bb.58:
	s_sub_u32 s4, s0, s26
	s_subb_u32 s5, s1, 0
	s_and_b32 s9, s8, 7
	s_sub_i32 s0, s0, s2
	s_cmp_lt_u32 s0, -7
	s_cselect_b64 s[0:1], -1, 0
	s_and_b32 s10, s8, -8
	s_cmp_lg_u32 s9, 0
	v_cndmask_b32_e64 v1, 0, 1, s[0:1]
	s_cselect_b64 s[2:3], -1, 0
	v_cmp_ne_u32_e64 s[0:1], 1, v1
	v_cndmask_b32_e64 v1, 0, 1, s[2:3]
	s_mov_b64 s[6:7], 0
	v_cmp_ne_u32_e64 s[2:3], 1, v1
	s_waitcnt vmcnt(0)
	s_branch .LBB202_60
.LBB202_59:                             ;   in Loop: Header=BB202_60 Depth=1
	v_lshlrev_b64 v[6:7], 2, v[4:5]
	v_mov_b32_e32 v8, s29
	v_add_co_u32_e32 v6, vcc, s28, v6
	s_waitcnt lgkmcnt(1)
	v_add_u32_e32 v1, s26, v1
	v_addc_co_u32_e32 v7, vcc, v8, v7, vcc
	v_lshlrev_b64 v[4:5], 3, v[4:5]
	global_store_dword v[6:7], v1, off
	v_mov_b32_e32 v1, s31
	v_add_co_u32_e32 v4, vcc, s30, v4
	v_addc_co_u32_e32 v5, vcc, v1, v5, vcc
	v_add_u32_e32 v0, 0x100, v0
	v_cmp_le_i32_e32 vcc, s8, v0
	s_or_b64 s[6:7], vcc, s[6:7]
	s_waitcnt lgkmcnt(0)
	global_store_dwordx2 v[4:5], v[2:3], off
	s_andn2_b64 exec, exec, s[6:7]
	s_cbranch_execz .LBB202_67
.LBB202_60:                             ; =>This Loop Header: Depth=1
                                        ;     Child Loop BB202_62 Depth 2
                                        ;     Child Loop BB202_66 Depth 2
	v_lshlrev_b32_e32 v1, 2, v0
	v_add_u32_e32 v2, 0, v1
	v_add_u32_e32 v3, v2, v1
	ds_read_b32 v1, v2
	ds_read_b64 v[2:3], v3 offset:2048
	s_and_b64 vcc, exec, s[0:1]
	v_pk_mov_b32 v[4:5], s[4:5], s[4:5] op_sel:[0,1]
	s_mov_b32 s11, 0
	s_cbranch_vccnz .LBB202_64
; %bb.61:                               ;   in Loop: Header=BB202_60 Depth=1
	s_mov_b32 s12, 0
	v_pk_mov_b32 v[4:5], s[4:5], s[4:5] op_sel:[0,1]
.LBB202_62:                             ;   Parent Loop BB202_60 Depth=1
                                        ; =>  This Inner Loop Header: Depth=2
	v_mov_b32_e32 v12, s12
	ds_read2_b32 v[6:7], v12 offset1:1
	ds_read2_b32 v[8:9], v12 offset0:2 offset1:3
	ds_read2_b32 v[10:11], v12 offset0:4 offset1:5
	;; [unrolled: 1-line block ×3, first 2 shown]
	s_add_i32 s11, s11, 8
	s_waitcnt lgkmcnt(3)
	v_cmp_gt_i32_e32 vcc, v1, v6
	v_cndmask_b32_e64 v6, 0, 1, vcc
	v_cmp_gt_i32_e32 vcc, v1, v7
	v_cndmask_b32_e64 v7, 0, 1, vcc
	s_waitcnt lgkmcnt(2)
	v_cmp_gt_i32_e32 vcc, v1, v8
	v_cndmask_b32_e64 v8, 0, 1, vcc
	v_cmp_gt_i32_e32 vcc, v1, v9
	v_cndmask_b32_e64 v9, 0, 1, vcc
	;; [unrolled: 5-line block ×4, first 2 shown]
	v_add_co_u32_e32 v4, vcc, v4, v6
	v_addc_co_u32_e32 v5, vcc, 0, v5, vcc
	v_add_co_u32_e32 v4, vcc, v4, v7
	v_addc_co_u32_e32 v5, vcc, 0, v5, vcc
	v_add_co_u32_e32 v4, vcc, v4, v8
	v_addc_co_u32_e32 v5, vcc, 0, v5, vcc
	v_add_co_u32_e32 v4, vcc, v4, v9
	v_addc_co_u32_e32 v5, vcc, 0, v5, vcc
	v_add_co_u32_e32 v4, vcc, v4, v10
	v_addc_co_u32_e32 v5, vcc, 0, v5, vcc
	v_add_co_u32_e32 v4, vcc, v4, v11
	v_addc_co_u32_e32 v5, vcc, 0, v5, vcc
	v_add_co_u32_e32 v4, vcc, v4, v12
	v_addc_co_u32_e32 v5, vcc, 0, v5, vcc
	s_add_i32 s12, s12, 32
	v_add_co_u32_e32 v4, vcc, v4, v13
	s_cmp_eq_u32 s10, s11
	v_addc_co_u32_e32 v5, vcc, 0, v5, vcc
	s_cbranch_scc0 .LBB202_62
; %bb.63:                               ;   in Loop: Header=BB202_60 Depth=1
	s_mov_b32 s11, s10
.LBB202_64:                             ;   in Loop: Header=BB202_60 Depth=1
	s_and_b64 vcc, exec, s[2:3]
	s_cbranch_vccnz .LBB202_59
; %bb.65:                               ;   in Loop: Header=BB202_60 Depth=1
	s_lshl_b32 s11, s11, 2
	s_add_i32 s11, s11, 0
	s_mov_b32 s12, s9
.LBB202_66:                             ;   Parent Loop BB202_60 Depth=1
                                        ; =>  This Inner Loop Header: Depth=2
	v_mov_b32_e32 v6, s11
	ds_read_b32 v6, v6
	s_add_i32 s11, s11, 4
	s_add_i32 s12, s12, -1
	s_cmp_lg_u32 s12, 0
	s_waitcnt lgkmcnt(0)
	v_cmp_gt_i32_e32 vcc, v1, v6
	v_cndmask_b32_e64 v6, 0, 1, vcc
	v_add_co_u32_e32 v4, vcc, v4, v6
	v_addc_co_u32_e32 v5, vcc, 0, v5, vcc
	s_cbranch_scc1 .LBB202_66
	s_branch .LBB202_59
.LBB202_67:
	s_endpgm
	.section	.rodata,"a",@progbits
	.p2align	6, 0x0
	.amdhsa_kernel _ZN9rocsparseL26csrgemm_fill_block_per_rowILj256ELj32ELj512ELj137ELj64ElidEEvT5_PKS1_S3_NS_24const_host_device_scalarIT6_EEPKT4_S3_PKS5_S9_S3_SB_S6_S9_S3_SB_S9_PS1_PS5_21rocsparse_index_base_SE_SE_SE_bbb
		.amdhsa_group_segment_fixed_size 0
		.amdhsa_private_segment_fixed_size 0
		.amdhsa_kernarg_size 156
		.amdhsa_user_sgpr_count 6
		.amdhsa_user_sgpr_private_segment_buffer 1
		.amdhsa_user_sgpr_dispatch_ptr 0
		.amdhsa_user_sgpr_queue_ptr 0
		.amdhsa_user_sgpr_kernarg_segment_ptr 1
		.amdhsa_user_sgpr_dispatch_id 0
		.amdhsa_user_sgpr_flat_scratch_init 0
		.amdhsa_user_sgpr_kernarg_preload_length 0
		.amdhsa_user_sgpr_kernarg_preload_offset 0
		.amdhsa_user_sgpr_private_segment_size 0
		.amdhsa_uses_dynamic_stack 0
		.amdhsa_system_sgpr_private_segment_wavefront_offset 0
		.amdhsa_system_sgpr_workgroup_id_x 1
		.amdhsa_system_sgpr_workgroup_id_y 0
		.amdhsa_system_sgpr_workgroup_id_z 0
		.amdhsa_system_sgpr_workgroup_info 0
		.amdhsa_system_vgpr_workitem_id 0
		.amdhsa_next_free_vgpr 26
		.amdhsa_next_free_sgpr 56
		.amdhsa_accum_offset 28
		.amdhsa_reserve_vcc 1
		.amdhsa_reserve_flat_scratch 0
		.amdhsa_float_round_mode_32 0
		.amdhsa_float_round_mode_16_64 0
		.amdhsa_float_denorm_mode_32 3
		.amdhsa_float_denorm_mode_16_64 3
		.amdhsa_dx10_clamp 1
		.amdhsa_ieee_mode 1
		.amdhsa_fp16_overflow 0
		.amdhsa_tg_split 0
		.amdhsa_exception_fp_ieee_invalid_op 0
		.amdhsa_exception_fp_denorm_src 0
		.amdhsa_exception_fp_ieee_div_zero 0
		.amdhsa_exception_fp_ieee_overflow 0
		.amdhsa_exception_fp_ieee_underflow 0
		.amdhsa_exception_fp_ieee_inexact 0
		.amdhsa_exception_int_div_zero 0
	.end_amdhsa_kernel
	.section	.text._ZN9rocsparseL26csrgemm_fill_block_per_rowILj256ELj32ELj512ELj137ELj64ElidEEvT5_PKS1_S3_NS_24const_host_device_scalarIT6_EEPKT4_S3_PKS5_S9_S3_SB_S6_S9_S3_SB_S9_PS1_PS5_21rocsparse_index_base_SE_SE_SE_bbb,"axG",@progbits,_ZN9rocsparseL26csrgemm_fill_block_per_rowILj256ELj32ELj512ELj137ELj64ElidEEvT5_PKS1_S3_NS_24const_host_device_scalarIT6_EEPKT4_S3_PKS5_S9_S3_SB_S6_S9_S3_SB_S9_PS1_PS5_21rocsparse_index_base_SE_SE_SE_bbb,comdat
.Lfunc_end202:
	.size	_ZN9rocsparseL26csrgemm_fill_block_per_rowILj256ELj32ELj512ELj137ELj64ElidEEvT5_PKS1_S3_NS_24const_host_device_scalarIT6_EEPKT4_S3_PKS5_S9_S3_SB_S6_S9_S3_SB_S9_PS1_PS5_21rocsparse_index_base_SE_SE_SE_bbb, .Lfunc_end202-_ZN9rocsparseL26csrgemm_fill_block_per_rowILj256ELj32ELj512ELj137ELj64ElidEEvT5_PKS1_S3_NS_24const_host_device_scalarIT6_EEPKT4_S3_PKS5_S9_S3_SB_S6_S9_S3_SB_S9_PS1_PS5_21rocsparse_index_base_SE_SE_SE_bbb
                                        ; -- End function
	.section	.AMDGPU.csdata,"",@progbits
; Kernel info:
; codeLenInByte = 2572
; NumSgprs: 60
; NumVgprs: 26
; NumAgprs: 0
; TotalNumVgprs: 26
; ScratchSize: 0
; MemoryBound: 0
; FloatMode: 240
; IeeeMode: 1
; LDSByteSize: 0 bytes/workgroup (compile time only)
; SGPRBlocks: 7
; VGPRBlocks: 3
; NumSGPRsForWavesPerEU: 60
; NumVGPRsForWavesPerEU: 26
; AccumOffset: 28
; Occupancy: 8
; WaveLimiterHint : 1
; COMPUTE_PGM_RSRC2:SCRATCH_EN: 0
; COMPUTE_PGM_RSRC2:USER_SGPR: 6
; COMPUTE_PGM_RSRC2:TRAP_HANDLER: 0
; COMPUTE_PGM_RSRC2:TGID_X_EN: 1
; COMPUTE_PGM_RSRC2:TGID_Y_EN: 0
; COMPUTE_PGM_RSRC2:TGID_Z_EN: 0
; COMPUTE_PGM_RSRC2:TIDIG_COMP_CNT: 0
; COMPUTE_PGM_RSRC3_GFX90A:ACCUM_OFFSET: 6
; COMPUTE_PGM_RSRC3_GFX90A:TG_SPLIT: 0
	.section	.text._ZN9rocsparseL26csrgemm_fill_block_per_rowILj512ELj32ELj1024ELj137ELj32ElidEEvT5_PKS1_S3_NS_24const_host_device_scalarIT6_EEPKT4_S3_PKS5_S9_S3_SB_S6_S9_S3_SB_S9_PS1_PS5_21rocsparse_index_base_SE_SE_SE_bbb,"axG",@progbits,_ZN9rocsparseL26csrgemm_fill_block_per_rowILj512ELj32ELj1024ELj137ELj32ElidEEvT5_PKS1_S3_NS_24const_host_device_scalarIT6_EEPKT4_S3_PKS5_S9_S3_SB_S6_S9_S3_SB_S9_PS1_PS5_21rocsparse_index_base_SE_SE_SE_bbb,comdat
	.globl	_ZN9rocsparseL26csrgemm_fill_block_per_rowILj512ELj32ELj1024ELj137ELj32ElidEEvT5_PKS1_S3_NS_24const_host_device_scalarIT6_EEPKT4_S3_PKS5_S9_S3_SB_S6_S9_S3_SB_S9_PS1_PS5_21rocsparse_index_base_SE_SE_SE_bbb ; -- Begin function _ZN9rocsparseL26csrgemm_fill_block_per_rowILj512ELj32ELj1024ELj137ELj32ElidEEvT5_PKS1_S3_NS_24const_host_device_scalarIT6_EEPKT4_S3_PKS5_S9_S3_SB_S6_S9_S3_SB_S9_PS1_PS5_21rocsparse_index_base_SE_SE_SE_bbb
	.p2align	8
	.type	_ZN9rocsparseL26csrgemm_fill_block_per_rowILj512ELj32ELj1024ELj137ELj32ElidEEvT5_PKS1_S3_NS_24const_host_device_scalarIT6_EEPKT4_S3_PKS5_S9_S3_SB_S6_S9_S3_SB_S9_PS1_PS5_21rocsparse_index_base_SE_SE_SE_bbb,@function
_ZN9rocsparseL26csrgemm_fill_block_per_rowILj512ELj32ELj1024ELj137ELj32ElidEEvT5_PKS1_S3_NS_24const_host_device_scalarIT6_EEPKT4_S3_PKS5_S9_S3_SB_S6_S9_S3_SB_S9_PS1_PS5_21rocsparse_index_base_SE_SE_SE_bbb: ; @_ZN9rocsparseL26csrgemm_fill_block_per_rowILj512ELj32ELj1024ELj137ELj32ElidEEvT5_PKS1_S3_NS_24const_host_device_scalarIT6_EEPKT4_S3_PKS5_S9_S3_SB_S6_S9_S3_SB_S9_PS1_PS5_21rocsparse_index_base_SE_SE_SE_bbb
; %bb.0:
	s_load_dword s7, s[4:5], 0x98
	s_load_dwordx4 s[44:47], s[4:5], 0x88
	s_load_dwordx2 s[0:1], s[4:5], 0x18
	s_load_dwordx2 s[24:25], s[4:5], 0x50
	s_waitcnt lgkmcnt(0)
	s_and_b32 s2, 1, s7
	s_bitcmp1_b32 s7, 16
	s_cselect_b64 s[26:27], -1, 0
	s_cmp_eq_u32 s2, 1
	s_cselect_b64 s[22:23], -1, 0
	s_and_b64 s[2:3], s[22:23], exec
	s_cselect_b32 s3, s1, 0
	s_cselect_b32 s2, s0, 0
	s_xor_b64 s[8:9], s[22:23], -1
	s_or_b64 s[8:9], s[8:9], s[26:27]
	s_and_b64 vcc, exec, s[8:9]
	v_pk_mov_b32 v[4:5], s[2:3], s[2:3] op_sel:[0,1]
	s_cbranch_vccnz .LBB203_2
; %bb.1:
	v_pk_mov_b32 v[2:3], s[0:1], s[0:1] op_sel:[0,1]
	flat_load_dwordx2 v[4:5], v[2:3]
.LBB203_2:
	s_load_dwordx4 s[48:51], s[4:5], 0x78
	s_load_dwordx8 s[36:43], s[4:5], 0x58
	s_load_dwordx4 s[0:3], s[4:5], 0x40
	s_load_dwordx4 s[16:19], s[4:5], 0x8
	s_load_dwordx8 s[8:15], s[4:5], 0x20
	s_bitcmp1_b32 s7, 8
	s_cselect_b64 s[20:21], -1, 0
	s_and_b64 s[28:29], s[20:21], exec
	s_cselect_b32 s29, s25, 0
	s_cselect_b32 s28, s24, 0
	s_xor_b64 s[30:31], s[20:21], -1
	s_or_b64 s[26:27], s[30:31], s[26:27]
	s_and_b64 vcc, exec, s[26:27]
	v_pk_mov_b32 v[2:3], s[28:29], s[28:29] op_sel:[0,1]
	s_cbranch_vccnz .LBB203_4
; %bb.3:
	v_pk_mov_b32 v[2:3], s[24:25], s[24:25] op_sel:[0,1]
	flat_load_dwordx2 v[2:3], v[2:3]
.LBB203_4:
	s_load_dword s33, s[4:5], 0x0
	v_lshl_add_u32 v1, v0, 3, 0
	v_mov_b32_e32 v6, 0
	v_add_u32_e32 v1, 0x1000, v1
	v_or_b32_e32 v16, 0xfffffe00, v0
	v_lshl_add_u32 v17, v0, 2, 0
	s_mov_b64 s[4:5], 0
	s_waitcnt lgkmcnt(0)
	v_mov_b32_e32 v8, s33
	v_mov_b32_e32 v7, v6
	;; [unrolled: 1-line block ×5, first 2 shown]
.LBB203_5:                              ; =>This Inner Loop Header: Depth=1
	v_add_co_u32_e32 v10, vcc, 0x200, v10
	s_xor_b64 s[24:25], vcc, -1
	s_and_b64 s[24:25], exec, s[24:25]
	ds_write_b32 v9, v8
	ds_write_b64 v11, v[6:7]
	v_add_u32_e32 v11, 0x1000, v11
	s_or_b64 s[4:5], s[24:25], s[4:5]
	v_add_u32_e32 v9, 0x800, v9
	s_andn2_b64 exec, exec, s[4:5]
	s_cbranch_execnz .LBB203_5
; %bb.6:
	s_or_b64 exec, exec, s[4:5]
	s_waitcnt lgkmcnt(0)
	s_barrier
	s_load_dword s4, s[16:17], 0x0
	s_mov_b32 s5, 0
	v_lshrrev_b32_e32 v18, 5, v0
	s_waitcnt lgkmcnt(0)
	s_add_i32 s4, s4, s6
	s_lshl_b64 s[4:5], s[4:5], 2
	s_add_u32 s4, s18, s4
	s_addc_u32 s5, s19, s5
	s_load_dword s34, s[4:5], 0x0
	s_and_b64 vcc, exec, s[22:23]
	s_cbranch_vccz .LBB203_26
; %bb.7:
	s_waitcnt lgkmcnt(0)
	s_ashr_i32 s35, s34, 31
	s_lshl_b64 s[4:5], s[34:35], 3
	s_add_u32 s4, s8, s4
	s_addc_u32 s5, s9, s5
	s_load_dwordx4 s[16:19], s[4:5], 0x0
	v_subrev_co_u32_e32 v6, vcc, s44, v18
	v_subb_co_u32_e64 v7, s[4:5], 0, 0, vcc
	s_waitcnt lgkmcnt(0)
	s_sub_u32 s4, s18, s44
	v_mov_b32_e32 v8, s17
	v_add_co_u32_e32 v6, vcc, s16, v6
	s_subb_u32 s5, s19, 0
	v_addc_co_u32_e32 v7, vcc, v8, v7, vcc
	v_cmp_gt_i64_e32 vcc, s[4:5], v[6:7]
	s_and_saveexec_b64 s[6:7], vcc
	s_cbranch_execz .LBB203_25
; %bb.8:
	v_and_b32_e32 v8, 31, v0
	v_subrev_co_u32_e32 v19, vcc, s45, v8
	s_mov_b32 s16, 0
	v_subb_co_u32_e64 v20, s[8:9], 0, 0, vcc
	s_mov_b32 s35, s45
	s_mov_b64 s[8:9], 0
	v_mov_b32_e32 v21, s11
	v_mov_b32_e32 v22, s15
	;; [unrolled: 1-line block ×3, first 2 shown]
	s_movk_i32 s11, 0x89
	s_branch .LBB203_10
.LBB203_9:                              ;   in Loop: Header=BB203_10 Depth=1
	s_or_b64 exec, exec, s[16:17]
	v_add_co_u32_e32 v6, vcc, 16, v6
	v_addc_co_u32_e32 v7, vcc, 0, v7, vcc
	v_cmp_le_i64_e32 vcc, s[4:5], v[6:7]
	s_or_b64 s[8:9], vcc, s[8:9]
	s_andn2_b64 exec, exec, s[8:9]
	s_cbranch_execz .LBB203_25
.LBB203_10:                             ; =>This Loop Header: Depth=1
                                        ;     Child Loop BB203_13 Depth 2
                                        ;       Child Loop BB203_15 Depth 3
	v_lshlrev_b64 v[8:9], 2, v[6:7]
	v_add_co_u32_e32 v8, vcc, s10, v8
	v_addc_co_u32_e32 v9, vcc, v21, v9, vcc
	global_load_dword v8, v[8:9], off
	s_waitcnt vmcnt(0)
	v_subrev_u32_e32 v8, s44, v8
	v_ashrrev_i32_e32 v9, 31, v8
	v_lshlrev_b64 v[8:9], 3, v[8:9]
	v_add_co_u32_e32 v8, vcc, s14, v8
	v_addc_co_u32_e32 v9, vcc, v22, v9, vcc
	global_load_dwordx4 v[10:13], v[8:9], off
	s_waitcnt vmcnt(0)
	v_subrev_co_u32_e32 v8, vcc, s35, v12
	v_subb_co_u32_e32 v9, vcc, v13, v23, vcc
	v_add_co_u32_e32 v10, vcc, v10, v19
	v_addc_co_u32_e32 v11, vcc, v11, v20, vcc
	v_cmp_lt_i64_e32 vcc, v[10:11], v[8:9]
	s_and_saveexec_b64 s[16:17], vcc
	s_cbranch_execz .LBB203_9
; %bb.11:                               ;   in Loop: Header=BB203_10 Depth=1
	v_lshlrev_b64 v[12:13], 3, v[6:7]
	v_mov_b32_e32 v14, s13
	v_add_co_u32_e32 v12, vcc, s12, v12
	v_addc_co_u32_e32 v13, vcc, v14, v13, vcc
	global_load_dwordx2 v[12:13], v[12:13], off
	s_mov_b64 s[18:19], 0
	s_waitcnt vmcnt(0)
	v_mul_f64 v[12:13], v[4:5], v[12:13]
	s_branch .LBB203_13
.LBB203_12:                             ;   in Loop: Header=BB203_13 Depth=2
	s_or_b64 exec, exec, s[22:23]
	v_add_co_u32_e32 v10, vcc, 32, v10
	v_addc_co_u32_e32 v11, vcc, 0, v11, vcc
	v_cmp_ge_i64_e32 vcc, v[10:11], v[8:9]
	s_or_b64 s[18:19], vcc, s[18:19]
	s_andn2_b64 exec, exec, s[18:19]
	s_cbranch_execz .LBB203_9
.LBB203_13:                             ;   Parent Loop BB203_10 Depth=1
                                        ; =>  This Loop Header: Depth=2
                                        ;       Child Loop BB203_15 Depth 3
	v_lshlrev_b64 v[14:15], 2, v[10:11]
	v_mov_b32_e32 v24, s1
	v_add_co_u32_e32 v14, vcc, s0, v14
	v_addc_co_u32_e32 v15, vcc, v24, v15, vcc
	global_load_dword v24, v[14:15], off
	v_lshlrev_b64 v[14:15], 3, v[10:11]
	v_mov_b32_e32 v25, s3
	v_add_co_u32_e32 v14, vcc, s2, v14
	v_addc_co_u32_e32 v15, vcc, v25, v15, vcc
	global_load_dwordx2 v[14:15], v[14:15], off
	s_mov_b64 s[22:23], 0
	s_waitcnt vmcnt(1)
	v_subrev_u32_e32 v24, s45, v24
	v_mul_lo_u32 v25, v24, s11
	v_and_b32_e32 v25, 0x3ff, v25
	s_waitcnt vmcnt(0)
	v_mul_f64 v[14:15], v[12:13], v[14:15]
	s_branch .LBB203_15
.LBB203_14:                             ;   in Loop: Header=BB203_15 Depth=3
	s_or_b64 exec, exec, s[24:25]
	s_xor_b64 s[24:25], s[26:27], -1
	s_and_b64 s[24:25], exec, s[24:25]
	s_or_b64 s[22:23], s[24:25], s[22:23]
	s_andn2_b64 exec, exec, s[22:23]
	s_cbranch_execz .LBB203_12
.LBB203_15:                             ;   Parent Loop BB203_10 Depth=1
                                        ;     Parent Loop BB203_13 Depth=2
                                        ; =>    This Inner Loop Header: Depth=3
	v_lshl_add_u32 v26, v25, 2, 0
	ds_read_b32 v27, v26
                                        ; implicit-def: $sgpr26_sgpr27
	s_waitcnt lgkmcnt(0)
	v_cmp_ne_u32_e32 vcc, v27, v24
	s_and_saveexec_b64 s[24:25], vcc
	s_xor_b64 s[24:25], exec, s[24:25]
	s_cbranch_execz .LBB203_23
; %bb.16:                               ;   in Loop: Header=BB203_15 Depth=3
	v_cmp_ne_u32_e32 vcc, s33, v27
                                        ; implicit-def: $sgpr26_sgpr27
	s_and_saveexec_b64 s[28:29], vcc
	s_xor_b64 s[28:29], exec, s[28:29]
; %bb.17:                               ;   in Loop: Header=BB203_15 Depth=3
	v_add_u32_e32 v25, 1, v25
	v_and_b32_e32 v25, 0x3ff, v25
	s_mov_b64 s[26:27], -1
                                        ; implicit-def: $vgpr26
; %bb.18:                               ;   in Loop: Header=BB203_15 Depth=3
	s_andn2_saveexec_b64 s[28:29], s[28:29]
	s_cbranch_execz .LBB203_22
; %bb.19:                               ;   in Loop: Header=BB203_15 Depth=3
	v_mov_b32_e32 v27, s33
	ds_cmpst_rtn_b32 v27, v26, v27, v24
	s_mov_b64 s[30:31], -1
	s_waitcnt lgkmcnt(0)
	v_cmp_eq_u32_e32 vcc, s33, v27
	s_and_saveexec_b64 s[52:53], vcc
	s_cbranch_execz .LBB203_21
; %bb.20:                               ;   in Loop: Header=BB203_15 Depth=3
	v_lshl_add_u32 v26, v25, 2, v26
	ds_add_f64 v26, v[14:15] offset:4096
	s_xor_b64 s[30:31], exec, -1
.LBB203_21:                             ;   in Loop: Header=BB203_15 Depth=3
	s_or_b64 exec, exec, s[52:53]
	s_andn2_b64 s[26:27], s[26:27], exec
	s_and_b64 s[30:31], s[30:31], exec
	s_or_b64 s[26:27], s[26:27], s[30:31]
.LBB203_22:                             ;   in Loop: Header=BB203_15 Depth=3
	s_or_b64 exec, exec, s[28:29]
	s_and_b64 s[26:27], s[26:27], exec
                                        ; implicit-def: $vgpr26
.LBB203_23:                             ;   in Loop: Header=BB203_15 Depth=3
	s_andn2_saveexec_b64 s[24:25], s[24:25]
	s_cbranch_execz .LBB203_14
; %bb.24:                               ;   in Loop: Header=BB203_15 Depth=3
	v_lshl_add_u32 v26, v25, 2, v26
	ds_add_f64 v26, v[14:15] offset:4096
	s_andn2_b64 s[26:27], s[26:27], exec
	s_branch .LBB203_14
.LBB203_25:
	s_or_b64 exec, exec, s[6:7]
.LBB203_26:
	s_andn2_b64 vcc, exec, s[20:21]
	s_cbranch_vccnz .LBB203_43
; %bb.27:
	s_waitcnt lgkmcnt(0)
	s_ashr_i32 s35, s34, 31
	s_lshl_b64 s[0:1], s[34:35], 3
	s_add_u32 s0, s36, s0
	s_addc_u32 s1, s37, s1
	s_load_dwordx4 s[4:7], s[0:1], 0x0
	s_waitcnt vmcnt(0)
	v_subrev_co_u32_e32 v4, vcc, s47, v0
	v_subb_co_u32_e64 v5, s[0:1], 0, 0, vcc
	s_waitcnt lgkmcnt(0)
	s_sub_u32 s0, s6, s47
	v_mov_b32_e32 v6, s5
	v_add_co_u32_e32 v4, vcc, s4, v4
	s_subb_u32 s1, s7, 0
	v_addc_co_u32_e32 v5, vcc, v6, v5, vcc
	v_cmp_gt_i64_e32 vcc, s[0:1], v[4:5]
	s_and_saveexec_b64 s[2:3], vcc
	s_cbranch_execz .LBB203_42
; %bb.28:
	s_mov_b64 s[4:5], 0
	v_mov_b32_e32 v8, s39
	v_mov_b32_e32 v9, s41
	s_movk_i32 s18, 0x89
	s_branch .LBB203_30
.LBB203_29:                             ;   in Loop: Header=BB203_30 Depth=1
	s_or_b64 exec, exec, s[6:7]
	v_add_co_u32_e32 v4, vcc, 0x200, v4
	v_addc_co_u32_e32 v5, vcc, 0, v5, vcc
	v_cmp_le_i64_e32 vcc, s[0:1], v[4:5]
	s_or_b64 s[4:5], vcc, s[4:5]
	s_andn2_b64 exec, exec, s[4:5]
	s_cbranch_execz .LBB203_42
.LBB203_30:                             ; =>This Loop Header: Depth=1
                                        ;     Child Loop BB203_32 Depth 2
	v_lshlrev_b64 v[6:7], 2, v[4:5]
	v_add_co_u32_e32 v6, vcc, s38, v6
	v_addc_co_u32_e32 v7, vcc, v8, v7, vcc
	global_load_dword v10, v[6:7], off
	v_lshlrev_b64 v[6:7], 3, v[4:5]
	v_add_co_u32_e32 v6, vcc, s40, v6
	v_addc_co_u32_e32 v7, vcc, v9, v7, vcc
	global_load_dwordx2 v[6:7], v[6:7], off
	s_mov_b64 s[6:7], 0
	s_waitcnt vmcnt(1)
	v_subrev_u32_e32 v10, s47, v10
	v_mul_lo_u32 v11, v10, s18
	v_and_b32_e32 v11, 0x3ff, v11
	s_waitcnt vmcnt(0)
	v_mul_f64 v[6:7], v[2:3], v[6:7]
	s_branch .LBB203_32
.LBB203_31:                             ;   in Loop: Header=BB203_32 Depth=2
	s_or_b64 exec, exec, s[8:9]
	s_xor_b64 s[8:9], s[10:11], -1
	s_and_b64 s[8:9], exec, s[8:9]
	s_or_b64 s[6:7], s[8:9], s[6:7]
	s_andn2_b64 exec, exec, s[6:7]
	s_cbranch_execz .LBB203_29
.LBB203_32:                             ;   Parent Loop BB203_30 Depth=1
                                        ; =>  This Inner Loop Header: Depth=2
	v_lshl_add_u32 v12, v11, 2, 0
	ds_read_b32 v13, v12
                                        ; implicit-def: $sgpr10_sgpr11
	s_waitcnt lgkmcnt(0)
	v_cmp_ne_u32_e32 vcc, v13, v10
	s_and_saveexec_b64 s[8:9], vcc
	s_xor_b64 s[8:9], exec, s[8:9]
	s_cbranch_execz .LBB203_40
; %bb.33:                               ;   in Loop: Header=BB203_32 Depth=2
	v_cmp_ne_u32_e32 vcc, s33, v13
                                        ; implicit-def: $sgpr10_sgpr11
	s_and_saveexec_b64 s[12:13], vcc
	s_xor_b64 s[12:13], exec, s[12:13]
; %bb.34:                               ;   in Loop: Header=BB203_32 Depth=2
	v_add_u32_e32 v11, 1, v11
	v_and_b32_e32 v11, 0x3ff, v11
	s_mov_b64 s[10:11], -1
                                        ; implicit-def: $vgpr12
; %bb.35:                               ;   in Loop: Header=BB203_32 Depth=2
	s_andn2_saveexec_b64 s[12:13], s[12:13]
	s_cbranch_execz .LBB203_39
; %bb.36:                               ;   in Loop: Header=BB203_32 Depth=2
	v_mov_b32_e32 v13, s33
	ds_cmpst_rtn_b32 v13, v12, v13, v10
	s_mov_b64 s[14:15], -1
	s_waitcnt lgkmcnt(0)
	v_cmp_eq_u32_e32 vcc, s33, v13
	s_and_saveexec_b64 s[16:17], vcc
	s_cbranch_execz .LBB203_38
; %bb.37:                               ;   in Loop: Header=BB203_32 Depth=2
	v_lshl_add_u32 v12, v11, 2, v12
	ds_add_f64 v12, v[6:7] offset:4096
	s_xor_b64 s[14:15], exec, -1
.LBB203_38:                             ;   in Loop: Header=BB203_32 Depth=2
	s_or_b64 exec, exec, s[16:17]
	s_andn2_b64 s[10:11], s[10:11], exec
	s_and_b64 s[14:15], s[14:15], exec
	s_or_b64 s[10:11], s[10:11], s[14:15]
.LBB203_39:                             ;   in Loop: Header=BB203_32 Depth=2
	s_or_b64 exec, exec, s[12:13]
	s_and_b64 s[10:11], s[10:11], exec
                                        ; implicit-def: $vgpr12
.LBB203_40:                             ;   in Loop: Header=BB203_32 Depth=2
	s_andn2_saveexec_b64 s[8:9], s[8:9]
	s_cbranch_execz .LBB203_31
; %bb.41:                               ;   in Loop: Header=BB203_32 Depth=2
	v_lshl_add_u32 v12, v11, 2, v12
	ds_add_f64 v12, v[6:7] offset:4096
	s_andn2_b64 s[10:11], s[10:11], exec
	s_branch .LBB203_31
.LBB203_42:
	s_or_b64 exec, exec, s[2:3]
.LBB203_43:
	s_waitcnt vmcnt(0)
	v_mbcnt_lo_u32_b32 v2, -1, 0
	v_mbcnt_hi_u32_b32 v2, -1, v2
	v_sub_u32_e32 v2, 63, v2
	s_movk_i32 s0, 0x1ff
	s_movk_i32 s6, 0x5f
	;; [unrolled: 1-line block ×14, first 2 shown]
	v_mov_b32_e32 v6, 0
	v_lshrrev_b64 v[2:3], v2, -1
	v_lshl_add_u32 v7, v18, 2, 0
	v_cmp_eq_u32_e64 s[0:1], s0, v0
	v_cmp_lt_u32_e64 s[2:3], 31, v0
	v_cmp_lt_u32_e64 s[4:5], 63, v0
	v_cmp_lt_u32_e64 s[6:7], s6, v0
	v_cmp_lt_u32_e64 s[8:9], s8, v0
	v_cmp_lt_u32_e64 s[10:11], s10, v0
	v_cmp_lt_u32_e64 s[12:13], s12, v0
	v_cmp_lt_u32_e64 s[14:15], s14, v0
	v_cmp_lt_u32_e64 s[16:17], s16, v0
	v_cmp_lt_u32_e64 s[18:19], s18, v0
	v_cmp_lt_u32_e64 s[20:21], s20, v0
	v_cmp_lt_u32_e64 s[22:23], s22, v0
	v_cmp_lt_u32_e64 s[24:25], s24, v0
	v_cmp_lt_u32_e64 s[26:27], s26, v0
	v_cmp_lt_u32_e64 s[28:29], s28, v0
	v_cmp_lt_u32_e64 s[30:31], s30, v0
	s_mov_b64 s[36:37], 0
	v_mov_b32_e32 v8, 0
	s_waitcnt lgkmcnt(0)
	s_barrier
	s_branch .LBB203_45
.LBB203_44:                             ;   in Loop: Header=BB203_45 Depth=1
	s_or_b64 exec, exec, s[38:39]
	s_waitcnt lgkmcnt(0)
	s_barrier
	ds_read_b32 v4, v6 offset:12348
	v_add_co_u32_e32 v16, vcc, 0x200, v16
	s_xor_b64 s[38:39], vcc, -1
	s_and_b64 s[38:39], exec, s[38:39]
	v_add_u32_e32 v1, 0x1000, v1
	s_waitcnt lgkmcnt(0)
	v_add_u32_e32 v8, v4, v8
	s_or_b64 s[36:37], s[38:39], s[36:37]
	v_add_u32_e32 v17, 0x800, v17
	s_andn2_b64 exec, exec, s[36:37]
	s_cbranch_execz .LBB203_79
.LBB203_45:                             ; =>This Inner Loop Header: Depth=1
	ds_read_b32 v9, v17
	ds_read_b64 v[4:5], v1
	s_waitcnt lgkmcnt(0)
	s_barrier
	v_cmp_gt_i32_e32 vcc, s33, v9
	v_and_b32_e32 v11, vcc_lo, v2
	s_bcnt1_i32_b64 s35, vcc
	v_and_b32_e32 v10, vcc_hi, v3
	v_bcnt_u32_b32 v11, v11, 0
	v_bcnt_u32_b32 v10, v10, v11
	v_mov_b32_e32 v11, s35
	ds_write_b32 v7, v11 offset:12288
	s_waitcnt lgkmcnt(0)
	s_barrier
	s_and_saveexec_b64 s[38:39], s[2:3]
	s_cbranch_execnz .LBB203_62
; %bb.46:                               ;   in Loop: Header=BB203_45 Depth=1
	s_or_b64 exec, exec, s[38:39]
	s_and_saveexec_b64 s[38:39], s[4:5]
	s_cbranch_execnz .LBB203_63
.LBB203_47:                             ;   in Loop: Header=BB203_45 Depth=1
	s_or_b64 exec, exec, s[38:39]
	s_and_saveexec_b64 s[38:39], s[6:7]
	s_cbranch_execnz .LBB203_64
.LBB203_48:                             ;   in Loop: Header=BB203_45 Depth=1
	s_or_b64 exec, exec, s[38:39]
	s_and_saveexec_b64 s[38:39], s[8:9]
	s_cbranch_execnz .LBB203_65
.LBB203_49:                             ;   in Loop: Header=BB203_45 Depth=1
	s_or_b64 exec, exec, s[38:39]
	s_and_saveexec_b64 s[38:39], s[10:11]
	s_cbranch_execnz .LBB203_66
.LBB203_50:                             ;   in Loop: Header=BB203_45 Depth=1
	s_or_b64 exec, exec, s[38:39]
	s_and_saveexec_b64 s[38:39], s[12:13]
	s_cbranch_execnz .LBB203_67
.LBB203_51:                             ;   in Loop: Header=BB203_45 Depth=1
	s_or_b64 exec, exec, s[38:39]
	s_and_saveexec_b64 s[38:39], s[14:15]
	s_cbranch_execnz .LBB203_68
.LBB203_52:                             ;   in Loop: Header=BB203_45 Depth=1
	s_or_b64 exec, exec, s[38:39]
	s_and_saveexec_b64 s[38:39], s[16:17]
	s_cbranch_execnz .LBB203_69
.LBB203_53:                             ;   in Loop: Header=BB203_45 Depth=1
	s_or_b64 exec, exec, s[38:39]
	s_and_saveexec_b64 s[38:39], s[18:19]
	s_cbranch_execnz .LBB203_70
.LBB203_54:                             ;   in Loop: Header=BB203_45 Depth=1
	s_or_b64 exec, exec, s[38:39]
	s_and_saveexec_b64 s[38:39], s[20:21]
	s_cbranch_execnz .LBB203_71
.LBB203_55:                             ;   in Loop: Header=BB203_45 Depth=1
	s_or_b64 exec, exec, s[38:39]
	s_and_saveexec_b64 s[38:39], s[22:23]
	s_cbranch_execnz .LBB203_72
.LBB203_56:                             ;   in Loop: Header=BB203_45 Depth=1
	s_or_b64 exec, exec, s[38:39]
	s_and_saveexec_b64 s[38:39], s[24:25]
	s_cbranch_execnz .LBB203_73
.LBB203_57:                             ;   in Loop: Header=BB203_45 Depth=1
	s_or_b64 exec, exec, s[38:39]
	s_and_saveexec_b64 s[38:39], s[26:27]
	s_cbranch_execnz .LBB203_74
.LBB203_58:                             ;   in Loop: Header=BB203_45 Depth=1
	s_or_b64 exec, exec, s[38:39]
	s_and_saveexec_b64 s[38:39], s[28:29]
	s_cbranch_execnz .LBB203_75
.LBB203_59:                             ;   in Loop: Header=BB203_45 Depth=1
	s_or_b64 exec, exec, s[38:39]
	s_and_saveexec_b64 s[38:39], s[30:31]
	s_cbranch_execnz .LBB203_76
.LBB203_60:                             ;   in Loop: Header=BB203_45 Depth=1
	s_or_b64 exec, exec, s[38:39]
	s_and_saveexec_b64 s[38:39], vcc
	s_cbranch_execnz .LBB203_77
.LBB203_61:                             ;   in Loop: Header=BB203_45 Depth=1
	s_or_b64 exec, exec, s[38:39]
	s_and_saveexec_b64 s[38:39], s[0:1]
	s_cbranch_execz .LBB203_44
	s_branch .LBB203_78
.LBB203_62:                             ;   in Loop: Header=BB203_45 Depth=1
	ds_read_b32 v11, v6 offset:12288
	s_waitcnt lgkmcnt(0)
	v_add_u32_e32 v10, v11, v10
	s_or_b64 exec, exec, s[38:39]
	s_and_saveexec_b64 s[38:39], s[4:5]
	s_cbranch_execz .LBB203_47
.LBB203_63:                             ;   in Loop: Header=BB203_45 Depth=1
	ds_read_b32 v11, v6 offset:12292
	s_waitcnt lgkmcnt(0)
	v_add_u32_e32 v10, v11, v10
	s_or_b64 exec, exec, s[38:39]
	s_and_saveexec_b64 s[38:39], s[6:7]
	s_cbranch_execz .LBB203_48
.LBB203_64:                             ;   in Loop: Header=BB203_45 Depth=1
	ds_read_b32 v11, v6 offset:12296
	s_waitcnt lgkmcnt(0)
	v_add_u32_e32 v10, v11, v10
	s_or_b64 exec, exec, s[38:39]
	s_and_saveexec_b64 s[38:39], s[8:9]
	s_cbranch_execz .LBB203_49
.LBB203_65:                             ;   in Loop: Header=BB203_45 Depth=1
	ds_read_b32 v11, v6 offset:12300
	s_waitcnt lgkmcnt(0)
	v_add_u32_e32 v10, v11, v10
	s_or_b64 exec, exec, s[38:39]
	s_and_saveexec_b64 s[38:39], s[10:11]
	s_cbranch_execz .LBB203_50
.LBB203_66:                             ;   in Loop: Header=BB203_45 Depth=1
	ds_read_b32 v11, v6 offset:12304
	s_waitcnt lgkmcnt(0)
	v_add_u32_e32 v10, v11, v10
	s_or_b64 exec, exec, s[38:39]
	s_and_saveexec_b64 s[38:39], s[12:13]
	s_cbranch_execz .LBB203_51
.LBB203_67:                             ;   in Loop: Header=BB203_45 Depth=1
	ds_read_b32 v11, v6 offset:12308
	s_waitcnt lgkmcnt(0)
	v_add_u32_e32 v10, v11, v10
	s_or_b64 exec, exec, s[38:39]
	s_and_saveexec_b64 s[38:39], s[14:15]
	s_cbranch_execz .LBB203_52
.LBB203_68:                             ;   in Loop: Header=BB203_45 Depth=1
	ds_read_b32 v11, v6 offset:12312
	s_waitcnt lgkmcnt(0)
	v_add_u32_e32 v10, v11, v10
	s_or_b64 exec, exec, s[38:39]
	s_and_saveexec_b64 s[38:39], s[16:17]
	s_cbranch_execz .LBB203_53
.LBB203_69:                             ;   in Loop: Header=BB203_45 Depth=1
	ds_read_b32 v11, v6 offset:12316
	s_waitcnt lgkmcnt(0)
	v_add_u32_e32 v10, v11, v10
	s_or_b64 exec, exec, s[38:39]
	s_and_saveexec_b64 s[38:39], s[18:19]
	s_cbranch_execz .LBB203_54
.LBB203_70:                             ;   in Loop: Header=BB203_45 Depth=1
	ds_read_b32 v11, v6 offset:12320
	s_waitcnt lgkmcnt(0)
	v_add_u32_e32 v10, v11, v10
	s_or_b64 exec, exec, s[38:39]
	s_and_saveexec_b64 s[38:39], s[20:21]
	s_cbranch_execz .LBB203_55
.LBB203_71:                             ;   in Loop: Header=BB203_45 Depth=1
	ds_read_b32 v11, v6 offset:12324
	s_waitcnt lgkmcnt(0)
	v_add_u32_e32 v10, v11, v10
	s_or_b64 exec, exec, s[38:39]
	s_and_saveexec_b64 s[38:39], s[22:23]
	s_cbranch_execz .LBB203_56
.LBB203_72:                             ;   in Loop: Header=BB203_45 Depth=1
	ds_read_b32 v11, v6 offset:12328
	s_waitcnt lgkmcnt(0)
	v_add_u32_e32 v10, v11, v10
	s_or_b64 exec, exec, s[38:39]
	s_and_saveexec_b64 s[38:39], s[24:25]
	s_cbranch_execz .LBB203_57
.LBB203_73:                             ;   in Loop: Header=BB203_45 Depth=1
	ds_read_b32 v11, v6 offset:12332
	s_waitcnt lgkmcnt(0)
	v_add_u32_e32 v10, v11, v10
	s_or_b64 exec, exec, s[38:39]
	s_and_saveexec_b64 s[38:39], s[26:27]
	s_cbranch_execz .LBB203_58
.LBB203_74:                             ;   in Loop: Header=BB203_45 Depth=1
	ds_read_b32 v11, v6 offset:12336
	s_waitcnt lgkmcnt(0)
	v_add_u32_e32 v10, v11, v10
	s_or_b64 exec, exec, s[38:39]
	s_and_saveexec_b64 s[38:39], s[28:29]
	s_cbranch_execz .LBB203_59
.LBB203_75:                             ;   in Loop: Header=BB203_45 Depth=1
	ds_read_b32 v11, v6 offset:12340
	s_waitcnt lgkmcnt(0)
	v_add_u32_e32 v10, v11, v10
	s_or_b64 exec, exec, s[38:39]
	s_and_saveexec_b64 s[38:39], s[30:31]
	s_cbranch_execz .LBB203_60
.LBB203_76:                             ;   in Loop: Header=BB203_45 Depth=1
	ds_read_b32 v11, v6 offset:12344
	s_waitcnt lgkmcnt(0)
	v_add_u32_e32 v10, v11, v10
	s_or_b64 exec, exec, s[38:39]
	s_and_saveexec_b64 s[38:39], vcc
	s_cbranch_execz .LBB203_61
.LBB203_77:                             ;   in Loop: Header=BB203_45 Depth=1
	v_add3_u32 v11, v8, -1, v10
	v_lshl_add_u32 v12, v11, 2, 0
	v_lshl_add_u32 v11, v11, 3, 0
	ds_write_b32 v12, v9
	ds_write_b64 v11, v[4:5] offset:4096
	s_or_b64 exec, exec, s[38:39]
	s_and_saveexec_b64 s[38:39], s[0:1]
	s_cbranch_execz .LBB203_44
.LBB203_78:                             ;   in Loop: Header=BB203_45 Depth=1
	ds_write_b32 v6, v10 offset:12348
	s_branch .LBB203_44
.LBB203_79:
	s_or_b64 exec, exec, s[36:37]
	s_ashr_i32 s35, s34, 31
	s_lshl_b64 s[0:1], s[34:35], 3
	s_add_u32 s0, s42, s0
	s_addc_u32 s1, s43, s1
	s_load_dwordx4 s[0:3], s[0:1], 0x0
	s_waitcnt lgkmcnt(0)
	s_sub_i32 s8, s2, s0
	v_cmp_gt_i32_e32 vcc, s8, v0
	s_and_saveexec_b64 s[4:5], vcc
	s_cbranch_execz .LBB203_89
; %bb.80:
	s_sub_u32 s4, s0, s46
	s_subb_u32 s5, s1, 0
	s_and_b32 s9, s8, 7
	s_sub_i32 s0, s0, s2
	s_cmp_lt_u32 s0, -7
	s_cselect_b64 s[0:1], -1, 0
	s_and_b32 s10, s8, -8
	s_cmp_lg_u32 s9, 0
	v_cndmask_b32_e64 v1, 0, 1, s[0:1]
	s_cselect_b64 s[2:3], -1, 0
	v_cmp_ne_u32_e64 s[0:1], 1, v1
	v_cndmask_b32_e64 v1, 0, 1, s[2:3]
	s_mov_b64 s[6:7], 0
	v_cmp_ne_u32_e64 s[2:3], 1, v1
	s_branch .LBB203_82
.LBB203_81:                             ;   in Loop: Header=BB203_82 Depth=1
	v_lshlrev_b64 v[6:7], 2, v[4:5]
	v_mov_b32_e32 v8, s49
	v_add_co_u32_e32 v6, vcc, s48, v6
	s_waitcnt lgkmcnt(1)
	v_add_u32_e32 v1, s46, v1
	v_addc_co_u32_e32 v7, vcc, v8, v7, vcc
	v_lshlrev_b64 v[4:5], 3, v[4:5]
	global_store_dword v[6:7], v1, off
	v_mov_b32_e32 v1, s51
	v_add_co_u32_e32 v4, vcc, s50, v4
	v_addc_co_u32_e32 v5, vcc, v1, v5, vcc
	v_add_u32_e32 v0, 0x200, v0
	v_cmp_le_i32_e32 vcc, s8, v0
	s_or_b64 s[6:7], vcc, s[6:7]
	s_waitcnt lgkmcnt(0)
	global_store_dwordx2 v[4:5], v[2:3], off
	s_andn2_b64 exec, exec, s[6:7]
	s_cbranch_execz .LBB203_89
.LBB203_82:                             ; =>This Loop Header: Depth=1
                                        ;     Child Loop BB203_84 Depth 2
                                        ;     Child Loop BB203_88 Depth 2
	v_lshlrev_b32_e32 v1, 2, v0
	v_add_u32_e32 v2, 0, v1
	v_add_u32_e32 v3, v2, v1
	ds_read_b32 v1, v2
	ds_read_b64 v[2:3], v3 offset:4096
	s_and_b64 vcc, exec, s[0:1]
	v_pk_mov_b32 v[4:5], s[4:5], s[4:5] op_sel:[0,1]
	s_mov_b32 s11, 0
	s_cbranch_vccnz .LBB203_86
; %bb.83:                               ;   in Loop: Header=BB203_82 Depth=1
	s_mov_b32 s12, 0
	v_pk_mov_b32 v[4:5], s[4:5], s[4:5] op_sel:[0,1]
.LBB203_84:                             ;   Parent Loop BB203_82 Depth=1
                                        ; =>  This Inner Loop Header: Depth=2
	v_mov_b32_e32 v12, s12
	ds_read2_b32 v[6:7], v12 offset1:1
	ds_read2_b32 v[8:9], v12 offset0:2 offset1:3
	ds_read2_b32 v[10:11], v12 offset0:4 offset1:5
	;; [unrolled: 1-line block ×3, first 2 shown]
	s_add_i32 s11, s11, 8
	s_waitcnt lgkmcnt(3)
	v_cmp_gt_i32_e32 vcc, v1, v6
	v_cndmask_b32_e64 v6, 0, 1, vcc
	v_cmp_gt_i32_e32 vcc, v1, v7
	v_cndmask_b32_e64 v7, 0, 1, vcc
	s_waitcnt lgkmcnt(2)
	v_cmp_gt_i32_e32 vcc, v1, v8
	v_cndmask_b32_e64 v8, 0, 1, vcc
	v_cmp_gt_i32_e32 vcc, v1, v9
	v_cndmask_b32_e64 v9, 0, 1, vcc
	;; [unrolled: 5-line block ×4, first 2 shown]
	v_add_co_u32_e32 v4, vcc, v4, v6
	v_addc_co_u32_e32 v5, vcc, 0, v5, vcc
	v_add_co_u32_e32 v4, vcc, v4, v7
	v_addc_co_u32_e32 v5, vcc, 0, v5, vcc
	;; [unrolled: 2-line block ×7, first 2 shown]
	s_add_i32 s12, s12, 32
	v_add_co_u32_e32 v4, vcc, v4, v13
	s_cmp_eq_u32 s10, s11
	v_addc_co_u32_e32 v5, vcc, 0, v5, vcc
	s_cbranch_scc0 .LBB203_84
; %bb.85:                               ;   in Loop: Header=BB203_82 Depth=1
	s_mov_b32 s11, s10
.LBB203_86:                             ;   in Loop: Header=BB203_82 Depth=1
	s_and_b64 vcc, exec, s[2:3]
	s_cbranch_vccnz .LBB203_81
; %bb.87:                               ;   in Loop: Header=BB203_82 Depth=1
	s_lshl_b32 s11, s11, 2
	s_add_i32 s11, s11, 0
	s_mov_b32 s12, s9
.LBB203_88:                             ;   Parent Loop BB203_82 Depth=1
                                        ; =>  This Inner Loop Header: Depth=2
	v_mov_b32_e32 v6, s11
	ds_read_b32 v6, v6
	s_add_i32 s11, s11, 4
	s_add_i32 s12, s12, -1
	s_cmp_lg_u32 s12, 0
	s_waitcnt lgkmcnt(0)
	v_cmp_gt_i32_e32 vcc, v1, v6
	v_cndmask_b32_e64 v6, 0, 1, vcc
	v_add_co_u32_e32 v4, vcc, v4, v6
	v_addc_co_u32_e32 v5, vcc, 0, v5, vcc
	s_cbranch_scc1 .LBB203_88
	s_branch .LBB203_81
.LBB203_89:
	s_endpgm
	.section	.rodata,"a",@progbits
	.p2align	6, 0x0
	.amdhsa_kernel _ZN9rocsparseL26csrgemm_fill_block_per_rowILj512ELj32ELj1024ELj137ELj32ElidEEvT5_PKS1_S3_NS_24const_host_device_scalarIT6_EEPKT4_S3_PKS5_S9_S3_SB_S6_S9_S3_SB_S9_PS1_PS5_21rocsparse_index_base_SE_SE_SE_bbb
		.amdhsa_group_segment_fixed_size 0
		.amdhsa_private_segment_fixed_size 0
		.amdhsa_kernarg_size 156
		.amdhsa_user_sgpr_count 6
		.amdhsa_user_sgpr_private_segment_buffer 1
		.amdhsa_user_sgpr_dispatch_ptr 0
		.amdhsa_user_sgpr_queue_ptr 0
		.amdhsa_user_sgpr_kernarg_segment_ptr 1
		.amdhsa_user_sgpr_dispatch_id 0
		.amdhsa_user_sgpr_flat_scratch_init 0
		.amdhsa_user_sgpr_kernarg_preload_length 0
		.amdhsa_user_sgpr_kernarg_preload_offset 0
		.amdhsa_user_sgpr_private_segment_size 0
		.amdhsa_uses_dynamic_stack 0
		.amdhsa_system_sgpr_private_segment_wavefront_offset 0
		.amdhsa_system_sgpr_workgroup_id_x 1
		.amdhsa_system_sgpr_workgroup_id_y 0
		.amdhsa_system_sgpr_workgroup_id_z 0
		.amdhsa_system_sgpr_workgroup_info 0
		.amdhsa_system_vgpr_workitem_id 0
		.amdhsa_next_free_vgpr 28
		.amdhsa_next_free_sgpr 54
		.amdhsa_accum_offset 28
		.amdhsa_reserve_vcc 1
		.amdhsa_reserve_flat_scratch 0
		.amdhsa_float_round_mode_32 0
		.amdhsa_float_round_mode_16_64 0
		.amdhsa_float_denorm_mode_32 3
		.amdhsa_float_denorm_mode_16_64 3
		.amdhsa_dx10_clamp 1
		.amdhsa_ieee_mode 1
		.amdhsa_fp16_overflow 0
		.amdhsa_tg_split 0
		.amdhsa_exception_fp_ieee_invalid_op 0
		.amdhsa_exception_fp_denorm_src 0
		.amdhsa_exception_fp_ieee_div_zero 0
		.amdhsa_exception_fp_ieee_overflow 0
		.amdhsa_exception_fp_ieee_underflow 0
		.amdhsa_exception_fp_ieee_inexact 0
		.amdhsa_exception_int_div_zero 0
	.end_amdhsa_kernel
	.section	.text._ZN9rocsparseL26csrgemm_fill_block_per_rowILj512ELj32ELj1024ELj137ELj32ElidEEvT5_PKS1_S3_NS_24const_host_device_scalarIT6_EEPKT4_S3_PKS5_S9_S3_SB_S6_S9_S3_SB_S9_PS1_PS5_21rocsparse_index_base_SE_SE_SE_bbb,"axG",@progbits,_ZN9rocsparseL26csrgemm_fill_block_per_rowILj512ELj32ELj1024ELj137ELj32ElidEEvT5_PKS1_S3_NS_24const_host_device_scalarIT6_EEPKT4_S3_PKS5_S9_S3_SB_S6_S9_S3_SB_S9_PS1_PS5_21rocsparse_index_base_SE_SE_SE_bbb,comdat
.Lfunc_end203:
	.size	_ZN9rocsparseL26csrgemm_fill_block_per_rowILj512ELj32ELj1024ELj137ELj32ElidEEvT5_PKS1_S3_NS_24const_host_device_scalarIT6_EEPKT4_S3_PKS5_S9_S3_SB_S6_S9_S3_SB_S9_PS1_PS5_21rocsparse_index_base_SE_SE_SE_bbb, .Lfunc_end203-_ZN9rocsparseL26csrgemm_fill_block_per_rowILj512ELj32ELj1024ELj137ELj32ElidEEvT5_PKS1_S3_NS_24const_host_device_scalarIT6_EEPKT4_S3_PKS5_S9_S3_SB_S6_S9_S3_SB_S9_PS1_PS5_21rocsparse_index_base_SE_SE_SE_bbb
                                        ; -- End function
	.section	.AMDGPU.csdata,"",@progbits
; Kernel info:
; codeLenInByte = 3144
; NumSgprs: 58
; NumVgprs: 28
; NumAgprs: 0
; TotalNumVgprs: 28
; ScratchSize: 0
; MemoryBound: 0
; FloatMode: 240
; IeeeMode: 1
; LDSByteSize: 0 bytes/workgroup (compile time only)
; SGPRBlocks: 7
; VGPRBlocks: 3
; NumSGPRsForWavesPerEU: 58
; NumVGPRsForWavesPerEU: 28
; AccumOffset: 28
; Occupancy: 8
; WaveLimiterHint : 1
; COMPUTE_PGM_RSRC2:SCRATCH_EN: 0
; COMPUTE_PGM_RSRC2:USER_SGPR: 6
; COMPUTE_PGM_RSRC2:TRAP_HANDLER: 0
; COMPUTE_PGM_RSRC2:TGID_X_EN: 1
; COMPUTE_PGM_RSRC2:TGID_Y_EN: 0
; COMPUTE_PGM_RSRC2:TGID_Z_EN: 0
; COMPUTE_PGM_RSRC2:TIDIG_COMP_CNT: 0
; COMPUTE_PGM_RSRC3_GFX90A:ACCUM_OFFSET: 6
; COMPUTE_PGM_RSRC3_GFX90A:TG_SPLIT: 0
	.section	.text._ZN9rocsparseL26csrgemm_fill_block_per_rowILj512ELj32ELj1024ELj137ELj64ElidEEvT5_PKS1_S3_NS_24const_host_device_scalarIT6_EEPKT4_S3_PKS5_S9_S3_SB_S6_S9_S3_SB_S9_PS1_PS5_21rocsparse_index_base_SE_SE_SE_bbb,"axG",@progbits,_ZN9rocsparseL26csrgemm_fill_block_per_rowILj512ELj32ELj1024ELj137ELj64ElidEEvT5_PKS1_S3_NS_24const_host_device_scalarIT6_EEPKT4_S3_PKS5_S9_S3_SB_S6_S9_S3_SB_S9_PS1_PS5_21rocsparse_index_base_SE_SE_SE_bbb,comdat
	.globl	_ZN9rocsparseL26csrgemm_fill_block_per_rowILj512ELj32ELj1024ELj137ELj64ElidEEvT5_PKS1_S3_NS_24const_host_device_scalarIT6_EEPKT4_S3_PKS5_S9_S3_SB_S6_S9_S3_SB_S9_PS1_PS5_21rocsparse_index_base_SE_SE_SE_bbb ; -- Begin function _ZN9rocsparseL26csrgemm_fill_block_per_rowILj512ELj32ELj1024ELj137ELj64ElidEEvT5_PKS1_S3_NS_24const_host_device_scalarIT6_EEPKT4_S3_PKS5_S9_S3_SB_S6_S9_S3_SB_S9_PS1_PS5_21rocsparse_index_base_SE_SE_SE_bbb
	.p2align	8
	.type	_ZN9rocsparseL26csrgemm_fill_block_per_rowILj512ELj32ELj1024ELj137ELj64ElidEEvT5_PKS1_S3_NS_24const_host_device_scalarIT6_EEPKT4_S3_PKS5_S9_S3_SB_S6_S9_S3_SB_S9_PS1_PS5_21rocsparse_index_base_SE_SE_SE_bbb,@function
_ZN9rocsparseL26csrgemm_fill_block_per_rowILj512ELj32ELj1024ELj137ELj64ElidEEvT5_PKS1_S3_NS_24const_host_device_scalarIT6_EEPKT4_S3_PKS5_S9_S3_SB_S6_S9_S3_SB_S9_PS1_PS5_21rocsparse_index_base_SE_SE_SE_bbb: ; @_ZN9rocsparseL26csrgemm_fill_block_per_rowILj512ELj32ELj1024ELj137ELj64ElidEEvT5_PKS1_S3_NS_24const_host_device_scalarIT6_EEPKT4_S3_PKS5_S9_S3_SB_S6_S9_S3_SB_S9_PS1_PS5_21rocsparse_index_base_SE_SE_SE_bbb
; %bb.0:
	s_load_dword s7, s[4:5], 0x98
	s_load_dwordx4 s[28:31], s[4:5], 0x88
	s_load_dwordx2 s[0:1], s[4:5], 0x18
	s_load_dwordx2 s[34:35], s[4:5], 0x50
	s_waitcnt lgkmcnt(0)
	s_and_b32 s2, 1, s7
	s_bitcmp1_b32 s7, 16
	s_cselect_b64 s[44:45], -1, 0
	s_cmp_eq_u32 s2, 1
	s_cselect_b64 s[42:43], -1, 0
	s_and_b64 s[2:3], s[42:43], exec
	s_cselect_b32 s3, s1, 0
	s_cselect_b32 s2, s0, 0
	s_xor_b64 s[8:9], s[42:43], -1
	s_or_b64 s[8:9], s[8:9], s[44:45]
	s_and_b64 vcc, exec, s[8:9]
	v_pk_mov_b32 v[4:5], s[2:3], s[2:3] op_sel:[0,1]
	s_cbranch_vccnz .LBB204_2
; %bb.1:
	v_pk_mov_b32 v[2:3], s[0:1], s[0:1] op_sel:[0,1]
	flat_load_dwordx2 v[4:5], v[2:3]
.LBB204_2:
	s_load_dwordx4 s[36:39], s[4:5], 0x78
	s_load_dwordx8 s[12:19], s[4:5], 0x58
	s_load_dwordx4 s[0:3], s[4:5], 0x40
	s_load_dwordx4 s[8:11], s[4:5], 0x8
	s_load_dwordx8 s[20:27], s[4:5], 0x20
	s_bitcmp1_b32 s7, 8
	s_cselect_b64 s[40:41], -1, 0
	s_and_b64 s[46:47], s[40:41], exec
	s_cselect_b32 s47, s35, 0
	s_cselect_b32 s46, s34, 0
	s_xor_b64 s[48:49], s[40:41], -1
	s_or_b64 s[44:45], s[48:49], s[44:45]
	s_and_b64 vcc, exec, s[44:45]
	v_pk_mov_b32 v[2:3], s[46:47], s[46:47] op_sel:[0,1]
	s_cbranch_vccnz .LBB204_4
; %bb.3:
	v_pk_mov_b32 v[2:3], s[34:35], s[34:35] op_sel:[0,1]
	flat_load_dwordx2 v[2:3], v[2:3]
.LBB204_4:
	s_load_dword s33, s[4:5], 0x0
	v_lshl_add_u32 v1, v0, 3, 0
	v_mov_b32_e32 v6, 0
	v_add_u32_e32 v1, 0x1000, v1
	v_or_b32_e32 v16, 0xfffffe00, v0
	v_lshl_add_u32 v17, v0, 2, 0
	s_mov_b64 s[4:5], 0
	s_waitcnt lgkmcnt(0)
	v_mov_b32_e32 v8, s33
	v_mov_b32_e32 v7, v6
	;; [unrolled: 1-line block ×5, first 2 shown]
.LBB204_5:                              ; =>This Inner Loop Header: Depth=1
	v_add_co_u32_e32 v10, vcc, 0x200, v10
	s_xor_b64 s[34:35], vcc, -1
	s_and_b64 s[34:35], exec, s[34:35]
	ds_write_b32 v9, v8
	ds_write_b64 v11, v[6:7]
	v_add_u32_e32 v11, 0x1000, v11
	s_or_b64 s[4:5], s[34:35], s[4:5]
	v_add_u32_e32 v9, 0x800, v9
	s_andn2_b64 exec, exec, s[4:5]
	s_cbranch_execnz .LBB204_5
; %bb.6:
	s_or_b64 exec, exec, s[4:5]
	s_waitcnt lgkmcnt(0)
	s_barrier
	s_load_dword s4, s[8:9], 0x0
	s_mov_b32 s5, 0
	s_waitcnt lgkmcnt(0)
	s_add_i32 s4, s4, s6
	s_lshl_b64 s[4:5], s[4:5], 2
	s_add_u32 s4, s10, s4
	s_addc_u32 s5, s11, s5
	s_load_dword s34, s[4:5], 0x0
	s_and_b64 vcc, exec, s[42:43]
	s_cbranch_vccz .LBB204_26
; %bb.7:
	s_waitcnt lgkmcnt(0)
	s_ashr_i32 s35, s34, 31
	s_lshl_b64 s[4:5], s[34:35], 3
	s_add_u32 s4, s20, s4
	s_addc_u32 s5, s21, s5
	s_load_dwordx4 s[8:11], s[4:5], 0x0
	v_lshrrev_b32_e32 v6, 5, v0
	v_subrev_co_u32_e32 v6, vcc, s28, v6
	v_subb_co_u32_e64 v7, s[6:7], 0, 0, vcc
	s_waitcnt lgkmcnt(0)
	s_sub_u32 s4, s10, s28
	v_mov_b32_e32 v8, s9
	v_add_co_u32_e32 v6, vcc, s8, v6
	s_subb_u32 s5, s11, 0
	v_addc_co_u32_e32 v7, vcc, v8, v7, vcc
	v_cmp_gt_i64_e32 vcc, s[4:5], v[6:7]
	s_and_saveexec_b64 s[6:7], vcc
	s_cbranch_execz .LBB204_25
; %bb.8:
	v_and_b32_e32 v8, 31, v0
	v_subrev_co_u32_e32 v18, vcc, s29, v8
	s_mov_b32 s10, 0
	v_subb_co_u32_e64 v19, s[8:9], 0, 0, vcc
	s_mov_b32 s35, s29
	s_mov_b64 s[8:9], 0
	v_mov_b32_e32 v20, s23
	v_mov_b32_e32 v21, s27
	;; [unrolled: 1-line block ×3, first 2 shown]
	s_movk_i32 s23, 0x89
	s_branch .LBB204_10
.LBB204_9:                              ;   in Loop: Header=BB204_10 Depth=1
	s_or_b64 exec, exec, s[10:11]
	v_add_co_u32_e32 v6, vcc, 16, v6
	v_addc_co_u32_e32 v7, vcc, 0, v7, vcc
	v_cmp_le_i64_e32 vcc, s[4:5], v[6:7]
	s_or_b64 s[8:9], vcc, s[8:9]
	s_andn2_b64 exec, exec, s[8:9]
	s_cbranch_execz .LBB204_25
.LBB204_10:                             ; =>This Loop Header: Depth=1
                                        ;     Child Loop BB204_13 Depth 2
                                        ;       Child Loop BB204_15 Depth 3
	v_lshlrev_b64 v[8:9], 2, v[6:7]
	v_add_co_u32_e32 v8, vcc, s22, v8
	v_addc_co_u32_e32 v9, vcc, v20, v9, vcc
	global_load_dword v8, v[8:9], off
	s_waitcnt vmcnt(0)
	v_subrev_u32_e32 v8, s28, v8
	v_ashrrev_i32_e32 v9, 31, v8
	v_lshlrev_b64 v[8:9], 3, v[8:9]
	v_add_co_u32_e32 v8, vcc, s26, v8
	v_addc_co_u32_e32 v9, vcc, v21, v9, vcc
	global_load_dwordx4 v[10:13], v[8:9], off
	s_waitcnt vmcnt(0)
	v_subrev_co_u32_e32 v8, vcc, s35, v12
	v_subb_co_u32_e32 v9, vcc, v13, v22, vcc
	v_add_co_u32_e32 v10, vcc, v10, v18
	v_addc_co_u32_e32 v11, vcc, v11, v19, vcc
	v_cmp_lt_i64_e32 vcc, v[10:11], v[8:9]
	s_and_saveexec_b64 s[10:11], vcc
	s_cbranch_execz .LBB204_9
; %bb.11:                               ;   in Loop: Header=BB204_10 Depth=1
	v_lshlrev_b64 v[12:13], 3, v[6:7]
	v_mov_b32_e32 v14, s25
	v_add_co_u32_e32 v12, vcc, s24, v12
	v_addc_co_u32_e32 v13, vcc, v14, v13, vcc
	global_load_dwordx2 v[12:13], v[12:13], off
	s_mov_b64 s[20:21], 0
	s_waitcnt vmcnt(0)
	v_mul_f64 v[12:13], v[4:5], v[12:13]
	s_branch .LBB204_13
.LBB204_12:                             ;   in Loop: Header=BB204_13 Depth=2
	s_or_b64 exec, exec, s[42:43]
	v_add_co_u32_e32 v10, vcc, 32, v10
	v_addc_co_u32_e32 v11, vcc, 0, v11, vcc
	v_cmp_ge_i64_e32 vcc, v[10:11], v[8:9]
	s_or_b64 s[20:21], vcc, s[20:21]
	s_andn2_b64 exec, exec, s[20:21]
	s_cbranch_execz .LBB204_9
.LBB204_13:                             ;   Parent Loop BB204_10 Depth=1
                                        ; =>  This Loop Header: Depth=2
                                        ;       Child Loop BB204_15 Depth 3
	v_lshlrev_b64 v[14:15], 2, v[10:11]
	v_mov_b32_e32 v23, s1
	v_add_co_u32_e32 v14, vcc, s0, v14
	v_addc_co_u32_e32 v15, vcc, v23, v15, vcc
	global_load_dword v23, v[14:15], off
	v_lshlrev_b64 v[14:15], 3, v[10:11]
	v_mov_b32_e32 v24, s3
	v_add_co_u32_e32 v14, vcc, s2, v14
	v_addc_co_u32_e32 v15, vcc, v24, v15, vcc
	global_load_dwordx2 v[14:15], v[14:15], off
	s_mov_b64 s[42:43], 0
	s_waitcnt vmcnt(1)
	v_subrev_u32_e32 v23, s29, v23
	v_mul_lo_u32 v24, v23, s23
	v_and_b32_e32 v24, 0x3ff, v24
	s_waitcnt vmcnt(0)
	v_mul_f64 v[14:15], v[12:13], v[14:15]
	s_branch .LBB204_15
.LBB204_14:                             ;   in Loop: Header=BB204_15 Depth=3
	s_or_b64 exec, exec, s[44:45]
	s_xor_b64 s[44:45], s[46:47], -1
	s_and_b64 s[44:45], exec, s[44:45]
	s_or_b64 s[42:43], s[44:45], s[42:43]
	s_andn2_b64 exec, exec, s[42:43]
	s_cbranch_execz .LBB204_12
.LBB204_15:                             ;   Parent Loop BB204_10 Depth=1
                                        ;     Parent Loop BB204_13 Depth=2
                                        ; =>    This Inner Loop Header: Depth=3
	v_lshl_add_u32 v25, v24, 2, 0
	ds_read_b32 v26, v25
                                        ; implicit-def: $sgpr46_sgpr47
	s_waitcnt lgkmcnt(0)
	v_cmp_ne_u32_e32 vcc, v26, v23
	s_and_saveexec_b64 s[44:45], vcc
	s_xor_b64 s[44:45], exec, s[44:45]
	s_cbranch_execz .LBB204_23
; %bb.16:                               ;   in Loop: Header=BB204_15 Depth=3
	v_cmp_ne_u32_e32 vcc, s33, v26
                                        ; implicit-def: $sgpr46_sgpr47
	s_and_saveexec_b64 s[48:49], vcc
	s_xor_b64 s[48:49], exec, s[48:49]
; %bb.17:                               ;   in Loop: Header=BB204_15 Depth=3
	v_add_u32_e32 v24, 1, v24
	v_and_b32_e32 v24, 0x3ff, v24
	s_mov_b64 s[46:47], -1
                                        ; implicit-def: $vgpr25
; %bb.18:                               ;   in Loop: Header=BB204_15 Depth=3
	s_andn2_saveexec_b64 s[48:49], s[48:49]
	s_cbranch_execz .LBB204_22
; %bb.19:                               ;   in Loop: Header=BB204_15 Depth=3
	v_mov_b32_e32 v26, s33
	ds_cmpst_rtn_b32 v26, v25, v26, v23
	s_mov_b64 s[50:51], -1
	s_waitcnt lgkmcnt(0)
	v_cmp_eq_u32_e32 vcc, s33, v26
	s_and_saveexec_b64 s[52:53], vcc
	s_cbranch_execz .LBB204_21
; %bb.20:                               ;   in Loop: Header=BB204_15 Depth=3
	v_lshl_add_u32 v25, v24, 2, v25
	ds_add_f64 v25, v[14:15] offset:4096
	s_xor_b64 s[50:51], exec, -1
.LBB204_21:                             ;   in Loop: Header=BB204_15 Depth=3
	s_or_b64 exec, exec, s[52:53]
	s_andn2_b64 s[46:47], s[46:47], exec
	s_and_b64 s[50:51], s[50:51], exec
	s_or_b64 s[46:47], s[46:47], s[50:51]
.LBB204_22:                             ;   in Loop: Header=BB204_15 Depth=3
	s_or_b64 exec, exec, s[48:49]
	s_and_b64 s[46:47], s[46:47], exec
                                        ; implicit-def: $vgpr25
.LBB204_23:                             ;   in Loop: Header=BB204_15 Depth=3
	s_andn2_saveexec_b64 s[44:45], s[44:45]
	s_cbranch_execz .LBB204_14
; %bb.24:                               ;   in Loop: Header=BB204_15 Depth=3
	v_lshl_add_u32 v25, v24, 2, v25
	ds_add_f64 v25, v[14:15] offset:4096
	s_andn2_b64 s[46:47], s[46:47], exec
	s_branch .LBB204_14
.LBB204_25:
	s_or_b64 exec, exec, s[6:7]
.LBB204_26:
	s_andn2_b64 vcc, exec, s[40:41]
	s_cbranch_vccnz .LBB204_43
; %bb.27:
	s_waitcnt lgkmcnt(0)
	s_ashr_i32 s35, s34, 31
	s_lshl_b64 s[0:1], s[34:35], 3
	s_add_u32 s0, s12, s0
	s_addc_u32 s1, s13, s1
	s_load_dwordx4 s[4:7], s[0:1], 0x0
	s_waitcnt vmcnt(0)
	v_subrev_co_u32_e32 v4, vcc, s31, v0
	v_subb_co_u32_e64 v5, s[0:1], 0, 0, vcc
	s_waitcnt lgkmcnt(0)
	s_sub_u32 s0, s6, s31
	v_mov_b32_e32 v6, s5
	v_add_co_u32_e32 v4, vcc, s4, v4
	s_subb_u32 s1, s7, 0
	v_addc_co_u32_e32 v5, vcc, v6, v5, vcc
	v_cmp_gt_i64_e32 vcc, s[0:1], v[4:5]
	s_and_saveexec_b64 s[2:3], vcc
	s_cbranch_execz .LBB204_42
; %bb.28:
	s_mov_b64 s[4:5], 0
	v_mov_b32_e32 v8, s15
	v_mov_b32_e32 v9, s17
	s_movk_i32 s15, 0x89
	s_branch .LBB204_30
.LBB204_29:                             ;   in Loop: Header=BB204_30 Depth=1
	s_or_b64 exec, exec, s[6:7]
	v_add_co_u32_e32 v4, vcc, 0x200, v4
	v_addc_co_u32_e32 v5, vcc, 0, v5, vcc
	v_cmp_le_i64_e32 vcc, s[0:1], v[4:5]
	s_or_b64 s[4:5], vcc, s[4:5]
	s_andn2_b64 exec, exec, s[4:5]
	s_cbranch_execz .LBB204_42
.LBB204_30:                             ; =>This Loop Header: Depth=1
                                        ;     Child Loop BB204_32 Depth 2
	v_lshlrev_b64 v[6:7], 2, v[4:5]
	v_add_co_u32_e32 v6, vcc, s14, v6
	v_addc_co_u32_e32 v7, vcc, v8, v7, vcc
	global_load_dword v10, v[6:7], off
	v_lshlrev_b64 v[6:7], 3, v[4:5]
	v_add_co_u32_e32 v6, vcc, s16, v6
	v_addc_co_u32_e32 v7, vcc, v9, v7, vcc
	global_load_dwordx2 v[6:7], v[6:7], off
	s_mov_b64 s[6:7], 0
	s_waitcnt vmcnt(1)
	v_subrev_u32_e32 v10, s31, v10
	v_mul_lo_u32 v11, v10, s15
	v_and_b32_e32 v11, 0x3ff, v11
	s_waitcnt vmcnt(0)
	v_mul_f64 v[6:7], v[2:3], v[6:7]
	s_branch .LBB204_32
.LBB204_31:                             ;   in Loop: Header=BB204_32 Depth=2
	s_or_b64 exec, exec, s[8:9]
	s_xor_b64 s[8:9], s[10:11], -1
	s_and_b64 s[8:9], exec, s[8:9]
	s_or_b64 s[6:7], s[8:9], s[6:7]
	s_andn2_b64 exec, exec, s[6:7]
	s_cbranch_execz .LBB204_29
.LBB204_32:                             ;   Parent Loop BB204_30 Depth=1
                                        ; =>  This Inner Loop Header: Depth=2
	v_lshl_add_u32 v12, v11, 2, 0
	ds_read_b32 v13, v12
                                        ; implicit-def: $sgpr10_sgpr11
	s_waitcnt lgkmcnt(0)
	v_cmp_ne_u32_e32 vcc, v13, v10
	s_and_saveexec_b64 s[8:9], vcc
	s_xor_b64 s[8:9], exec, s[8:9]
	s_cbranch_execz .LBB204_40
; %bb.33:                               ;   in Loop: Header=BB204_32 Depth=2
	v_cmp_ne_u32_e32 vcc, s33, v13
                                        ; implicit-def: $sgpr10_sgpr11
	s_and_saveexec_b64 s[12:13], vcc
	s_xor_b64 s[12:13], exec, s[12:13]
; %bb.34:                               ;   in Loop: Header=BB204_32 Depth=2
	v_add_u32_e32 v11, 1, v11
	v_and_b32_e32 v11, 0x3ff, v11
	s_mov_b64 s[10:11], -1
                                        ; implicit-def: $vgpr12
; %bb.35:                               ;   in Loop: Header=BB204_32 Depth=2
	s_andn2_saveexec_b64 s[12:13], s[12:13]
	s_cbranch_execz .LBB204_39
; %bb.36:                               ;   in Loop: Header=BB204_32 Depth=2
	v_mov_b32_e32 v13, s33
	ds_cmpst_rtn_b32 v13, v12, v13, v10
	s_mov_b64 s[20:21], -1
	s_waitcnt lgkmcnt(0)
	v_cmp_eq_u32_e32 vcc, s33, v13
	s_and_saveexec_b64 s[22:23], vcc
	s_cbranch_execz .LBB204_38
; %bb.37:                               ;   in Loop: Header=BB204_32 Depth=2
	v_lshl_add_u32 v12, v11, 2, v12
	ds_add_f64 v12, v[6:7] offset:4096
	s_xor_b64 s[20:21], exec, -1
.LBB204_38:                             ;   in Loop: Header=BB204_32 Depth=2
	s_or_b64 exec, exec, s[22:23]
	s_andn2_b64 s[10:11], s[10:11], exec
	s_and_b64 s[20:21], s[20:21], exec
	s_or_b64 s[10:11], s[10:11], s[20:21]
.LBB204_39:                             ;   in Loop: Header=BB204_32 Depth=2
	s_or_b64 exec, exec, s[12:13]
	s_and_b64 s[10:11], s[10:11], exec
                                        ; implicit-def: $vgpr12
.LBB204_40:                             ;   in Loop: Header=BB204_32 Depth=2
	s_andn2_saveexec_b64 s[8:9], s[8:9]
	s_cbranch_execz .LBB204_31
; %bb.41:                               ;   in Loop: Header=BB204_32 Depth=2
	v_lshl_add_u32 v12, v11, 2, v12
	ds_add_f64 v12, v[6:7] offset:4096
	s_andn2_b64 s[10:11], s[10:11], exec
	s_branch .LBB204_31
.LBB204_42:
	s_or_b64 exec, exec, s[2:3]
.LBB204_43:
	s_waitcnt vmcnt(0)
	v_mbcnt_lo_u32_b32 v2, -1, 0
	v_mbcnt_hi_u32_b32 v2, -1, v2
	v_lshrrev_b32_e32 v4, 4, v0
	v_sub_u32_e32 v2, 63, v2
	v_and_b32_e32 v4, 28, v4
	s_movk_i32 s0, 0x1ff
	s_movk_i32 s4, 0x7f
	;; [unrolled: 1-line block ×7, first 2 shown]
	v_mov_b32_e32 v6, 0
	v_lshrrev_b64 v[2:3], v2, -1
	v_add_u32_e32 v7, 0, v4
	v_cmp_eq_u32_e64 s[0:1], s0, v0
	v_cmp_lt_u32_e64 s[2:3], 63, v0
	v_cmp_lt_u32_e64 s[4:5], s4, v0
	;; [unrolled: 1-line block ×7, first 2 shown]
	s_mov_b64 s[16:17], 0
	v_mov_b32_e32 v8, 0
	s_waitcnt lgkmcnt(0)
	s_barrier
	s_branch .LBB204_45
.LBB204_44:                             ;   in Loop: Header=BB204_45 Depth=1
	s_or_b64 exec, exec, s[20:21]
	s_waitcnt lgkmcnt(0)
	s_barrier
	ds_read_b32 v4, v6 offset:12316
	v_add_co_u32_e32 v16, vcc, 0x200, v16
	s_xor_b64 s[20:21], vcc, -1
	s_and_b64 s[20:21], exec, s[20:21]
	v_add_u32_e32 v1, 0x1000, v1
	s_waitcnt lgkmcnt(0)
	v_add_u32_e32 v8, v4, v8
	s_or_b64 s[16:17], s[20:21], s[16:17]
	v_add_u32_e32 v17, 0x800, v17
	s_andn2_b64 exec, exec, s[16:17]
	s_cbranch_execz .LBB204_63
.LBB204_45:                             ; =>This Inner Loop Header: Depth=1
	ds_read_b32 v9, v17
	ds_read_b64 v[4:5], v1
	s_waitcnt lgkmcnt(0)
	s_barrier
	v_cmp_gt_i32_e32 vcc, s33, v9
	v_and_b32_e32 v11, vcc_lo, v2
	s_bcnt1_i32_b64 s20, vcc
	v_and_b32_e32 v10, vcc_hi, v3
	v_bcnt_u32_b32 v11, v11, 0
	v_bcnt_u32_b32 v10, v10, v11
	v_mov_b32_e32 v11, s20
	ds_write_b32 v7, v11 offset:12288
	s_waitcnt lgkmcnt(0)
	s_barrier
	s_and_saveexec_b64 s[20:21], s[2:3]
	s_cbranch_execnz .LBB204_54
; %bb.46:                               ;   in Loop: Header=BB204_45 Depth=1
	s_or_b64 exec, exec, s[20:21]
	s_and_saveexec_b64 s[20:21], s[4:5]
	s_cbranch_execnz .LBB204_55
.LBB204_47:                             ;   in Loop: Header=BB204_45 Depth=1
	s_or_b64 exec, exec, s[20:21]
	s_and_saveexec_b64 s[20:21], s[6:7]
	s_cbranch_execnz .LBB204_56
.LBB204_48:                             ;   in Loop: Header=BB204_45 Depth=1
	s_or_b64 exec, exec, s[20:21]
	s_and_saveexec_b64 s[20:21], s[8:9]
	s_cbranch_execnz .LBB204_57
.LBB204_49:                             ;   in Loop: Header=BB204_45 Depth=1
	s_or_b64 exec, exec, s[20:21]
	s_and_saveexec_b64 s[20:21], s[10:11]
	s_cbranch_execnz .LBB204_58
.LBB204_50:                             ;   in Loop: Header=BB204_45 Depth=1
	s_or_b64 exec, exec, s[20:21]
	s_and_saveexec_b64 s[20:21], s[12:13]
	s_cbranch_execnz .LBB204_59
.LBB204_51:                             ;   in Loop: Header=BB204_45 Depth=1
	s_or_b64 exec, exec, s[20:21]
	s_and_saveexec_b64 s[20:21], s[14:15]
	s_cbranch_execnz .LBB204_60
.LBB204_52:                             ;   in Loop: Header=BB204_45 Depth=1
	s_or_b64 exec, exec, s[20:21]
	s_and_saveexec_b64 s[20:21], vcc
	s_cbranch_execnz .LBB204_61
.LBB204_53:                             ;   in Loop: Header=BB204_45 Depth=1
	s_or_b64 exec, exec, s[20:21]
	s_and_saveexec_b64 s[20:21], s[0:1]
	s_cbranch_execz .LBB204_44
	s_branch .LBB204_62
.LBB204_54:                             ;   in Loop: Header=BB204_45 Depth=1
	ds_read_b32 v11, v6 offset:12288
	s_waitcnt lgkmcnt(0)
	v_add_u32_e32 v10, v11, v10
	s_or_b64 exec, exec, s[20:21]
	s_and_saveexec_b64 s[20:21], s[4:5]
	s_cbranch_execz .LBB204_47
.LBB204_55:                             ;   in Loop: Header=BB204_45 Depth=1
	ds_read_b32 v11, v6 offset:12292
	s_waitcnt lgkmcnt(0)
	v_add_u32_e32 v10, v11, v10
	s_or_b64 exec, exec, s[20:21]
	s_and_saveexec_b64 s[20:21], s[6:7]
	s_cbranch_execz .LBB204_48
.LBB204_56:                             ;   in Loop: Header=BB204_45 Depth=1
	ds_read_b32 v11, v6 offset:12296
	s_waitcnt lgkmcnt(0)
	v_add_u32_e32 v10, v11, v10
	s_or_b64 exec, exec, s[20:21]
	s_and_saveexec_b64 s[20:21], s[8:9]
	s_cbranch_execz .LBB204_49
.LBB204_57:                             ;   in Loop: Header=BB204_45 Depth=1
	ds_read_b32 v11, v6 offset:12300
	s_waitcnt lgkmcnt(0)
	v_add_u32_e32 v10, v11, v10
	s_or_b64 exec, exec, s[20:21]
	s_and_saveexec_b64 s[20:21], s[10:11]
	s_cbranch_execz .LBB204_50
.LBB204_58:                             ;   in Loop: Header=BB204_45 Depth=1
	ds_read_b32 v11, v6 offset:12304
	s_waitcnt lgkmcnt(0)
	v_add_u32_e32 v10, v11, v10
	s_or_b64 exec, exec, s[20:21]
	s_and_saveexec_b64 s[20:21], s[12:13]
	s_cbranch_execz .LBB204_51
.LBB204_59:                             ;   in Loop: Header=BB204_45 Depth=1
	ds_read_b32 v11, v6 offset:12308
	s_waitcnt lgkmcnt(0)
	v_add_u32_e32 v10, v11, v10
	s_or_b64 exec, exec, s[20:21]
	s_and_saveexec_b64 s[20:21], s[14:15]
	s_cbranch_execz .LBB204_52
.LBB204_60:                             ;   in Loop: Header=BB204_45 Depth=1
	ds_read_b32 v11, v6 offset:12312
	s_waitcnt lgkmcnt(0)
	v_add_u32_e32 v10, v11, v10
	s_or_b64 exec, exec, s[20:21]
	s_and_saveexec_b64 s[20:21], vcc
	s_cbranch_execz .LBB204_53
.LBB204_61:                             ;   in Loop: Header=BB204_45 Depth=1
	v_add3_u32 v11, v8, -1, v10
	v_lshl_add_u32 v12, v11, 2, 0
	v_lshl_add_u32 v11, v11, 3, 0
	ds_write_b32 v12, v9
	ds_write_b64 v11, v[4:5] offset:4096
	s_or_b64 exec, exec, s[20:21]
	s_and_saveexec_b64 s[20:21], s[0:1]
	s_cbranch_execz .LBB204_44
.LBB204_62:                             ;   in Loop: Header=BB204_45 Depth=1
	ds_write_b32 v6, v10 offset:12316
	s_branch .LBB204_44
.LBB204_63:
	s_or_b64 exec, exec, s[16:17]
	s_ashr_i32 s35, s34, 31
	s_lshl_b64 s[0:1], s[34:35], 3
	s_add_u32 s0, s18, s0
	s_addc_u32 s1, s19, s1
	s_load_dwordx4 s[0:3], s[0:1], 0x0
	s_waitcnt lgkmcnt(0)
	s_sub_i32 s8, s2, s0
	v_cmp_gt_i32_e32 vcc, s8, v0
	s_and_saveexec_b64 s[4:5], vcc
	s_cbranch_execz .LBB204_73
; %bb.64:
	s_sub_u32 s4, s0, s30
	s_subb_u32 s5, s1, 0
	s_and_b32 s9, s8, 7
	s_sub_i32 s0, s0, s2
	s_cmp_lt_u32 s0, -7
	s_cselect_b64 s[0:1], -1, 0
	s_and_b32 s10, s8, -8
	s_cmp_lg_u32 s9, 0
	v_cndmask_b32_e64 v1, 0, 1, s[0:1]
	s_cselect_b64 s[2:3], -1, 0
	v_cmp_ne_u32_e64 s[0:1], 1, v1
	v_cndmask_b32_e64 v1, 0, 1, s[2:3]
	s_mov_b64 s[6:7], 0
	v_cmp_ne_u32_e64 s[2:3], 1, v1
	s_branch .LBB204_66
.LBB204_65:                             ;   in Loop: Header=BB204_66 Depth=1
	v_lshlrev_b64 v[6:7], 2, v[4:5]
	v_mov_b32_e32 v8, s37
	v_add_co_u32_e32 v6, vcc, s36, v6
	s_waitcnt lgkmcnt(1)
	v_add_u32_e32 v1, s30, v1
	v_addc_co_u32_e32 v7, vcc, v8, v7, vcc
	v_lshlrev_b64 v[4:5], 3, v[4:5]
	global_store_dword v[6:7], v1, off
	v_mov_b32_e32 v1, s39
	v_add_co_u32_e32 v4, vcc, s38, v4
	v_addc_co_u32_e32 v5, vcc, v1, v5, vcc
	v_add_u32_e32 v0, 0x200, v0
	v_cmp_le_i32_e32 vcc, s8, v0
	s_or_b64 s[6:7], vcc, s[6:7]
	s_waitcnt lgkmcnt(0)
	global_store_dwordx2 v[4:5], v[2:3], off
	s_andn2_b64 exec, exec, s[6:7]
	s_cbranch_execz .LBB204_73
.LBB204_66:                             ; =>This Loop Header: Depth=1
                                        ;     Child Loop BB204_68 Depth 2
                                        ;     Child Loop BB204_72 Depth 2
	v_lshlrev_b32_e32 v1, 2, v0
	v_add_u32_e32 v2, 0, v1
	v_add_u32_e32 v3, v2, v1
	ds_read_b32 v1, v2
	ds_read_b64 v[2:3], v3 offset:4096
	s_and_b64 vcc, exec, s[0:1]
	v_pk_mov_b32 v[4:5], s[4:5], s[4:5] op_sel:[0,1]
	s_mov_b32 s11, 0
	s_cbranch_vccnz .LBB204_70
; %bb.67:                               ;   in Loop: Header=BB204_66 Depth=1
	s_mov_b32 s12, 0
	v_pk_mov_b32 v[4:5], s[4:5], s[4:5] op_sel:[0,1]
.LBB204_68:                             ;   Parent Loop BB204_66 Depth=1
                                        ; =>  This Inner Loop Header: Depth=2
	v_mov_b32_e32 v12, s12
	ds_read2_b32 v[6:7], v12 offset1:1
	ds_read2_b32 v[8:9], v12 offset0:2 offset1:3
	ds_read2_b32 v[10:11], v12 offset0:4 offset1:5
	;; [unrolled: 1-line block ×3, first 2 shown]
	s_add_i32 s11, s11, 8
	s_waitcnt lgkmcnt(3)
	v_cmp_gt_i32_e32 vcc, v1, v6
	v_cndmask_b32_e64 v6, 0, 1, vcc
	v_cmp_gt_i32_e32 vcc, v1, v7
	v_cndmask_b32_e64 v7, 0, 1, vcc
	s_waitcnt lgkmcnt(2)
	v_cmp_gt_i32_e32 vcc, v1, v8
	v_cndmask_b32_e64 v8, 0, 1, vcc
	v_cmp_gt_i32_e32 vcc, v1, v9
	v_cndmask_b32_e64 v9, 0, 1, vcc
	;; [unrolled: 5-line block ×4, first 2 shown]
	v_add_co_u32_e32 v4, vcc, v4, v6
	v_addc_co_u32_e32 v5, vcc, 0, v5, vcc
	v_add_co_u32_e32 v4, vcc, v4, v7
	v_addc_co_u32_e32 v5, vcc, 0, v5, vcc
	;; [unrolled: 2-line block ×7, first 2 shown]
	s_add_i32 s12, s12, 32
	v_add_co_u32_e32 v4, vcc, v4, v13
	s_cmp_eq_u32 s10, s11
	v_addc_co_u32_e32 v5, vcc, 0, v5, vcc
	s_cbranch_scc0 .LBB204_68
; %bb.69:                               ;   in Loop: Header=BB204_66 Depth=1
	s_mov_b32 s11, s10
.LBB204_70:                             ;   in Loop: Header=BB204_66 Depth=1
	s_and_b64 vcc, exec, s[2:3]
	s_cbranch_vccnz .LBB204_65
; %bb.71:                               ;   in Loop: Header=BB204_66 Depth=1
	s_lshl_b32 s11, s11, 2
	s_add_i32 s11, s11, 0
	s_mov_b32 s12, s9
.LBB204_72:                             ;   Parent Loop BB204_66 Depth=1
                                        ; =>  This Inner Loop Header: Depth=2
	v_mov_b32_e32 v6, s11
	ds_read_b32 v6, v6
	s_add_i32 s11, s11, 4
	s_add_i32 s12, s12, -1
	s_cmp_lg_u32 s12, 0
	s_waitcnt lgkmcnt(0)
	v_cmp_gt_i32_e32 vcc, v1, v6
	v_cndmask_b32_e64 v6, 0, 1, vcc
	v_add_co_u32_e32 v4, vcc, v4, v6
	v_addc_co_u32_e32 v5, vcc, 0, v5, vcc
	s_cbranch_scc1 .LBB204_72
	s_branch .LBB204_65
.LBB204_73:
	s_endpgm
	.section	.rodata,"a",@progbits
	.p2align	6, 0x0
	.amdhsa_kernel _ZN9rocsparseL26csrgemm_fill_block_per_rowILj512ELj32ELj1024ELj137ELj64ElidEEvT5_PKS1_S3_NS_24const_host_device_scalarIT6_EEPKT4_S3_PKS5_S9_S3_SB_S6_S9_S3_SB_S9_PS1_PS5_21rocsparse_index_base_SE_SE_SE_bbb
		.amdhsa_group_segment_fixed_size 0
		.amdhsa_private_segment_fixed_size 0
		.amdhsa_kernarg_size 156
		.amdhsa_user_sgpr_count 6
		.amdhsa_user_sgpr_private_segment_buffer 1
		.amdhsa_user_sgpr_dispatch_ptr 0
		.amdhsa_user_sgpr_queue_ptr 0
		.amdhsa_user_sgpr_kernarg_segment_ptr 1
		.amdhsa_user_sgpr_dispatch_id 0
		.amdhsa_user_sgpr_flat_scratch_init 0
		.amdhsa_user_sgpr_kernarg_preload_length 0
		.amdhsa_user_sgpr_kernarg_preload_offset 0
		.amdhsa_user_sgpr_private_segment_size 0
		.amdhsa_uses_dynamic_stack 0
		.amdhsa_system_sgpr_private_segment_wavefront_offset 0
		.amdhsa_system_sgpr_workgroup_id_x 1
		.amdhsa_system_sgpr_workgroup_id_y 0
		.amdhsa_system_sgpr_workgroup_id_z 0
		.amdhsa_system_sgpr_workgroup_info 0
		.amdhsa_system_vgpr_workitem_id 0
		.amdhsa_next_free_vgpr 27
		.amdhsa_next_free_sgpr 54
		.amdhsa_accum_offset 28
		.amdhsa_reserve_vcc 1
		.amdhsa_reserve_flat_scratch 0
		.amdhsa_float_round_mode_32 0
		.amdhsa_float_round_mode_16_64 0
		.amdhsa_float_denorm_mode_32 3
		.amdhsa_float_denorm_mode_16_64 3
		.amdhsa_dx10_clamp 1
		.amdhsa_ieee_mode 1
		.amdhsa_fp16_overflow 0
		.amdhsa_tg_split 0
		.amdhsa_exception_fp_ieee_invalid_op 0
		.amdhsa_exception_fp_denorm_src 0
		.amdhsa_exception_fp_ieee_div_zero 0
		.amdhsa_exception_fp_ieee_overflow 0
		.amdhsa_exception_fp_ieee_underflow 0
		.amdhsa_exception_fp_ieee_inexact 0
		.amdhsa_exception_int_div_zero 0
	.end_amdhsa_kernel
	.section	.text._ZN9rocsparseL26csrgemm_fill_block_per_rowILj512ELj32ELj1024ELj137ELj64ElidEEvT5_PKS1_S3_NS_24const_host_device_scalarIT6_EEPKT4_S3_PKS5_S9_S3_SB_S6_S9_S3_SB_S9_PS1_PS5_21rocsparse_index_base_SE_SE_SE_bbb,"axG",@progbits,_ZN9rocsparseL26csrgemm_fill_block_per_rowILj512ELj32ELj1024ELj137ELj64ElidEEvT5_PKS1_S3_NS_24const_host_device_scalarIT6_EEPKT4_S3_PKS5_S9_S3_SB_S6_S9_S3_SB_S9_PS1_PS5_21rocsparse_index_base_SE_SE_SE_bbb,comdat
.Lfunc_end204:
	.size	_ZN9rocsparseL26csrgemm_fill_block_per_rowILj512ELj32ELj1024ELj137ELj64ElidEEvT5_PKS1_S3_NS_24const_host_device_scalarIT6_EEPKT4_S3_PKS5_S9_S3_SB_S6_S9_S3_SB_S9_PS1_PS5_21rocsparse_index_base_SE_SE_SE_bbb, .Lfunc_end204-_ZN9rocsparseL26csrgemm_fill_block_per_rowILj512ELj32ELj1024ELj137ELj64ElidEEvT5_PKS1_S3_NS_24const_host_device_scalarIT6_EEPKT4_S3_PKS5_S9_S3_SB_S6_S9_S3_SB_S9_PS1_PS5_21rocsparse_index_base_SE_SE_SE_bbb
                                        ; -- End function
	.section	.AMDGPU.csdata,"",@progbits
; Kernel info:
; codeLenInByte = 2736
; NumSgprs: 58
; NumVgprs: 27
; NumAgprs: 0
; TotalNumVgprs: 27
; ScratchSize: 0
; MemoryBound: 0
; FloatMode: 240
; IeeeMode: 1
; LDSByteSize: 0 bytes/workgroup (compile time only)
; SGPRBlocks: 7
; VGPRBlocks: 3
; NumSGPRsForWavesPerEU: 58
; NumVGPRsForWavesPerEU: 27
; AccumOffset: 28
; Occupancy: 8
; WaveLimiterHint : 1
; COMPUTE_PGM_RSRC2:SCRATCH_EN: 0
; COMPUTE_PGM_RSRC2:USER_SGPR: 6
; COMPUTE_PGM_RSRC2:TRAP_HANDLER: 0
; COMPUTE_PGM_RSRC2:TGID_X_EN: 1
; COMPUTE_PGM_RSRC2:TGID_Y_EN: 0
; COMPUTE_PGM_RSRC2:TGID_Z_EN: 0
; COMPUTE_PGM_RSRC2:TIDIG_COMP_CNT: 0
; COMPUTE_PGM_RSRC3_GFX90A:ACCUM_OFFSET: 6
; COMPUTE_PGM_RSRC3_GFX90A:TG_SPLIT: 0
	.section	.text._ZN9rocsparseL26csrgemm_fill_block_per_rowILj1024ELj32ELj2048ELj137ELj32ElidEEvT5_PKS1_S3_NS_24const_host_device_scalarIT6_EEPKT4_S3_PKS5_S9_S3_SB_S6_S9_S3_SB_S9_PS1_PS5_21rocsparse_index_base_SE_SE_SE_bbb,"axG",@progbits,_ZN9rocsparseL26csrgemm_fill_block_per_rowILj1024ELj32ELj2048ELj137ELj32ElidEEvT5_PKS1_S3_NS_24const_host_device_scalarIT6_EEPKT4_S3_PKS5_S9_S3_SB_S6_S9_S3_SB_S9_PS1_PS5_21rocsparse_index_base_SE_SE_SE_bbb,comdat
	.globl	_ZN9rocsparseL26csrgemm_fill_block_per_rowILj1024ELj32ELj2048ELj137ELj32ElidEEvT5_PKS1_S3_NS_24const_host_device_scalarIT6_EEPKT4_S3_PKS5_S9_S3_SB_S6_S9_S3_SB_S9_PS1_PS5_21rocsparse_index_base_SE_SE_SE_bbb ; -- Begin function _ZN9rocsparseL26csrgemm_fill_block_per_rowILj1024ELj32ELj2048ELj137ELj32ElidEEvT5_PKS1_S3_NS_24const_host_device_scalarIT6_EEPKT4_S3_PKS5_S9_S3_SB_S6_S9_S3_SB_S9_PS1_PS5_21rocsparse_index_base_SE_SE_SE_bbb
	.p2align	8
	.type	_ZN9rocsparseL26csrgemm_fill_block_per_rowILj1024ELj32ELj2048ELj137ELj32ElidEEvT5_PKS1_S3_NS_24const_host_device_scalarIT6_EEPKT4_S3_PKS5_S9_S3_SB_S6_S9_S3_SB_S9_PS1_PS5_21rocsparse_index_base_SE_SE_SE_bbb,@function
_ZN9rocsparseL26csrgemm_fill_block_per_rowILj1024ELj32ELj2048ELj137ELj32ElidEEvT5_PKS1_S3_NS_24const_host_device_scalarIT6_EEPKT4_S3_PKS5_S9_S3_SB_S6_S9_S3_SB_S9_PS1_PS5_21rocsparse_index_base_SE_SE_SE_bbb: ; @_ZN9rocsparseL26csrgemm_fill_block_per_rowILj1024ELj32ELj2048ELj137ELj32ElidEEvT5_PKS1_S3_NS_24const_host_device_scalarIT6_EEPKT4_S3_PKS5_S9_S3_SB_S6_S9_S3_SB_S9_PS1_PS5_21rocsparse_index_base_SE_SE_SE_bbb
; %bb.0:
	s_load_dword s7, s[4:5], 0x98
	s_load_dwordx4 s[68:71], s[4:5], 0x88
	s_load_dwordx2 s[0:1], s[4:5], 0x18
	s_load_dwordx2 s[24:25], s[4:5], 0x50
	s_waitcnt lgkmcnt(0)
	s_and_b32 s2, 1, s7
	s_bitcmp1_b32 s7, 16
	s_cselect_b64 s[26:27], -1, 0
	s_cmp_eq_u32 s2, 1
	s_cselect_b64 s[22:23], -1, 0
	s_and_b64 s[2:3], s[22:23], exec
	s_cselect_b32 s3, s1, 0
	s_cselect_b32 s2, s0, 0
	s_xor_b64 s[8:9], s[22:23], -1
	s_or_b64 s[8:9], s[8:9], s[26:27]
	s_and_b64 vcc, exec, s[8:9]
	v_pk_mov_b32 v[4:5], s[2:3], s[2:3] op_sel:[0,1]
	s_cbranch_vccnz .LBB205_2
; %bb.1:
	v_pk_mov_b32 v[2:3], s[0:1], s[0:1] op_sel:[0,1]
	flat_load_dwordx2 v[4:5], v[2:3]
.LBB205_2:
	s_load_dwordx4 s[72:75], s[4:5], 0x78
	s_load_dwordx8 s[60:67], s[4:5], 0x58
	s_load_dwordx4 s[0:3], s[4:5], 0x40
	s_load_dwordx4 s[16:19], s[4:5], 0x8
	s_load_dwordx8 s[8:15], s[4:5], 0x20
	s_bitcmp1_b32 s7, 8
	s_cselect_b64 s[20:21], -1, 0
	s_and_b64 s[28:29], s[20:21], exec
	s_cselect_b32 s29, s25, 0
	s_cselect_b32 s28, s24, 0
	s_xor_b64 s[30:31], s[20:21], -1
	s_or_b64 s[26:27], s[30:31], s[26:27]
	s_and_b64 vcc, exec, s[26:27]
	v_pk_mov_b32 v[2:3], s[28:29], s[28:29] op_sel:[0,1]
	s_cbranch_vccnz .LBB205_4
; %bb.3:
	v_pk_mov_b32 v[2:3], s[24:25], s[24:25] op_sel:[0,1]
	flat_load_dwordx2 v[2:3], v[2:3]
.LBB205_4:
	s_load_dword s33, s[4:5], 0x0
	v_lshl_add_u32 v1, v0, 3, 0
	v_mov_b32_e32 v6, 0
	v_add_u32_e32 v1, 0x2000, v1
	v_or_b32_e32 v16, 0xfffffc00, v0
	v_lshl_add_u32 v17, v0, 2, 0
	s_mov_b64 s[4:5], 0
	s_waitcnt lgkmcnt(0)
	v_mov_b32_e32 v8, s33
	v_mov_b32_e32 v7, v6
	;; [unrolled: 1-line block ×5, first 2 shown]
.LBB205_5:                              ; =>This Inner Loop Header: Depth=1
	v_add_co_u32_e32 v10, vcc, 0x400, v10
	s_xor_b64 s[24:25], vcc, -1
	s_and_b64 s[24:25], exec, s[24:25]
	ds_write_b32 v9, v8
	ds_write_b64 v11, v[6:7]
	v_add_u32_e32 v11, 0x2000, v11
	s_or_b64 s[4:5], s[24:25], s[4:5]
	v_add_u32_e32 v9, 0x1000, v9
	s_andn2_b64 exec, exec, s[4:5]
	s_cbranch_execnz .LBB205_5
; %bb.6:
	s_or_b64 exec, exec, s[4:5]
	s_waitcnt lgkmcnt(0)
	s_barrier
	s_load_dword s4, s[16:17], 0x0
	s_mov_b32 s5, 0
	v_lshrrev_b32_e32 v18, 5, v0
	s_waitcnt lgkmcnt(0)
	s_add_i32 s4, s4, s6
	s_lshl_b64 s[4:5], s[4:5], 2
	s_add_u32 s4, s18, s4
	s_addc_u32 s5, s19, s5
	s_load_dword s76, s[4:5], 0x0
	s_and_b64 vcc, exec, s[22:23]
	s_cbranch_vccz .LBB205_26
; %bb.7:
	s_waitcnt lgkmcnt(0)
	s_ashr_i32 s77, s76, 31
	s_lshl_b64 s[4:5], s[76:77], 3
	s_add_u32 s4, s8, s4
	s_addc_u32 s5, s9, s5
	s_load_dwordx4 s[16:19], s[4:5], 0x0
	v_subrev_co_u32_e32 v6, vcc, s68, v18
	v_subb_co_u32_e64 v7, s[4:5], 0, 0, vcc
	s_waitcnt lgkmcnt(0)
	s_sub_u32 s4, s18, s68
	v_mov_b32_e32 v8, s17
	v_add_co_u32_e32 v6, vcc, s16, v6
	s_subb_u32 s5, s19, 0
	v_addc_co_u32_e32 v7, vcc, v8, v7, vcc
	v_cmp_gt_i64_e32 vcc, s[4:5], v[6:7]
	s_and_saveexec_b64 s[6:7], vcc
	s_cbranch_execz .LBB205_25
; %bb.8:
	v_and_b32_e32 v8, 31, v0
	v_subrev_co_u32_e32 v19, vcc, s69, v8
	s_mov_b32 s16, 0
	v_subb_co_u32_e64 v20, s[8:9], 0, 0, vcc
	s_mov_b32 s36, s69
	s_mov_b64 s[8:9], 0
	v_mov_b32_e32 v21, s11
	v_mov_b32_e32 v22, s15
	;; [unrolled: 1-line block ×3, first 2 shown]
	s_movk_i32 s11, 0x89
	s_branch .LBB205_10
.LBB205_9:                              ;   in Loop: Header=BB205_10 Depth=1
	s_or_b64 exec, exec, s[16:17]
	v_add_co_u32_e32 v6, vcc, 32, v6
	v_addc_co_u32_e32 v7, vcc, 0, v7, vcc
	v_cmp_le_i64_e32 vcc, s[4:5], v[6:7]
	s_or_b64 s[8:9], vcc, s[8:9]
	s_andn2_b64 exec, exec, s[8:9]
	s_cbranch_execz .LBB205_25
.LBB205_10:                             ; =>This Loop Header: Depth=1
                                        ;     Child Loop BB205_13 Depth 2
                                        ;       Child Loop BB205_15 Depth 3
	v_lshlrev_b64 v[8:9], 2, v[6:7]
	v_add_co_u32_e32 v8, vcc, s10, v8
	v_addc_co_u32_e32 v9, vcc, v21, v9, vcc
	global_load_dword v8, v[8:9], off
	s_waitcnt vmcnt(0)
	v_subrev_u32_e32 v8, s68, v8
	v_ashrrev_i32_e32 v9, 31, v8
	v_lshlrev_b64 v[8:9], 3, v[8:9]
	v_add_co_u32_e32 v8, vcc, s14, v8
	v_addc_co_u32_e32 v9, vcc, v22, v9, vcc
	global_load_dwordx4 v[10:13], v[8:9], off
	s_waitcnt vmcnt(0)
	v_subrev_co_u32_e32 v8, vcc, s36, v12
	v_subb_co_u32_e32 v9, vcc, v13, v23, vcc
	v_add_co_u32_e32 v10, vcc, v10, v19
	v_addc_co_u32_e32 v11, vcc, v11, v20, vcc
	v_cmp_lt_i64_e32 vcc, v[10:11], v[8:9]
	s_and_saveexec_b64 s[16:17], vcc
	s_cbranch_execz .LBB205_9
; %bb.11:                               ;   in Loop: Header=BB205_10 Depth=1
	v_lshlrev_b64 v[12:13], 3, v[6:7]
	v_mov_b32_e32 v14, s13
	v_add_co_u32_e32 v12, vcc, s12, v12
	v_addc_co_u32_e32 v13, vcc, v14, v13, vcc
	global_load_dwordx2 v[12:13], v[12:13], off
	s_mov_b64 s[18:19], 0
	s_waitcnt vmcnt(0)
	v_mul_f64 v[12:13], v[4:5], v[12:13]
	s_branch .LBB205_13
.LBB205_12:                             ;   in Loop: Header=BB205_13 Depth=2
	s_or_b64 exec, exec, s[22:23]
	v_add_co_u32_e32 v10, vcc, 32, v10
	v_addc_co_u32_e32 v11, vcc, 0, v11, vcc
	v_cmp_ge_i64_e32 vcc, v[10:11], v[8:9]
	s_or_b64 s[18:19], vcc, s[18:19]
	s_andn2_b64 exec, exec, s[18:19]
	s_cbranch_execz .LBB205_9
.LBB205_13:                             ;   Parent Loop BB205_10 Depth=1
                                        ; =>  This Loop Header: Depth=2
                                        ;       Child Loop BB205_15 Depth 3
	v_lshlrev_b64 v[14:15], 2, v[10:11]
	v_mov_b32_e32 v24, s1
	v_add_co_u32_e32 v14, vcc, s0, v14
	v_addc_co_u32_e32 v15, vcc, v24, v15, vcc
	global_load_dword v24, v[14:15], off
	v_lshlrev_b64 v[14:15], 3, v[10:11]
	v_mov_b32_e32 v25, s3
	v_add_co_u32_e32 v14, vcc, s2, v14
	v_addc_co_u32_e32 v15, vcc, v25, v15, vcc
	global_load_dwordx2 v[14:15], v[14:15], off
	s_mov_b64 s[22:23], 0
	s_waitcnt vmcnt(1)
	v_subrev_u32_e32 v24, s69, v24
	v_mul_lo_u32 v25, v24, s11
	v_and_b32_e32 v25, 0x7ff, v25
	s_waitcnt vmcnt(0)
	v_mul_f64 v[14:15], v[12:13], v[14:15]
	s_branch .LBB205_15
.LBB205_14:                             ;   in Loop: Header=BB205_15 Depth=3
	s_or_b64 exec, exec, s[24:25]
	s_xor_b64 s[24:25], s[26:27], -1
	s_and_b64 s[24:25], exec, s[24:25]
	s_or_b64 s[22:23], s[24:25], s[22:23]
	s_andn2_b64 exec, exec, s[22:23]
	s_cbranch_execz .LBB205_12
.LBB205_15:                             ;   Parent Loop BB205_10 Depth=1
                                        ;     Parent Loop BB205_13 Depth=2
                                        ; =>    This Inner Loop Header: Depth=3
	v_lshl_add_u32 v26, v25, 2, 0
	ds_read_b32 v27, v26
                                        ; implicit-def: $sgpr26_sgpr27
	s_waitcnt lgkmcnt(0)
	v_cmp_ne_u32_e32 vcc, v27, v24
	s_and_saveexec_b64 s[24:25], vcc
	s_xor_b64 s[24:25], exec, s[24:25]
	s_cbranch_execz .LBB205_23
; %bb.16:                               ;   in Loop: Header=BB205_15 Depth=3
	v_cmp_ne_u32_e32 vcc, s33, v27
                                        ; implicit-def: $sgpr26_sgpr27
	s_and_saveexec_b64 s[28:29], vcc
	s_xor_b64 s[28:29], exec, s[28:29]
; %bb.17:                               ;   in Loop: Header=BB205_15 Depth=3
	v_add_u32_e32 v25, 1, v25
	v_and_b32_e32 v25, 0x7ff, v25
	s_mov_b64 s[26:27], -1
                                        ; implicit-def: $vgpr26
; %bb.18:                               ;   in Loop: Header=BB205_15 Depth=3
	s_andn2_saveexec_b64 s[28:29], s[28:29]
	s_cbranch_execz .LBB205_22
; %bb.19:                               ;   in Loop: Header=BB205_15 Depth=3
	v_mov_b32_e32 v27, s33
	ds_cmpst_rtn_b32 v27, v26, v27, v24
	s_mov_b64 s[30:31], -1
	s_waitcnt lgkmcnt(0)
	v_cmp_eq_u32_e32 vcc, s33, v27
	s_and_saveexec_b64 s[34:35], vcc
	s_cbranch_execz .LBB205_21
; %bb.20:                               ;   in Loop: Header=BB205_15 Depth=3
	v_lshl_add_u32 v26, v25, 2, v26
	ds_add_f64 v26, v[14:15] offset:8192
	s_xor_b64 s[30:31], exec, -1
.LBB205_21:                             ;   in Loop: Header=BB205_15 Depth=3
	s_or_b64 exec, exec, s[34:35]
	s_andn2_b64 s[26:27], s[26:27], exec
	s_and_b64 s[30:31], s[30:31], exec
	s_or_b64 s[26:27], s[26:27], s[30:31]
.LBB205_22:                             ;   in Loop: Header=BB205_15 Depth=3
	s_or_b64 exec, exec, s[28:29]
	s_and_b64 s[26:27], s[26:27], exec
                                        ; implicit-def: $vgpr26
.LBB205_23:                             ;   in Loop: Header=BB205_15 Depth=3
	s_andn2_saveexec_b64 s[24:25], s[24:25]
	s_cbranch_execz .LBB205_14
; %bb.24:                               ;   in Loop: Header=BB205_15 Depth=3
	v_lshl_add_u32 v26, v25, 2, v26
	ds_add_f64 v26, v[14:15] offset:8192
	s_andn2_b64 s[26:27], s[26:27], exec
	s_branch .LBB205_14
.LBB205_25:
	s_or_b64 exec, exec, s[6:7]
.LBB205_26:
	s_andn2_b64 vcc, exec, s[20:21]
	s_cbranch_vccnz .LBB205_43
; %bb.27:
	s_waitcnt lgkmcnt(0)
	s_ashr_i32 s77, s76, 31
	s_lshl_b64 s[0:1], s[76:77], 3
	s_add_u32 s0, s60, s0
	s_addc_u32 s1, s61, s1
	s_load_dwordx4 s[4:7], s[0:1], 0x0
	s_waitcnt vmcnt(0)
	v_subrev_co_u32_e32 v4, vcc, s71, v0
	v_subb_co_u32_e64 v5, s[0:1], 0, 0, vcc
	s_waitcnt lgkmcnt(0)
	s_sub_u32 s0, s6, s71
	v_mov_b32_e32 v6, s5
	v_add_co_u32_e32 v4, vcc, s4, v4
	s_subb_u32 s1, s7, 0
	v_addc_co_u32_e32 v5, vcc, v6, v5, vcc
	v_cmp_gt_i64_e32 vcc, s[0:1], v[4:5]
	s_and_saveexec_b64 s[2:3], vcc
	s_cbranch_execz .LBB205_42
; %bb.28:
	s_mov_b64 s[4:5], 0
	v_mov_b32_e32 v8, s63
	v_mov_b32_e32 v9, s65
	s_movk_i32 s18, 0x89
	s_branch .LBB205_30
.LBB205_29:                             ;   in Loop: Header=BB205_30 Depth=1
	s_or_b64 exec, exec, s[6:7]
	v_add_co_u32_e32 v4, vcc, 0x400, v4
	v_addc_co_u32_e32 v5, vcc, 0, v5, vcc
	v_cmp_le_i64_e32 vcc, s[0:1], v[4:5]
	s_or_b64 s[4:5], vcc, s[4:5]
	s_andn2_b64 exec, exec, s[4:5]
	s_cbranch_execz .LBB205_42
.LBB205_30:                             ; =>This Loop Header: Depth=1
                                        ;     Child Loop BB205_32 Depth 2
	v_lshlrev_b64 v[6:7], 2, v[4:5]
	v_add_co_u32_e32 v6, vcc, s62, v6
	v_addc_co_u32_e32 v7, vcc, v8, v7, vcc
	global_load_dword v10, v[6:7], off
	v_lshlrev_b64 v[6:7], 3, v[4:5]
	v_add_co_u32_e32 v6, vcc, s64, v6
	v_addc_co_u32_e32 v7, vcc, v9, v7, vcc
	global_load_dwordx2 v[6:7], v[6:7], off
	s_mov_b64 s[6:7], 0
	s_waitcnt vmcnt(1)
	v_subrev_u32_e32 v10, s71, v10
	v_mul_lo_u32 v11, v10, s18
	v_and_b32_e32 v11, 0x7ff, v11
	s_waitcnt vmcnt(0)
	v_mul_f64 v[6:7], v[2:3], v[6:7]
	s_branch .LBB205_32
.LBB205_31:                             ;   in Loop: Header=BB205_32 Depth=2
	s_or_b64 exec, exec, s[8:9]
	s_xor_b64 s[8:9], s[10:11], -1
	s_and_b64 s[8:9], exec, s[8:9]
	s_or_b64 s[6:7], s[8:9], s[6:7]
	s_andn2_b64 exec, exec, s[6:7]
	s_cbranch_execz .LBB205_29
.LBB205_32:                             ;   Parent Loop BB205_30 Depth=1
                                        ; =>  This Inner Loop Header: Depth=2
	v_lshl_add_u32 v12, v11, 2, 0
	ds_read_b32 v13, v12
                                        ; implicit-def: $sgpr10_sgpr11
	s_waitcnt lgkmcnt(0)
	v_cmp_ne_u32_e32 vcc, v13, v10
	s_and_saveexec_b64 s[8:9], vcc
	s_xor_b64 s[8:9], exec, s[8:9]
	s_cbranch_execz .LBB205_40
; %bb.33:                               ;   in Loop: Header=BB205_32 Depth=2
	v_cmp_ne_u32_e32 vcc, s33, v13
                                        ; implicit-def: $sgpr10_sgpr11
	s_and_saveexec_b64 s[12:13], vcc
	s_xor_b64 s[12:13], exec, s[12:13]
; %bb.34:                               ;   in Loop: Header=BB205_32 Depth=2
	v_add_u32_e32 v11, 1, v11
	v_and_b32_e32 v11, 0x7ff, v11
	s_mov_b64 s[10:11], -1
                                        ; implicit-def: $vgpr12
; %bb.35:                               ;   in Loop: Header=BB205_32 Depth=2
	s_andn2_saveexec_b64 s[12:13], s[12:13]
	s_cbranch_execz .LBB205_39
; %bb.36:                               ;   in Loop: Header=BB205_32 Depth=2
	v_mov_b32_e32 v13, s33
	ds_cmpst_rtn_b32 v13, v12, v13, v10
	s_mov_b64 s[14:15], -1
	s_waitcnt lgkmcnt(0)
	v_cmp_eq_u32_e32 vcc, s33, v13
	s_and_saveexec_b64 s[16:17], vcc
	s_cbranch_execz .LBB205_38
; %bb.37:                               ;   in Loop: Header=BB205_32 Depth=2
	v_lshl_add_u32 v12, v11, 2, v12
	ds_add_f64 v12, v[6:7] offset:8192
	s_xor_b64 s[14:15], exec, -1
.LBB205_38:                             ;   in Loop: Header=BB205_32 Depth=2
	s_or_b64 exec, exec, s[16:17]
	s_andn2_b64 s[10:11], s[10:11], exec
	s_and_b64 s[14:15], s[14:15], exec
	s_or_b64 s[10:11], s[10:11], s[14:15]
.LBB205_39:                             ;   in Loop: Header=BB205_32 Depth=2
	s_or_b64 exec, exec, s[12:13]
	s_and_b64 s[10:11], s[10:11], exec
                                        ; implicit-def: $vgpr12
.LBB205_40:                             ;   in Loop: Header=BB205_32 Depth=2
	s_andn2_saveexec_b64 s[8:9], s[8:9]
	s_cbranch_execz .LBB205_31
; %bb.41:                               ;   in Loop: Header=BB205_32 Depth=2
	v_lshl_add_u32 v12, v11, 2, v12
	ds_add_f64 v12, v[6:7] offset:8192
	s_andn2_b64 s[10:11], s[10:11], exec
	s_branch .LBB205_31
.LBB205_42:
	s_or_b64 exec, exec, s[2:3]
.LBB205_43:
	s_waitcnt vmcnt(0)
	v_mbcnt_lo_u32_b32 v2, -1, 0
	v_mbcnt_hi_u32_b32 v2, -1, v2
	v_sub_u32_e32 v2, 63, v2
	s_movk_i32 s0, 0x3ff
	s_movk_i32 s6, 0x5f
	;; [unrolled: 1-line block ×30, first 2 shown]
	v_mov_b32_e32 v6, 0
	v_lshrrev_b64 v[2:3], v2, -1
	v_lshl_add_u32 v7, v18, 2, 0
	v_cmp_eq_u32_e64 s[0:1], s0, v0
	v_cmp_lt_u32_e64 s[2:3], 31, v0
	v_cmp_lt_u32_e64 s[4:5], 63, v0
	;; [unrolled: 1-line block ×31, first 2 shown]
	s_mov_b64 s[68:69], 0
	v_mov_b32_e32 v8, 0
	s_waitcnt lgkmcnt(0)
	s_barrier
	s_branch .LBB205_45
.LBB205_44:                             ;   in Loop: Header=BB205_45 Depth=1
	s_or_b64 exec, exec, s[78:79]
	s_waitcnt lgkmcnt(0)
	s_barrier
	ds_read_b32 v4, v6 offset:24700
	v_add_co_u32_e32 v16, vcc, 0x400, v16
	s_xor_b64 s[78:79], vcc, -1
	s_and_b64 s[78:79], exec, s[78:79]
	v_add_u32_e32 v1, 0x2000, v1
	s_waitcnt lgkmcnt(0)
	v_add_u32_e32 v8, v4, v8
	s_or_b64 s[68:69], s[78:79], s[68:69]
	v_add_u32_e32 v17, 0x1000, v17
	s_andn2_b64 exec, exec, s[68:69]
	s_cbranch_execz .LBB205_111
.LBB205_45:                             ; =>This Inner Loop Header: Depth=1
	ds_read_b32 v9, v17
	ds_read_b64 v[4:5], v1
	s_waitcnt lgkmcnt(0)
	s_barrier
	v_cmp_gt_i32_e32 vcc, s33, v9
	v_and_b32_e32 v11, vcc_lo, v2
	s_bcnt1_i32_b64 s71, vcc
	v_and_b32_e32 v10, vcc_hi, v3
	v_bcnt_u32_b32 v11, v11, 0
	v_bcnt_u32_b32 v10, v10, v11
	v_mov_b32_e32 v11, s71
	ds_write_b32 v7, v11 offset:24576
	s_waitcnt lgkmcnt(0)
	s_barrier
	s_and_saveexec_b64 s[78:79], s[2:3]
	s_cbranch_execnz .LBB205_78
; %bb.46:                               ;   in Loop: Header=BB205_45 Depth=1
	s_or_b64 exec, exec, s[78:79]
	s_and_saveexec_b64 s[78:79], s[4:5]
	s_cbranch_execnz .LBB205_79
.LBB205_47:                             ;   in Loop: Header=BB205_45 Depth=1
	s_or_b64 exec, exec, s[78:79]
	s_and_saveexec_b64 s[78:79], s[6:7]
	s_cbranch_execnz .LBB205_80
.LBB205_48:                             ;   in Loop: Header=BB205_45 Depth=1
	s_or_b64 exec, exec, s[78:79]
	s_and_saveexec_b64 s[78:79], s[8:9]
	s_cbranch_execnz .LBB205_81
.LBB205_49:                             ;   in Loop: Header=BB205_45 Depth=1
	s_or_b64 exec, exec, s[78:79]
	s_and_saveexec_b64 s[78:79], s[10:11]
	s_cbranch_execnz .LBB205_82
.LBB205_50:                             ;   in Loop: Header=BB205_45 Depth=1
	s_or_b64 exec, exec, s[78:79]
	s_and_saveexec_b64 s[78:79], s[12:13]
	s_cbranch_execnz .LBB205_83
.LBB205_51:                             ;   in Loop: Header=BB205_45 Depth=1
	s_or_b64 exec, exec, s[78:79]
	s_and_saveexec_b64 s[78:79], s[14:15]
	s_cbranch_execnz .LBB205_84
.LBB205_52:                             ;   in Loop: Header=BB205_45 Depth=1
	s_or_b64 exec, exec, s[78:79]
	s_and_saveexec_b64 s[78:79], s[16:17]
	s_cbranch_execnz .LBB205_85
.LBB205_53:                             ;   in Loop: Header=BB205_45 Depth=1
	s_or_b64 exec, exec, s[78:79]
	s_and_saveexec_b64 s[78:79], s[18:19]
	s_cbranch_execnz .LBB205_86
.LBB205_54:                             ;   in Loop: Header=BB205_45 Depth=1
	s_or_b64 exec, exec, s[78:79]
	s_and_saveexec_b64 s[78:79], s[20:21]
	s_cbranch_execnz .LBB205_87
.LBB205_55:                             ;   in Loop: Header=BB205_45 Depth=1
	s_or_b64 exec, exec, s[78:79]
	s_and_saveexec_b64 s[78:79], s[22:23]
	s_cbranch_execnz .LBB205_88
.LBB205_56:                             ;   in Loop: Header=BB205_45 Depth=1
	s_or_b64 exec, exec, s[78:79]
	s_and_saveexec_b64 s[78:79], s[24:25]
	s_cbranch_execnz .LBB205_89
.LBB205_57:                             ;   in Loop: Header=BB205_45 Depth=1
	s_or_b64 exec, exec, s[78:79]
	s_and_saveexec_b64 s[78:79], s[26:27]
	s_cbranch_execnz .LBB205_90
.LBB205_58:                             ;   in Loop: Header=BB205_45 Depth=1
	s_or_b64 exec, exec, s[78:79]
	s_and_saveexec_b64 s[78:79], s[28:29]
	s_cbranch_execnz .LBB205_91
.LBB205_59:                             ;   in Loop: Header=BB205_45 Depth=1
	s_or_b64 exec, exec, s[78:79]
	s_and_saveexec_b64 s[78:79], s[30:31]
	s_cbranch_execnz .LBB205_92
.LBB205_60:                             ;   in Loop: Header=BB205_45 Depth=1
	s_or_b64 exec, exec, s[78:79]
	s_and_saveexec_b64 s[78:79], s[34:35]
	s_cbranch_execnz .LBB205_93
.LBB205_61:                             ;   in Loop: Header=BB205_45 Depth=1
	s_or_b64 exec, exec, s[78:79]
	s_and_saveexec_b64 s[78:79], s[36:37]
	s_cbranch_execnz .LBB205_94
.LBB205_62:                             ;   in Loop: Header=BB205_45 Depth=1
	s_or_b64 exec, exec, s[78:79]
	s_and_saveexec_b64 s[78:79], s[38:39]
	s_cbranch_execnz .LBB205_95
.LBB205_63:                             ;   in Loop: Header=BB205_45 Depth=1
	s_or_b64 exec, exec, s[78:79]
	s_and_saveexec_b64 s[78:79], s[40:41]
	s_cbranch_execnz .LBB205_96
.LBB205_64:                             ;   in Loop: Header=BB205_45 Depth=1
	s_or_b64 exec, exec, s[78:79]
	s_and_saveexec_b64 s[78:79], s[42:43]
	s_cbranch_execnz .LBB205_97
.LBB205_65:                             ;   in Loop: Header=BB205_45 Depth=1
	s_or_b64 exec, exec, s[78:79]
	s_and_saveexec_b64 s[78:79], s[44:45]
	s_cbranch_execnz .LBB205_98
.LBB205_66:                             ;   in Loop: Header=BB205_45 Depth=1
	s_or_b64 exec, exec, s[78:79]
	s_and_saveexec_b64 s[78:79], s[46:47]
	s_cbranch_execnz .LBB205_99
.LBB205_67:                             ;   in Loop: Header=BB205_45 Depth=1
	s_or_b64 exec, exec, s[78:79]
	s_and_saveexec_b64 s[78:79], s[48:49]
	s_cbranch_execnz .LBB205_100
.LBB205_68:                             ;   in Loop: Header=BB205_45 Depth=1
	s_or_b64 exec, exec, s[78:79]
	s_and_saveexec_b64 s[78:79], s[50:51]
	s_cbranch_execnz .LBB205_101
.LBB205_69:                             ;   in Loop: Header=BB205_45 Depth=1
	s_or_b64 exec, exec, s[78:79]
	s_and_saveexec_b64 s[78:79], s[52:53]
	s_cbranch_execnz .LBB205_102
.LBB205_70:                             ;   in Loop: Header=BB205_45 Depth=1
	s_or_b64 exec, exec, s[78:79]
	s_and_saveexec_b64 s[78:79], s[54:55]
	s_cbranch_execnz .LBB205_103
.LBB205_71:                             ;   in Loop: Header=BB205_45 Depth=1
	s_or_b64 exec, exec, s[78:79]
	s_and_saveexec_b64 s[78:79], s[56:57]
	s_cbranch_execnz .LBB205_104
.LBB205_72:                             ;   in Loop: Header=BB205_45 Depth=1
	s_or_b64 exec, exec, s[78:79]
	s_and_saveexec_b64 s[78:79], s[58:59]
	s_cbranch_execnz .LBB205_105
.LBB205_73:                             ;   in Loop: Header=BB205_45 Depth=1
	s_or_b64 exec, exec, s[78:79]
	s_and_saveexec_b64 s[78:79], s[60:61]
	s_cbranch_execnz .LBB205_106
.LBB205_74:                             ;   in Loop: Header=BB205_45 Depth=1
	s_or_b64 exec, exec, s[78:79]
	s_and_saveexec_b64 s[78:79], s[62:63]
	s_cbranch_execnz .LBB205_107
.LBB205_75:                             ;   in Loop: Header=BB205_45 Depth=1
	s_or_b64 exec, exec, s[78:79]
	s_and_saveexec_b64 s[78:79], s[64:65]
	s_cbranch_execnz .LBB205_108
.LBB205_76:                             ;   in Loop: Header=BB205_45 Depth=1
	s_or_b64 exec, exec, s[78:79]
	s_and_saveexec_b64 s[78:79], vcc
	s_cbranch_execnz .LBB205_109
.LBB205_77:                             ;   in Loop: Header=BB205_45 Depth=1
	s_or_b64 exec, exec, s[78:79]
	s_and_saveexec_b64 s[78:79], s[0:1]
	s_cbranch_execz .LBB205_44
	s_branch .LBB205_110
.LBB205_78:                             ;   in Loop: Header=BB205_45 Depth=1
	ds_read_b32 v11, v6 offset:24576
	s_waitcnt lgkmcnt(0)
	v_add_u32_e32 v10, v11, v10
	s_or_b64 exec, exec, s[78:79]
	s_and_saveexec_b64 s[78:79], s[4:5]
	s_cbranch_execz .LBB205_47
.LBB205_79:                             ;   in Loop: Header=BB205_45 Depth=1
	ds_read_b32 v11, v6 offset:24580
	s_waitcnt lgkmcnt(0)
	v_add_u32_e32 v10, v11, v10
	s_or_b64 exec, exec, s[78:79]
	s_and_saveexec_b64 s[78:79], s[6:7]
	s_cbranch_execz .LBB205_48
.LBB205_80:                             ;   in Loop: Header=BB205_45 Depth=1
	ds_read_b32 v11, v6 offset:24584
	s_waitcnt lgkmcnt(0)
	v_add_u32_e32 v10, v11, v10
	s_or_b64 exec, exec, s[78:79]
	s_and_saveexec_b64 s[78:79], s[8:9]
	s_cbranch_execz .LBB205_49
.LBB205_81:                             ;   in Loop: Header=BB205_45 Depth=1
	ds_read_b32 v11, v6 offset:24588
	s_waitcnt lgkmcnt(0)
	v_add_u32_e32 v10, v11, v10
	s_or_b64 exec, exec, s[78:79]
	s_and_saveexec_b64 s[78:79], s[10:11]
	s_cbranch_execz .LBB205_50
.LBB205_82:                             ;   in Loop: Header=BB205_45 Depth=1
	ds_read_b32 v11, v6 offset:24592
	s_waitcnt lgkmcnt(0)
	v_add_u32_e32 v10, v11, v10
	s_or_b64 exec, exec, s[78:79]
	s_and_saveexec_b64 s[78:79], s[12:13]
	s_cbranch_execz .LBB205_51
.LBB205_83:                             ;   in Loop: Header=BB205_45 Depth=1
	ds_read_b32 v11, v6 offset:24596
	s_waitcnt lgkmcnt(0)
	v_add_u32_e32 v10, v11, v10
	s_or_b64 exec, exec, s[78:79]
	s_and_saveexec_b64 s[78:79], s[14:15]
	s_cbranch_execz .LBB205_52
.LBB205_84:                             ;   in Loop: Header=BB205_45 Depth=1
	ds_read_b32 v11, v6 offset:24600
	s_waitcnt lgkmcnt(0)
	v_add_u32_e32 v10, v11, v10
	s_or_b64 exec, exec, s[78:79]
	s_and_saveexec_b64 s[78:79], s[16:17]
	s_cbranch_execz .LBB205_53
.LBB205_85:                             ;   in Loop: Header=BB205_45 Depth=1
	ds_read_b32 v11, v6 offset:24604
	s_waitcnt lgkmcnt(0)
	v_add_u32_e32 v10, v11, v10
	s_or_b64 exec, exec, s[78:79]
	s_and_saveexec_b64 s[78:79], s[18:19]
	s_cbranch_execz .LBB205_54
.LBB205_86:                             ;   in Loop: Header=BB205_45 Depth=1
	ds_read_b32 v11, v6 offset:24608
	s_waitcnt lgkmcnt(0)
	v_add_u32_e32 v10, v11, v10
	s_or_b64 exec, exec, s[78:79]
	s_and_saveexec_b64 s[78:79], s[20:21]
	s_cbranch_execz .LBB205_55
.LBB205_87:                             ;   in Loop: Header=BB205_45 Depth=1
	ds_read_b32 v11, v6 offset:24612
	s_waitcnt lgkmcnt(0)
	v_add_u32_e32 v10, v11, v10
	s_or_b64 exec, exec, s[78:79]
	s_and_saveexec_b64 s[78:79], s[22:23]
	s_cbranch_execz .LBB205_56
.LBB205_88:                             ;   in Loop: Header=BB205_45 Depth=1
	ds_read_b32 v11, v6 offset:24616
	s_waitcnt lgkmcnt(0)
	v_add_u32_e32 v10, v11, v10
	s_or_b64 exec, exec, s[78:79]
	s_and_saveexec_b64 s[78:79], s[24:25]
	s_cbranch_execz .LBB205_57
.LBB205_89:                             ;   in Loop: Header=BB205_45 Depth=1
	ds_read_b32 v11, v6 offset:24620
	s_waitcnt lgkmcnt(0)
	v_add_u32_e32 v10, v11, v10
	s_or_b64 exec, exec, s[78:79]
	s_and_saveexec_b64 s[78:79], s[26:27]
	s_cbranch_execz .LBB205_58
.LBB205_90:                             ;   in Loop: Header=BB205_45 Depth=1
	ds_read_b32 v11, v6 offset:24624
	s_waitcnt lgkmcnt(0)
	v_add_u32_e32 v10, v11, v10
	s_or_b64 exec, exec, s[78:79]
	s_and_saveexec_b64 s[78:79], s[28:29]
	s_cbranch_execz .LBB205_59
.LBB205_91:                             ;   in Loop: Header=BB205_45 Depth=1
	ds_read_b32 v11, v6 offset:24628
	s_waitcnt lgkmcnt(0)
	v_add_u32_e32 v10, v11, v10
	s_or_b64 exec, exec, s[78:79]
	s_and_saveexec_b64 s[78:79], s[30:31]
	s_cbranch_execz .LBB205_60
.LBB205_92:                             ;   in Loop: Header=BB205_45 Depth=1
	ds_read_b32 v11, v6 offset:24632
	s_waitcnt lgkmcnt(0)
	v_add_u32_e32 v10, v11, v10
	s_or_b64 exec, exec, s[78:79]
	s_and_saveexec_b64 s[78:79], s[34:35]
	s_cbranch_execz .LBB205_61
.LBB205_93:                             ;   in Loop: Header=BB205_45 Depth=1
	ds_read_b32 v11, v6 offset:24636
	s_waitcnt lgkmcnt(0)
	v_add_u32_e32 v10, v11, v10
	s_or_b64 exec, exec, s[78:79]
	s_and_saveexec_b64 s[78:79], s[36:37]
	s_cbranch_execz .LBB205_62
.LBB205_94:                             ;   in Loop: Header=BB205_45 Depth=1
	ds_read_b32 v11, v6 offset:24640
	s_waitcnt lgkmcnt(0)
	v_add_u32_e32 v10, v11, v10
	s_or_b64 exec, exec, s[78:79]
	s_and_saveexec_b64 s[78:79], s[38:39]
	s_cbranch_execz .LBB205_63
.LBB205_95:                             ;   in Loop: Header=BB205_45 Depth=1
	ds_read_b32 v11, v6 offset:24644
	s_waitcnt lgkmcnt(0)
	v_add_u32_e32 v10, v11, v10
	s_or_b64 exec, exec, s[78:79]
	s_and_saveexec_b64 s[78:79], s[40:41]
	s_cbranch_execz .LBB205_64
.LBB205_96:                             ;   in Loop: Header=BB205_45 Depth=1
	ds_read_b32 v11, v6 offset:24648
	s_waitcnt lgkmcnt(0)
	v_add_u32_e32 v10, v11, v10
	s_or_b64 exec, exec, s[78:79]
	s_and_saveexec_b64 s[78:79], s[42:43]
	s_cbranch_execz .LBB205_65
.LBB205_97:                             ;   in Loop: Header=BB205_45 Depth=1
	ds_read_b32 v11, v6 offset:24652
	s_waitcnt lgkmcnt(0)
	v_add_u32_e32 v10, v11, v10
	s_or_b64 exec, exec, s[78:79]
	s_and_saveexec_b64 s[78:79], s[44:45]
	s_cbranch_execz .LBB205_66
.LBB205_98:                             ;   in Loop: Header=BB205_45 Depth=1
	ds_read_b32 v11, v6 offset:24656
	s_waitcnt lgkmcnt(0)
	v_add_u32_e32 v10, v11, v10
	s_or_b64 exec, exec, s[78:79]
	s_and_saveexec_b64 s[78:79], s[46:47]
	s_cbranch_execz .LBB205_67
.LBB205_99:                             ;   in Loop: Header=BB205_45 Depth=1
	ds_read_b32 v11, v6 offset:24660
	s_waitcnt lgkmcnt(0)
	v_add_u32_e32 v10, v11, v10
	s_or_b64 exec, exec, s[78:79]
	s_and_saveexec_b64 s[78:79], s[48:49]
	s_cbranch_execz .LBB205_68
.LBB205_100:                            ;   in Loop: Header=BB205_45 Depth=1
	ds_read_b32 v11, v6 offset:24664
	s_waitcnt lgkmcnt(0)
	v_add_u32_e32 v10, v11, v10
	s_or_b64 exec, exec, s[78:79]
	s_and_saveexec_b64 s[78:79], s[50:51]
	s_cbranch_execz .LBB205_69
.LBB205_101:                            ;   in Loop: Header=BB205_45 Depth=1
	ds_read_b32 v11, v6 offset:24668
	s_waitcnt lgkmcnt(0)
	v_add_u32_e32 v10, v11, v10
	s_or_b64 exec, exec, s[78:79]
	s_and_saveexec_b64 s[78:79], s[52:53]
	s_cbranch_execz .LBB205_70
.LBB205_102:                            ;   in Loop: Header=BB205_45 Depth=1
	ds_read_b32 v11, v6 offset:24672
	s_waitcnt lgkmcnt(0)
	v_add_u32_e32 v10, v11, v10
	s_or_b64 exec, exec, s[78:79]
	s_and_saveexec_b64 s[78:79], s[54:55]
	s_cbranch_execz .LBB205_71
.LBB205_103:                            ;   in Loop: Header=BB205_45 Depth=1
	ds_read_b32 v11, v6 offset:24676
	s_waitcnt lgkmcnt(0)
	v_add_u32_e32 v10, v11, v10
	s_or_b64 exec, exec, s[78:79]
	s_and_saveexec_b64 s[78:79], s[56:57]
	s_cbranch_execz .LBB205_72
.LBB205_104:                            ;   in Loop: Header=BB205_45 Depth=1
	ds_read_b32 v11, v6 offset:24680
	s_waitcnt lgkmcnt(0)
	v_add_u32_e32 v10, v11, v10
	s_or_b64 exec, exec, s[78:79]
	s_and_saveexec_b64 s[78:79], s[58:59]
	s_cbranch_execz .LBB205_73
.LBB205_105:                            ;   in Loop: Header=BB205_45 Depth=1
	ds_read_b32 v11, v6 offset:24684
	s_waitcnt lgkmcnt(0)
	v_add_u32_e32 v10, v11, v10
	s_or_b64 exec, exec, s[78:79]
	s_and_saveexec_b64 s[78:79], s[60:61]
	s_cbranch_execz .LBB205_74
.LBB205_106:                            ;   in Loop: Header=BB205_45 Depth=1
	ds_read_b32 v11, v6 offset:24688
	s_waitcnt lgkmcnt(0)
	v_add_u32_e32 v10, v11, v10
	s_or_b64 exec, exec, s[78:79]
	s_and_saveexec_b64 s[78:79], s[62:63]
	s_cbranch_execz .LBB205_75
.LBB205_107:                            ;   in Loop: Header=BB205_45 Depth=1
	ds_read_b32 v11, v6 offset:24692
	s_waitcnt lgkmcnt(0)
	v_add_u32_e32 v10, v11, v10
	s_or_b64 exec, exec, s[78:79]
	s_and_saveexec_b64 s[78:79], s[64:65]
	s_cbranch_execz .LBB205_76
.LBB205_108:                            ;   in Loop: Header=BB205_45 Depth=1
	ds_read_b32 v11, v6 offset:24696
	s_waitcnt lgkmcnt(0)
	v_add_u32_e32 v10, v11, v10
	s_or_b64 exec, exec, s[78:79]
	s_and_saveexec_b64 s[78:79], vcc
	s_cbranch_execz .LBB205_77
.LBB205_109:                            ;   in Loop: Header=BB205_45 Depth=1
	v_add3_u32 v11, v8, -1, v10
	v_lshl_add_u32 v12, v11, 2, 0
	v_lshl_add_u32 v11, v11, 3, 0
	ds_write_b32 v12, v9
	ds_write_b64 v11, v[4:5] offset:8192
	s_or_b64 exec, exec, s[78:79]
	s_and_saveexec_b64 s[78:79], s[0:1]
	s_cbranch_execz .LBB205_44
.LBB205_110:                            ;   in Loop: Header=BB205_45 Depth=1
	ds_write_b32 v6, v10 offset:24700
	s_branch .LBB205_44
.LBB205_111:
	s_or_b64 exec, exec, s[68:69]
	s_ashr_i32 s77, s76, 31
	s_lshl_b64 s[0:1], s[76:77], 3
	s_add_u32 s0, s66, s0
	s_addc_u32 s1, s67, s1
	s_load_dwordx4 s[0:3], s[0:1], 0x0
	s_waitcnt lgkmcnt(0)
	s_sub_i32 s8, s2, s0
	v_cmp_gt_i32_e32 vcc, s8, v0
	s_and_saveexec_b64 s[4:5], vcc
	s_cbranch_execz .LBB205_121
; %bb.112:
	s_sub_u32 s4, s0, s70
	s_subb_u32 s5, s1, 0
	s_and_b32 s9, s8, 7
	s_sub_i32 s0, s0, s2
	s_cmp_lt_u32 s0, -7
	s_cselect_b64 s[0:1], -1, 0
	s_and_b32 s10, s8, -8
	s_cmp_lg_u32 s9, 0
	v_cndmask_b32_e64 v1, 0, 1, s[0:1]
	s_cselect_b64 s[2:3], -1, 0
	v_cmp_ne_u32_e64 s[0:1], 1, v1
	v_cndmask_b32_e64 v1, 0, 1, s[2:3]
	s_mov_b64 s[6:7], 0
	v_cmp_ne_u32_e64 s[2:3], 1, v1
	s_branch .LBB205_114
.LBB205_113:                            ;   in Loop: Header=BB205_114 Depth=1
	v_lshlrev_b64 v[6:7], 2, v[4:5]
	v_mov_b32_e32 v8, s73
	v_add_co_u32_e32 v6, vcc, s72, v6
	s_waitcnt lgkmcnt(1)
	v_add_u32_e32 v1, s70, v1
	v_addc_co_u32_e32 v7, vcc, v8, v7, vcc
	v_lshlrev_b64 v[4:5], 3, v[4:5]
	global_store_dword v[6:7], v1, off
	v_mov_b32_e32 v1, s75
	v_add_co_u32_e32 v4, vcc, s74, v4
	v_addc_co_u32_e32 v5, vcc, v1, v5, vcc
	v_add_u32_e32 v0, 0x400, v0
	v_cmp_le_i32_e32 vcc, s8, v0
	s_or_b64 s[6:7], vcc, s[6:7]
	s_waitcnt lgkmcnt(0)
	global_store_dwordx2 v[4:5], v[2:3], off
	s_andn2_b64 exec, exec, s[6:7]
	s_cbranch_execz .LBB205_121
.LBB205_114:                            ; =>This Loop Header: Depth=1
                                        ;     Child Loop BB205_116 Depth 2
                                        ;     Child Loop BB205_120 Depth 2
	v_lshlrev_b32_e32 v1, 2, v0
	v_add_u32_e32 v2, 0, v1
	v_add_u32_e32 v3, v2, v1
	ds_read_b32 v1, v2
	ds_read_b64 v[2:3], v3 offset:8192
	s_and_b64 vcc, exec, s[0:1]
	v_pk_mov_b32 v[4:5], s[4:5], s[4:5] op_sel:[0,1]
	s_mov_b32 s11, 0
	s_cbranch_vccnz .LBB205_118
; %bb.115:                              ;   in Loop: Header=BB205_114 Depth=1
	s_mov_b32 s12, 0
	v_pk_mov_b32 v[4:5], s[4:5], s[4:5] op_sel:[0,1]
.LBB205_116:                            ;   Parent Loop BB205_114 Depth=1
                                        ; =>  This Inner Loop Header: Depth=2
	v_mov_b32_e32 v12, s12
	ds_read2_b32 v[6:7], v12 offset1:1
	ds_read2_b32 v[8:9], v12 offset0:2 offset1:3
	ds_read2_b32 v[10:11], v12 offset0:4 offset1:5
	;; [unrolled: 1-line block ×3, first 2 shown]
	s_add_i32 s11, s11, 8
	s_waitcnt lgkmcnt(3)
	v_cmp_gt_i32_e32 vcc, v1, v6
	v_cndmask_b32_e64 v6, 0, 1, vcc
	v_cmp_gt_i32_e32 vcc, v1, v7
	v_cndmask_b32_e64 v7, 0, 1, vcc
	s_waitcnt lgkmcnt(2)
	v_cmp_gt_i32_e32 vcc, v1, v8
	v_cndmask_b32_e64 v8, 0, 1, vcc
	v_cmp_gt_i32_e32 vcc, v1, v9
	v_cndmask_b32_e64 v9, 0, 1, vcc
	;; [unrolled: 5-line block ×4, first 2 shown]
	v_add_co_u32_e32 v4, vcc, v4, v6
	v_addc_co_u32_e32 v5, vcc, 0, v5, vcc
	v_add_co_u32_e32 v4, vcc, v4, v7
	v_addc_co_u32_e32 v5, vcc, 0, v5, vcc
	;; [unrolled: 2-line block ×7, first 2 shown]
	s_add_i32 s12, s12, 32
	v_add_co_u32_e32 v4, vcc, v4, v13
	s_cmp_eq_u32 s10, s11
	v_addc_co_u32_e32 v5, vcc, 0, v5, vcc
	s_cbranch_scc0 .LBB205_116
; %bb.117:                              ;   in Loop: Header=BB205_114 Depth=1
	s_mov_b32 s11, s10
.LBB205_118:                            ;   in Loop: Header=BB205_114 Depth=1
	s_and_b64 vcc, exec, s[2:3]
	s_cbranch_vccnz .LBB205_113
; %bb.119:                              ;   in Loop: Header=BB205_114 Depth=1
	s_lshl_b32 s11, s11, 2
	s_add_i32 s11, s11, 0
	s_mov_b32 s12, s9
.LBB205_120:                            ;   Parent Loop BB205_114 Depth=1
                                        ; =>  This Inner Loop Header: Depth=2
	v_mov_b32_e32 v6, s11
	ds_read_b32 v6, v6
	s_add_i32 s11, s11, 4
	s_add_i32 s12, s12, -1
	s_cmp_lg_u32 s12, 0
	s_waitcnt lgkmcnt(0)
	v_cmp_gt_i32_e32 vcc, v1, v6
	v_cndmask_b32_e64 v6, 0, 1, vcc
	v_add_co_u32_e32 v4, vcc, v4, v6
	v_addc_co_u32_e32 v5, vcc, 0, v5, vcc
	s_cbranch_scc1 .LBB205_120
	s_branch .LBB205_113
.LBB205_121:
	s_endpgm
	.section	.rodata,"a",@progbits
	.p2align	6, 0x0
	.amdhsa_kernel _ZN9rocsparseL26csrgemm_fill_block_per_rowILj1024ELj32ELj2048ELj137ELj32ElidEEvT5_PKS1_S3_NS_24const_host_device_scalarIT6_EEPKT4_S3_PKS5_S9_S3_SB_S6_S9_S3_SB_S9_PS1_PS5_21rocsparse_index_base_SE_SE_SE_bbb
		.amdhsa_group_segment_fixed_size 0
		.amdhsa_private_segment_fixed_size 0
		.amdhsa_kernarg_size 156
		.amdhsa_user_sgpr_count 6
		.amdhsa_user_sgpr_private_segment_buffer 1
		.amdhsa_user_sgpr_dispatch_ptr 0
		.amdhsa_user_sgpr_queue_ptr 0
		.amdhsa_user_sgpr_kernarg_segment_ptr 1
		.amdhsa_user_sgpr_dispatch_id 0
		.amdhsa_user_sgpr_flat_scratch_init 0
		.amdhsa_user_sgpr_kernarg_preload_length 0
		.amdhsa_user_sgpr_kernarg_preload_offset 0
		.amdhsa_user_sgpr_private_segment_size 0
		.amdhsa_uses_dynamic_stack 0
		.amdhsa_system_sgpr_private_segment_wavefront_offset 0
		.amdhsa_system_sgpr_workgroup_id_x 1
		.amdhsa_system_sgpr_workgroup_id_y 0
		.amdhsa_system_sgpr_workgroup_id_z 0
		.amdhsa_system_sgpr_workgroup_info 0
		.amdhsa_system_vgpr_workitem_id 0
		.amdhsa_next_free_vgpr 28
		.amdhsa_next_free_sgpr 80
		.amdhsa_accum_offset 28
		.amdhsa_reserve_vcc 1
		.amdhsa_reserve_flat_scratch 0
		.amdhsa_float_round_mode_32 0
		.amdhsa_float_round_mode_16_64 0
		.amdhsa_float_denorm_mode_32 3
		.amdhsa_float_denorm_mode_16_64 3
		.amdhsa_dx10_clamp 1
		.amdhsa_ieee_mode 1
		.amdhsa_fp16_overflow 0
		.amdhsa_tg_split 0
		.amdhsa_exception_fp_ieee_invalid_op 0
		.amdhsa_exception_fp_denorm_src 0
		.amdhsa_exception_fp_ieee_div_zero 0
		.amdhsa_exception_fp_ieee_overflow 0
		.amdhsa_exception_fp_ieee_underflow 0
		.amdhsa_exception_fp_ieee_inexact 0
		.amdhsa_exception_int_div_zero 0
	.end_amdhsa_kernel
	.section	.text._ZN9rocsparseL26csrgemm_fill_block_per_rowILj1024ELj32ELj2048ELj137ELj32ElidEEvT5_PKS1_S3_NS_24const_host_device_scalarIT6_EEPKT4_S3_PKS5_S9_S3_SB_S6_S9_S3_SB_S9_PS1_PS5_21rocsparse_index_base_SE_SE_SE_bbb,"axG",@progbits,_ZN9rocsparseL26csrgemm_fill_block_per_rowILj1024ELj32ELj2048ELj137ELj32ElidEEvT5_PKS1_S3_NS_24const_host_device_scalarIT6_EEPKT4_S3_PKS5_S9_S3_SB_S6_S9_S3_SB_S9_PS1_PS5_21rocsparse_index_base_SE_SE_SE_bbb,comdat
.Lfunc_end205:
	.size	_ZN9rocsparseL26csrgemm_fill_block_per_rowILj1024ELj32ELj2048ELj137ELj32ElidEEvT5_PKS1_S3_NS_24const_host_device_scalarIT6_EEPKT4_S3_PKS5_S9_S3_SB_S6_S9_S3_SB_S9_PS1_PS5_21rocsparse_index_base_SE_SE_SE_bbb, .Lfunc_end205-_ZN9rocsparseL26csrgemm_fill_block_per_rowILj1024ELj32ELj2048ELj137ELj32ElidEEvT5_PKS1_S3_NS_24const_host_device_scalarIT6_EEPKT4_S3_PKS5_S9_S3_SB_S6_S9_S3_SB_S9_PS1_PS5_21rocsparse_index_base_SE_SE_SE_bbb
                                        ; -- End function
	.section	.AMDGPU.csdata,"",@progbits
; Kernel info:
; codeLenInByte = 3976
; NumSgprs: 84
; NumVgprs: 28
; NumAgprs: 0
; TotalNumVgprs: 28
; ScratchSize: 0
; MemoryBound: 0
; FloatMode: 240
; IeeeMode: 1
; LDSByteSize: 0 bytes/workgroup (compile time only)
; SGPRBlocks: 10
; VGPRBlocks: 3
; NumSGPRsForWavesPerEU: 84
; NumVGPRsForWavesPerEU: 28
; AccumOffset: 28
; Occupancy: 8
; WaveLimiterHint : 1
; COMPUTE_PGM_RSRC2:SCRATCH_EN: 0
; COMPUTE_PGM_RSRC2:USER_SGPR: 6
; COMPUTE_PGM_RSRC2:TRAP_HANDLER: 0
; COMPUTE_PGM_RSRC2:TGID_X_EN: 1
; COMPUTE_PGM_RSRC2:TGID_Y_EN: 0
; COMPUTE_PGM_RSRC2:TGID_Z_EN: 0
; COMPUTE_PGM_RSRC2:TIDIG_COMP_CNT: 0
; COMPUTE_PGM_RSRC3_GFX90A:ACCUM_OFFSET: 6
; COMPUTE_PGM_RSRC3_GFX90A:TG_SPLIT: 0
	.section	.text._ZN9rocsparseL26csrgemm_fill_block_per_rowILj1024ELj32ELj2048ELj137ELj64ElidEEvT5_PKS1_S3_NS_24const_host_device_scalarIT6_EEPKT4_S3_PKS5_S9_S3_SB_S6_S9_S3_SB_S9_PS1_PS5_21rocsparse_index_base_SE_SE_SE_bbb,"axG",@progbits,_ZN9rocsparseL26csrgemm_fill_block_per_rowILj1024ELj32ELj2048ELj137ELj64ElidEEvT5_PKS1_S3_NS_24const_host_device_scalarIT6_EEPKT4_S3_PKS5_S9_S3_SB_S6_S9_S3_SB_S9_PS1_PS5_21rocsparse_index_base_SE_SE_SE_bbb,comdat
	.globl	_ZN9rocsparseL26csrgemm_fill_block_per_rowILj1024ELj32ELj2048ELj137ELj64ElidEEvT5_PKS1_S3_NS_24const_host_device_scalarIT6_EEPKT4_S3_PKS5_S9_S3_SB_S6_S9_S3_SB_S9_PS1_PS5_21rocsparse_index_base_SE_SE_SE_bbb ; -- Begin function _ZN9rocsparseL26csrgemm_fill_block_per_rowILj1024ELj32ELj2048ELj137ELj64ElidEEvT5_PKS1_S3_NS_24const_host_device_scalarIT6_EEPKT4_S3_PKS5_S9_S3_SB_S6_S9_S3_SB_S9_PS1_PS5_21rocsparse_index_base_SE_SE_SE_bbb
	.p2align	8
	.type	_ZN9rocsparseL26csrgemm_fill_block_per_rowILj1024ELj32ELj2048ELj137ELj64ElidEEvT5_PKS1_S3_NS_24const_host_device_scalarIT6_EEPKT4_S3_PKS5_S9_S3_SB_S6_S9_S3_SB_S9_PS1_PS5_21rocsparse_index_base_SE_SE_SE_bbb,@function
_ZN9rocsparseL26csrgemm_fill_block_per_rowILj1024ELj32ELj2048ELj137ELj64ElidEEvT5_PKS1_S3_NS_24const_host_device_scalarIT6_EEPKT4_S3_PKS5_S9_S3_SB_S6_S9_S3_SB_S9_PS1_PS5_21rocsparse_index_base_SE_SE_SE_bbb: ; @_ZN9rocsparseL26csrgemm_fill_block_per_rowILj1024ELj32ELj2048ELj137ELj64ElidEEvT5_PKS1_S3_NS_24const_host_device_scalarIT6_EEPKT4_S3_PKS5_S9_S3_SB_S6_S9_S3_SB_S9_PS1_PS5_21rocsparse_index_base_SE_SE_SE_bbb
; %bb.0:
	s_load_dword s7, s[4:5], 0x98
	s_load_dwordx4 s[44:47], s[4:5], 0x88
	s_load_dwordx2 s[0:1], s[4:5], 0x18
	s_load_dwordx2 s[24:25], s[4:5], 0x50
	s_waitcnt lgkmcnt(0)
	s_and_b32 s2, 1, s7
	s_bitcmp1_b32 s7, 16
	s_cselect_b64 s[26:27], -1, 0
	s_cmp_eq_u32 s2, 1
	s_cselect_b64 s[22:23], -1, 0
	s_and_b64 s[2:3], s[22:23], exec
	s_cselect_b32 s3, s1, 0
	s_cselect_b32 s2, s0, 0
	s_xor_b64 s[8:9], s[22:23], -1
	s_or_b64 s[8:9], s[8:9], s[26:27]
	s_and_b64 vcc, exec, s[8:9]
	v_pk_mov_b32 v[4:5], s[2:3], s[2:3] op_sel:[0,1]
	s_cbranch_vccnz .LBB206_2
; %bb.1:
	v_pk_mov_b32 v[2:3], s[0:1], s[0:1] op_sel:[0,1]
	flat_load_dwordx2 v[4:5], v[2:3]
.LBB206_2:
	s_load_dwordx4 s[48:51], s[4:5], 0x78
	s_load_dwordx8 s[36:43], s[4:5], 0x58
	s_load_dwordx4 s[0:3], s[4:5], 0x40
	s_load_dwordx4 s[16:19], s[4:5], 0x8
	s_load_dwordx8 s[8:15], s[4:5], 0x20
	s_bitcmp1_b32 s7, 8
	s_cselect_b64 s[20:21], -1, 0
	s_and_b64 s[28:29], s[20:21], exec
	s_cselect_b32 s29, s25, 0
	s_cselect_b32 s28, s24, 0
	s_xor_b64 s[30:31], s[20:21], -1
	s_or_b64 s[26:27], s[30:31], s[26:27]
	s_and_b64 vcc, exec, s[26:27]
	v_pk_mov_b32 v[2:3], s[28:29], s[28:29] op_sel:[0,1]
	s_cbranch_vccnz .LBB206_4
; %bb.3:
	v_pk_mov_b32 v[2:3], s[24:25], s[24:25] op_sel:[0,1]
	flat_load_dwordx2 v[2:3], v[2:3]
.LBB206_4:
	s_load_dword s33, s[4:5], 0x0
	v_lshl_add_u32 v1, v0, 3, 0
	v_mov_b32_e32 v6, 0
	v_add_u32_e32 v1, 0x2000, v1
	v_or_b32_e32 v16, 0xfffffc00, v0
	v_lshl_add_u32 v17, v0, 2, 0
	s_mov_b64 s[4:5], 0
	s_waitcnt lgkmcnt(0)
	v_mov_b32_e32 v8, s33
	v_mov_b32_e32 v7, v6
	;; [unrolled: 1-line block ×5, first 2 shown]
.LBB206_5:                              ; =>This Inner Loop Header: Depth=1
	v_add_co_u32_e32 v10, vcc, 0x400, v10
	s_xor_b64 s[24:25], vcc, -1
	s_and_b64 s[24:25], exec, s[24:25]
	ds_write_b32 v9, v8
	ds_write_b64 v11, v[6:7]
	v_add_u32_e32 v11, 0x2000, v11
	s_or_b64 s[4:5], s[24:25], s[4:5]
	v_add_u32_e32 v9, 0x1000, v9
	s_andn2_b64 exec, exec, s[4:5]
	s_cbranch_execnz .LBB206_5
; %bb.6:
	s_or_b64 exec, exec, s[4:5]
	s_waitcnt lgkmcnt(0)
	s_barrier
	s_load_dword s4, s[16:17], 0x0
	s_mov_b32 s5, 0
	s_waitcnt lgkmcnt(0)
	s_add_i32 s4, s4, s6
	s_lshl_b64 s[4:5], s[4:5], 2
	s_add_u32 s4, s18, s4
	s_addc_u32 s5, s19, s5
	s_load_dword s34, s[4:5], 0x0
	s_and_b64 vcc, exec, s[22:23]
	s_cbranch_vccz .LBB206_26
; %bb.7:
	s_waitcnt lgkmcnt(0)
	s_ashr_i32 s35, s34, 31
	s_lshl_b64 s[4:5], s[34:35], 3
	s_add_u32 s4, s8, s4
	s_addc_u32 s5, s9, s5
	s_load_dwordx4 s[16:19], s[4:5], 0x0
	v_lshrrev_b32_e32 v6, 5, v0
	v_subrev_co_u32_e32 v6, vcc, s44, v6
	v_subb_co_u32_e64 v7, s[6:7], 0, 0, vcc
	s_waitcnt lgkmcnt(0)
	s_sub_u32 s4, s18, s44
	v_mov_b32_e32 v8, s17
	v_add_co_u32_e32 v6, vcc, s16, v6
	s_subb_u32 s5, s19, 0
	v_addc_co_u32_e32 v7, vcc, v8, v7, vcc
	v_cmp_gt_i64_e32 vcc, s[4:5], v[6:7]
	s_and_saveexec_b64 s[6:7], vcc
	s_cbranch_execz .LBB206_25
; %bb.8:
	v_and_b32_e32 v8, 31, v0
	v_subrev_co_u32_e32 v18, vcc, s45, v8
	s_mov_b32 s16, 0
	v_subb_co_u32_e64 v19, s[8:9], 0, 0, vcc
	s_mov_b32 s35, s45
	s_mov_b64 s[8:9], 0
	v_mov_b32_e32 v20, s11
	v_mov_b32_e32 v21, s15
	;; [unrolled: 1-line block ×3, first 2 shown]
	s_movk_i32 s11, 0x89
	s_branch .LBB206_10
.LBB206_9:                              ;   in Loop: Header=BB206_10 Depth=1
	s_or_b64 exec, exec, s[16:17]
	v_add_co_u32_e32 v6, vcc, 32, v6
	v_addc_co_u32_e32 v7, vcc, 0, v7, vcc
	v_cmp_le_i64_e32 vcc, s[4:5], v[6:7]
	s_or_b64 s[8:9], vcc, s[8:9]
	s_andn2_b64 exec, exec, s[8:9]
	s_cbranch_execz .LBB206_25
.LBB206_10:                             ; =>This Loop Header: Depth=1
                                        ;     Child Loop BB206_13 Depth 2
                                        ;       Child Loop BB206_15 Depth 3
	v_lshlrev_b64 v[8:9], 2, v[6:7]
	v_add_co_u32_e32 v8, vcc, s10, v8
	v_addc_co_u32_e32 v9, vcc, v20, v9, vcc
	global_load_dword v8, v[8:9], off
	s_waitcnt vmcnt(0)
	v_subrev_u32_e32 v8, s44, v8
	v_ashrrev_i32_e32 v9, 31, v8
	v_lshlrev_b64 v[8:9], 3, v[8:9]
	v_add_co_u32_e32 v8, vcc, s14, v8
	v_addc_co_u32_e32 v9, vcc, v21, v9, vcc
	global_load_dwordx4 v[10:13], v[8:9], off
	s_waitcnt vmcnt(0)
	v_subrev_co_u32_e32 v8, vcc, s35, v12
	v_subb_co_u32_e32 v9, vcc, v13, v22, vcc
	v_add_co_u32_e32 v10, vcc, v10, v18
	v_addc_co_u32_e32 v11, vcc, v11, v19, vcc
	v_cmp_lt_i64_e32 vcc, v[10:11], v[8:9]
	s_and_saveexec_b64 s[16:17], vcc
	s_cbranch_execz .LBB206_9
; %bb.11:                               ;   in Loop: Header=BB206_10 Depth=1
	v_lshlrev_b64 v[12:13], 3, v[6:7]
	v_mov_b32_e32 v14, s13
	v_add_co_u32_e32 v12, vcc, s12, v12
	v_addc_co_u32_e32 v13, vcc, v14, v13, vcc
	global_load_dwordx2 v[12:13], v[12:13], off
	s_mov_b64 s[18:19], 0
	s_waitcnt vmcnt(0)
	v_mul_f64 v[12:13], v[4:5], v[12:13]
	s_branch .LBB206_13
.LBB206_12:                             ;   in Loop: Header=BB206_13 Depth=2
	s_or_b64 exec, exec, s[22:23]
	v_add_co_u32_e32 v10, vcc, 32, v10
	v_addc_co_u32_e32 v11, vcc, 0, v11, vcc
	v_cmp_ge_i64_e32 vcc, v[10:11], v[8:9]
	s_or_b64 s[18:19], vcc, s[18:19]
	s_andn2_b64 exec, exec, s[18:19]
	s_cbranch_execz .LBB206_9
.LBB206_13:                             ;   Parent Loop BB206_10 Depth=1
                                        ; =>  This Loop Header: Depth=2
                                        ;       Child Loop BB206_15 Depth 3
	v_lshlrev_b64 v[14:15], 2, v[10:11]
	v_mov_b32_e32 v23, s1
	v_add_co_u32_e32 v14, vcc, s0, v14
	v_addc_co_u32_e32 v15, vcc, v23, v15, vcc
	global_load_dword v23, v[14:15], off
	v_lshlrev_b64 v[14:15], 3, v[10:11]
	v_mov_b32_e32 v24, s3
	v_add_co_u32_e32 v14, vcc, s2, v14
	v_addc_co_u32_e32 v15, vcc, v24, v15, vcc
	global_load_dwordx2 v[14:15], v[14:15], off
	s_mov_b64 s[22:23], 0
	s_waitcnt vmcnt(1)
	v_subrev_u32_e32 v23, s45, v23
	v_mul_lo_u32 v24, v23, s11
	v_and_b32_e32 v24, 0x7ff, v24
	s_waitcnt vmcnt(0)
	v_mul_f64 v[14:15], v[12:13], v[14:15]
	s_branch .LBB206_15
.LBB206_14:                             ;   in Loop: Header=BB206_15 Depth=3
	s_or_b64 exec, exec, s[24:25]
	s_xor_b64 s[24:25], s[26:27], -1
	s_and_b64 s[24:25], exec, s[24:25]
	s_or_b64 s[22:23], s[24:25], s[22:23]
	s_andn2_b64 exec, exec, s[22:23]
	s_cbranch_execz .LBB206_12
.LBB206_15:                             ;   Parent Loop BB206_10 Depth=1
                                        ;     Parent Loop BB206_13 Depth=2
                                        ; =>    This Inner Loop Header: Depth=3
	v_lshl_add_u32 v25, v24, 2, 0
	ds_read_b32 v26, v25
                                        ; implicit-def: $sgpr26_sgpr27
	s_waitcnt lgkmcnt(0)
	v_cmp_ne_u32_e32 vcc, v26, v23
	s_and_saveexec_b64 s[24:25], vcc
	s_xor_b64 s[24:25], exec, s[24:25]
	s_cbranch_execz .LBB206_23
; %bb.16:                               ;   in Loop: Header=BB206_15 Depth=3
	v_cmp_ne_u32_e32 vcc, s33, v26
                                        ; implicit-def: $sgpr26_sgpr27
	s_and_saveexec_b64 s[28:29], vcc
	s_xor_b64 s[28:29], exec, s[28:29]
; %bb.17:                               ;   in Loop: Header=BB206_15 Depth=3
	v_add_u32_e32 v24, 1, v24
	v_and_b32_e32 v24, 0x7ff, v24
	s_mov_b64 s[26:27], -1
                                        ; implicit-def: $vgpr25
; %bb.18:                               ;   in Loop: Header=BB206_15 Depth=3
	s_andn2_saveexec_b64 s[28:29], s[28:29]
	s_cbranch_execz .LBB206_22
; %bb.19:                               ;   in Loop: Header=BB206_15 Depth=3
	v_mov_b32_e32 v26, s33
	ds_cmpst_rtn_b32 v26, v25, v26, v23
	s_mov_b64 s[30:31], -1
	s_waitcnt lgkmcnt(0)
	v_cmp_eq_u32_e32 vcc, s33, v26
	s_and_saveexec_b64 s[52:53], vcc
	s_cbranch_execz .LBB206_21
; %bb.20:                               ;   in Loop: Header=BB206_15 Depth=3
	v_lshl_add_u32 v25, v24, 2, v25
	ds_add_f64 v25, v[14:15] offset:8192
	s_xor_b64 s[30:31], exec, -1
.LBB206_21:                             ;   in Loop: Header=BB206_15 Depth=3
	s_or_b64 exec, exec, s[52:53]
	s_andn2_b64 s[26:27], s[26:27], exec
	s_and_b64 s[30:31], s[30:31], exec
	s_or_b64 s[26:27], s[26:27], s[30:31]
.LBB206_22:                             ;   in Loop: Header=BB206_15 Depth=3
	s_or_b64 exec, exec, s[28:29]
	s_and_b64 s[26:27], s[26:27], exec
                                        ; implicit-def: $vgpr25
.LBB206_23:                             ;   in Loop: Header=BB206_15 Depth=3
	s_andn2_saveexec_b64 s[24:25], s[24:25]
	s_cbranch_execz .LBB206_14
; %bb.24:                               ;   in Loop: Header=BB206_15 Depth=3
	v_lshl_add_u32 v25, v24, 2, v25
	ds_add_f64 v25, v[14:15] offset:8192
	s_andn2_b64 s[26:27], s[26:27], exec
	s_branch .LBB206_14
.LBB206_25:
	s_or_b64 exec, exec, s[6:7]
.LBB206_26:
	s_andn2_b64 vcc, exec, s[20:21]
	s_cbranch_vccnz .LBB206_43
; %bb.27:
	s_waitcnt lgkmcnt(0)
	s_ashr_i32 s35, s34, 31
	s_lshl_b64 s[0:1], s[34:35], 3
	s_add_u32 s0, s36, s0
	s_addc_u32 s1, s37, s1
	s_load_dwordx4 s[4:7], s[0:1], 0x0
	s_waitcnt vmcnt(0)
	v_subrev_co_u32_e32 v4, vcc, s47, v0
	v_subb_co_u32_e64 v5, s[0:1], 0, 0, vcc
	s_waitcnt lgkmcnt(0)
	s_sub_u32 s0, s6, s47
	v_mov_b32_e32 v6, s5
	v_add_co_u32_e32 v4, vcc, s4, v4
	s_subb_u32 s1, s7, 0
	v_addc_co_u32_e32 v5, vcc, v6, v5, vcc
	v_cmp_gt_i64_e32 vcc, s[0:1], v[4:5]
	s_and_saveexec_b64 s[2:3], vcc
	s_cbranch_execz .LBB206_42
; %bb.28:
	s_mov_b64 s[4:5], 0
	v_mov_b32_e32 v8, s39
	v_mov_b32_e32 v9, s41
	s_movk_i32 s18, 0x89
	s_branch .LBB206_30
.LBB206_29:                             ;   in Loop: Header=BB206_30 Depth=1
	s_or_b64 exec, exec, s[6:7]
	v_add_co_u32_e32 v4, vcc, 0x400, v4
	v_addc_co_u32_e32 v5, vcc, 0, v5, vcc
	v_cmp_le_i64_e32 vcc, s[0:1], v[4:5]
	s_or_b64 s[4:5], vcc, s[4:5]
	s_andn2_b64 exec, exec, s[4:5]
	s_cbranch_execz .LBB206_42
.LBB206_30:                             ; =>This Loop Header: Depth=1
                                        ;     Child Loop BB206_32 Depth 2
	v_lshlrev_b64 v[6:7], 2, v[4:5]
	v_add_co_u32_e32 v6, vcc, s38, v6
	v_addc_co_u32_e32 v7, vcc, v8, v7, vcc
	global_load_dword v10, v[6:7], off
	v_lshlrev_b64 v[6:7], 3, v[4:5]
	v_add_co_u32_e32 v6, vcc, s40, v6
	v_addc_co_u32_e32 v7, vcc, v9, v7, vcc
	global_load_dwordx2 v[6:7], v[6:7], off
	s_mov_b64 s[6:7], 0
	s_waitcnt vmcnt(1)
	v_subrev_u32_e32 v10, s47, v10
	v_mul_lo_u32 v11, v10, s18
	v_and_b32_e32 v11, 0x7ff, v11
	s_waitcnt vmcnt(0)
	v_mul_f64 v[6:7], v[2:3], v[6:7]
	s_branch .LBB206_32
.LBB206_31:                             ;   in Loop: Header=BB206_32 Depth=2
	s_or_b64 exec, exec, s[8:9]
	s_xor_b64 s[8:9], s[10:11], -1
	s_and_b64 s[8:9], exec, s[8:9]
	s_or_b64 s[6:7], s[8:9], s[6:7]
	s_andn2_b64 exec, exec, s[6:7]
	s_cbranch_execz .LBB206_29
.LBB206_32:                             ;   Parent Loop BB206_30 Depth=1
                                        ; =>  This Inner Loop Header: Depth=2
	v_lshl_add_u32 v12, v11, 2, 0
	ds_read_b32 v13, v12
                                        ; implicit-def: $sgpr10_sgpr11
	s_waitcnt lgkmcnt(0)
	v_cmp_ne_u32_e32 vcc, v13, v10
	s_and_saveexec_b64 s[8:9], vcc
	s_xor_b64 s[8:9], exec, s[8:9]
	s_cbranch_execz .LBB206_40
; %bb.33:                               ;   in Loop: Header=BB206_32 Depth=2
	v_cmp_ne_u32_e32 vcc, s33, v13
                                        ; implicit-def: $sgpr10_sgpr11
	s_and_saveexec_b64 s[12:13], vcc
	s_xor_b64 s[12:13], exec, s[12:13]
; %bb.34:                               ;   in Loop: Header=BB206_32 Depth=2
	v_add_u32_e32 v11, 1, v11
	v_and_b32_e32 v11, 0x7ff, v11
	s_mov_b64 s[10:11], -1
                                        ; implicit-def: $vgpr12
; %bb.35:                               ;   in Loop: Header=BB206_32 Depth=2
	s_andn2_saveexec_b64 s[12:13], s[12:13]
	s_cbranch_execz .LBB206_39
; %bb.36:                               ;   in Loop: Header=BB206_32 Depth=2
	v_mov_b32_e32 v13, s33
	ds_cmpst_rtn_b32 v13, v12, v13, v10
	s_mov_b64 s[14:15], -1
	s_waitcnt lgkmcnt(0)
	v_cmp_eq_u32_e32 vcc, s33, v13
	s_and_saveexec_b64 s[16:17], vcc
	s_cbranch_execz .LBB206_38
; %bb.37:                               ;   in Loop: Header=BB206_32 Depth=2
	v_lshl_add_u32 v12, v11, 2, v12
	ds_add_f64 v12, v[6:7] offset:8192
	s_xor_b64 s[14:15], exec, -1
.LBB206_38:                             ;   in Loop: Header=BB206_32 Depth=2
	s_or_b64 exec, exec, s[16:17]
	s_andn2_b64 s[10:11], s[10:11], exec
	s_and_b64 s[14:15], s[14:15], exec
	s_or_b64 s[10:11], s[10:11], s[14:15]
.LBB206_39:                             ;   in Loop: Header=BB206_32 Depth=2
	s_or_b64 exec, exec, s[12:13]
	s_and_b64 s[10:11], s[10:11], exec
                                        ; implicit-def: $vgpr12
.LBB206_40:                             ;   in Loop: Header=BB206_32 Depth=2
	s_andn2_saveexec_b64 s[8:9], s[8:9]
	s_cbranch_execz .LBB206_31
; %bb.41:                               ;   in Loop: Header=BB206_32 Depth=2
	v_lshl_add_u32 v12, v11, 2, v12
	ds_add_f64 v12, v[6:7] offset:8192
	s_andn2_b64 s[10:11], s[10:11], exec
	s_branch .LBB206_31
.LBB206_42:
	s_or_b64 exec, exec, s[2:3]
.LBB206_43:
	s_waitcnt vmcnt(0)
	v_mbcnt_lo_u32_b32 v2, -1, 0
	v_mbcnt_hi_u32_b32 v2, -1, v2
	v_lshrrev_b32_e32 v4, 4, v0
	v_sub_u32_e32 v2, 63, v2
	v_and_b32_e32 v4, 60, v4
	s_movk_i32 s0, 0x3ff
	s_movk_i32 s4, 0x7f
	;; [unrolled: 1-line block ×15, first 2 shown]
	v_mov_b32_e32 v6, 0
	v_lshrrev_b64 v[2:3], v2, -1
	v_add_u32_e32 v7, 0, v4
	v_cmp_eq_u32_e64 s[0:1], s0, v0
	v_cmp_lt_u32_e64 s[2:3], 63, v0
	v_cmp_lt_u32_e64 s[4:5], s4, v0
	v_cmp_lt_u32_e64 s[6:7], s6, v0
	v_cmp_lt_u32_e64 s[8:9], s8, v0
	v_cmp_lt_u32_e64 s[10:11], s10, v0
	v_cmp_lt_u32_e64 s[12:13], s12, v0
	v_cmp_lt_u32_e64 s[14:15], s14, v0
	v_cmp_lt_u32_e64 s[16:17], s16, v0
	v_cmp_lt_u32_e64 s[18:19], s18, v0
	v_cmp_lt_u32_e64 s[20:21], s20, v0
	v_cmp_lt_u32_e64 s[22:23], s22, v0
	v_cmp_lt_u32_e64 s[24:25], s24, v0
	v_cmp_lt_u32_e64 s[26:27], s26, v0
	v_cmp_lt_u32_e64 s[28:29], s28, v0
	v_cmp_lt_u32_e64 s[30:31], s30, v0
	s_mov_b64 s[36:37], 0
	v_mov_b32_e32 v8, 0
	s_waitcnt lgkmcnt(0)
	s_barrier
	s_branch .LBB206_45
.LBB206_44:                             ;   in Loop: Header=BB206_45 Depth=1
	s_or_b64 exec, exec, s[38:39]
	s_waitcnt lgkmcnt(0)
	s_barrier
	ds_read_b32 v4, v6 offset:24636
	v_add_co_u32_e32 v16, vcc, 0x400, v16
	s_xor_b64 s[38:39], vcc, -1
	s_and_b64 s[38:39], exec, s[38:39]
	v_add_u32_e32 v1, 0x2000, v1
	s_waitcnt lgkmcnt(0)
	v_add_u32_e32 v8, v4, v8
	s_or_b64 s[36:37], s[38:39], s[36:37]
	v_add_u32_e32 v17, 0x1000, v17
	s_andn2_b64 exec, exec, s[36:37]
	s_cbranch_execz .LBB206_79
.LBB206_45:                             ; =>This Inner Loop Header: Depth=1
	ds_read_b32 v9, v17
	ds_read_b64 v[4:5], v1
	s_waitcnt lgkmcnt(0)
	s_barrier
	v_cmp_gt_i32_e32 vcc, s33, v9
	v_and_b32_e32 v11, vcc_lo, v2
	s_bcnt1_i32_b64 s35, vcc
	v_and_b32_e32 v10, vcc_hi, v3
	v_bcnt_u32_b32 v11, v11, 0
	v_bcnt_u32_b32 v10, v10, v11
	v_mov_b32_e32 v11, s35
	ds_write_b32 v7, v11 offset:24576
	s_waitcnt lgkmcnt(0)
	s_barrier
	s_and_saveexec_b64 s[38:39], s[2:3]
	s_cbranch_execnz .LBB206_62
; %bb.46:                               ;   in Loop: Header=BB206_45 Depth=1
	s_or_b64 exec, exec, s[38:39]
	s_and_saveexec_b64 s[38:39], s[4:5]
	s_cbranch_execnz .LBB206_63
.LBB206_47:                             ;   in Loop: Header=BB206_45 Depth=1
	s_or_b64 exec, exec, s[38:39]
	s_and_saveexec_b64 s[38:39], s[6:7]
	s_cbranch_execnz .LBB206_64
.LBB206_48:                             ;   in Loop: Header=BB206_45 Depth=1
	s_or_b64 exec, exec, s[38:39]
	s_and_saveexec_b64 s[38:39], s[8:9]
	s_cbranch_execnz .LBB206_65
.LBB206_49:                             ;   in Loop: Header=BB206_45 Depth=1
	s_or_b64 exec, exec, s[38:39]
	s_and_saveexec_b64 s[38:39], s[10:11]
	s_cbranch_execnz .LBB206_66
.LBB206_50:                             ;   in Loop: Header=BB206_45 Depth=1
	s_or_b64 exec, exec, s[38:39]
	s_and_saveexec_b64 s[38:39], s[12:13]
	s_cbranch_execnz .LBB206_67
.LBB206_51:                             ;   in Loop: Header=BB206_45 Depth=1
	s_or_b64 exec, exec, s[38:39]
	s_and_saveexec_b64 s[38:39], s[14:15]
	s_cbranch_execnz .LBB206_68
.LBB206_52:                             ;   in Loop: Header=BB206_45 Depth=1
	s_or_b64 exec, exec, s[38:39]
	s_and_saveexec_b64 s[38:39], s[16:17]
	s_cbranch_execnz .LBB206_69
.LBB206_53:                             ;   in Loop: Header=BB206_45 Depth=1
	s_or_b64 exec, exec, s[38:39]
	s_and_saveexec_b64 s[38:39], s[18:19]
	s_cbranch_execnz .LBB206_70
.LBB206_54:                             ;   in Loop: Header=BB206_45 Depth=1
	s_or_b64 exec, exec, s[38:39]
	s_and_saveexec_b64 s[38:39], s[20:21]
	s_cbranch_execnz .LBB206_71
.LBB206_55:                             ;   in Loop: Header=BB206_45 Depth=1
	s_or_b64 exec, exec, s[38:39]
	s_and_saveexec_b64 s[38:39], s[22:23]
	s_cbranch_execnz .LBB206_72
.LBB206_56:                             ;   in Loop: Header=BB206_45 Depth=1
	s_or_b64 exec, exec, s[38:39]
	s_and_saveexec_b64 s[38:39], s[24:25]
	s_cbranch_execnz .LBB206_73
.LBB206_57:                             ;   in Loop: Header=BB206_45 Depth=1
	s_or_b64 exec, exec, s[38:39]
	s_and_saveexec_b64 s[38:39], s[26:27]
	s_cbranch_execnz .LBB206_74
.LBB206_58:                             ;   in Loop: Header=BB206_45 Depth=1
	s_or_b64 exec, exec, s[38:39]
	s_and_saveexec_b64 s[38:39], s[28:29]
	s_cbranch_execnz .LBB206_75
.LBB206_59:                             ;   in Loop: Header=BB206_45 Depth=1
	s_or_b64 exec, exec, s[38:39]
	s_and_saveexec_b64 s[38:39], s[30:31]
	s_cbranch_execnz .LBB206_76
.LBB206_60:                             ;   in Loop: Header=BB206_45 Depth=1
	s_or_b64 exec, exec, s[38:39]
	s_and_saveexec_b64 s[38:39], vcc
	s_cbranch_execnz .LBB206_77
.LBB206_61:                             ;   in Loop: Header=BB206_45 Depth=1
	s_or_b64 exec, exec, s[38:39]
	s_and_saveexec_b64 s[38:39], s[0:1]
	s_cbranch_execz .LBB206_44
	s_branch .LBB206_78
.LBB206_62:                             ;   in Loop: Header=BB206_45 Depth=1
	ds_read_b32 v11, v6 offset:24576
	s_waitcnt lgkmcnt(0)
	v_add_u32_e32 v10, v11, v10
	s_or_b64 exec, exec, s[38:39]
	s_and_saveexec_b64 s[38:39], s[4:5]
	s_cbranch_execz .LBB206_47
.LBB206_63:                             ;   in Loop: Header=BB206_45 Depth=1
	ds_read_b32 v11, v6 offset:24580
	s_waitcnt lgkmcnt(0)
	v_add_u32_e32 v10, v11, v10
	s_or_b64 exec, exec, s[38:39]
	s_and_saveexec_b64 s[38:39], s[6:7]
	s_cbranch_execz .LBB206_48
.LBB206_64:                             ;   in Loop: Header=BB206_45 Depth=1
	ds_read_b32 v11, v6 offset:24584
	s_waitcnt lgkmcnt(0)
	v_add_u32_e32 v10, v11, v10
	s_or_b64 exec, exec, s[38:39]
	s_and_saveexec_b64 s[38:39], s[8:9]
	s_cbranch_execz .LBB206_49
.LBB206_65:                             ;   in Loop: Header=BB206_45 Depth=1
	ds_read_b32 v11, v6 offset:24588
	s_waitcnt lgkmcnt(0)
	v_add_u32_e32 v10, v11, v10
	s_or_b64 exec, exec, s[38:39]
	s_and_saveexec_b64 s[38:39], s[10:11]
	s_cbranch_execz .LBB206_50
.LBB206_66:                             ;   in Loop: Header=BB206_45 Depth=1
	ds_read_b32 v11, v6 offset:24592
	s_waitcnt lgkmcnt(0)
	v_add_u32_e32 v10, v11, v10
	s_or_b64 exec, exec, s[38:39]
	s_and_saveexec_b64 s[38:39], s[12:13]
	s_cbranch_execz .LBB206_51
.LBB206_67:                             ;   in Loop: Header=BB206_45 Depth=1
	ds_read_b32 v11, v6 offset:24596
	s_waitcnt lgkmcnt(0)
	v_add_u32_e32 v10, v11, v10
	s_or_b64 exec, exec, s[38:39]
	s_and_saveexec_b64 s[38:39], s[14:15]
	s_cbranch_execz .LBB206_52
.LBB206_68:                             ;   in Loop: Header=BB206_45 Depth=1
	ds_read_b32 v11, v6 offset:24600
	s_waitcnt lgkmcnt(0)
	v_add_u32_e32 v10, v11, v10
	s_or_b64 exec, exec, s[38:39]
	s_and_saveexec_b64 s[38:39], s[16:17]
	s_cbranch_execz .LBB206_53
.LBB206_69:                             ;   in Loop: Header=BB206_45 Depth=1
	ds_read_b32 v11, v6 offset:24604
	s_waitcnt lgkmcnt(0)
	v_add_u32_e32 v10, v11, v10
	s_or_b64 exec, exec, s[38:39]
	s_and_saveexec_b64 s[38:39], s[18:19]
	s_cbranch_execz .LBB206_54
.LBB206_70:                             ;   in Loop: Header=BB206_45 Depth=1
	ds_read_b32 v11, v6 offset:24608
	s_waitcnt lgkmcnt(0)
	v_add_u32_e32 v10, v11, v10
	s_or_b64 exec, exec, s[38:39]
	s_and_saveexec_b64 s[38:39], s[20:21]
	s_cbranch_execz .LBB206_55
.LBB206_71:                             ;   in Loop: Header=BB206_45 Depth=1
	ds_read_b32 v11, v6 offset:24612
	s_waitcnt lgkmcnt(0)
	v_add_u32_e32 v10, v11, v10
	s_or_b64 exec, exec, s[38:39]
	s_and_saveexec_b64 s[38:39], s[22:23]
	s_cbranch_execz .LBB206_56
.LBB206_72:                             ;   in Loop: Header=BB206_45 Depth=1
	ds_read_b32 v11, v6 offset:24616
	s_waitcnt lgkmcnt(0)
	v_add_u32_e32 v10, v11, v10
	s_or_b64 exec, exec, s[38:39]
	s_and_saveexec_b64 s[38:39], s[24:25]
	s_cbranch_execz .LBB206_57
.LBB206_73:                             ;   in Loop: Header=BB206_45 Depth=1
	ds_read_b32 v11, v6 offset:24620
	s_waitcnt lgkmcnt(0)
	v_add_u32_e32 v10, v11, v10
	s_or_b64 exec, exec, s[38:39]
	s_and_saveexec_b64 s[38:39], s[26:27]
	s_cbranch_execz .LBB206_58
.LBB206_74:                             ;   in Loop: Header=BB206_45 Depth=1
	ds_read_b32 v11, v6 offset:24624
	s_waitcnt lgkmcnt(0)
	v_add_u32_e32 v10, v11, v10
	s_or_b64 exec, exec, s[38:39]
	s_and_saveexec_b64 s[38:39], s[28:29]
	s_cbranch_execz .LBB206_59
.LBB206_75:                             ;   in Loop: Header=BB206_45 Depth=1
	ds_read_b32 v11, v6 offset:24628
	s_waitcnt lgkmcnt(0)
	v_add_u32_e32 v10, v11, v10
	s_or_b64 exec, exec, s[38:39]
	s_and_saveexec_b64 s[38:39], s[30:31]
	s_cbranch_execz .LBB206_60
.LBB206_76:                             ;   in Loop: Header=BB206_45 Depth=1
	ds_read_b32 v11, v6 offset:24632
	s_waitcnt lgkmcnt(0)
	v_add_u32_e32 v10, v11, v10
	s_or_b64 exec, exec, s[38:39]
	s_and_saveexec_b64 s[38:39], vcc
	s_cbranch_execz .LBB206_61
.LBB206_77:                             ;   in Loop: Header=BB206_45 Depth=1
	v_add3_u32 v11, v8, -1, v10
	v_lshl_add_u32 v12, v11, 2, 0
	v_lshl_add_u32 v11, v11, 3, 0
	ds_write_b32 v12, v9
	ds_write_b64 v11, v[4:5] offset:8192
	s_or_b64 exec, exec, s[38:39]
	s_and_saveexec_b64 s[38:39], s[0:1]
	s_cbranch_execz .LBB206_44
.LBB206_78:                             ;   in Loop: Header=BB206_45 Depth=1
	ds_write_b32 v6, v10 offset:24636
	s_branch .LBB206_44
.LBB206_79:
	s_or_b64 exec, exec, s[36:37]
	s_ashr_i32 s35, s34, 31
	s_lshl_b64 s[0:1], s[34:35], 3
	s_add_u32 s0, s42, s0
	s_addc_u32 s1, s43, s1
	s_load_dwordx4 s[0:3], s[0:1], 0x0
	s_waitcnt lgkmcnt(0)
	s_sub_i32 s8, s2, s0
	v_cmp_gt_i32_e32 vcc, s8, v0
	s_and_saveexec_b64 s[4:5], vcc
	s_cbranch_execz .LBB206_89
; %bb.80:
	s_sub_u32 s4, s0, s46
	s_subb_u32 s5, s1, 0
	s_and_b32 s9, s8, 7
	s_sub_i32 s0, s0, s2
	s_cmp_lt_u32 s0, -7
	s_cselect_b64 s[0:1], -1, 0
	s_and_b32 s10, s8, -8
	s_cmp_lg_u32 s9, 0
	v_cndmask_b32_e64 v1, 0, 1, s[0:1]
	s_cselect_b64 s[2:3], -1, 0
	v_cmp_ne_u32_e64 s[0:1], 1, v1
	v_cndmask_b32_e64 v1, 0, 1, s[2:3]
	s_mov_b64 s[6:7], 0
	v_cmp_ne_u32_e64 s[2:3], 1, v1
	s_branch .LBB206_82
.LBB206_81:                             ;   in Loop: Header=BB206_82 Depth=1
	v_lshlrev_b64 v[6:7], 2, v[4:5]
	v_mov_b32_e32 v8, s49
	v_add_co_u32_e32 v6, vcc, s48, v6
	s_waitcnt lgkmcnt(1)
	v_add_u32_e32 v1, s46, v1
	v_addc_co_u32_e32 v7, vcc, v8, v7, vcc
	v_lshlrev_b64 v[4:5], 3, v[4:5]
	global_store_dword v[6:7], v1, off
	v_mov_b32_e32 v1, s51
	v_add_co_u32_e32 v4, vcc, s50, v4
	v_addc_co_u32_e32 v5, vcc, v1, v5, vcc
	v_add_u32_e32 v0, 0x400, v0
	v_cmp_le_i32_e32 vcc, s8, v0
	s_or_b64 s[6:7], vcc, s[6:7]
	s_waitcnt lgkmcnt(0)
	global_store_dwordx2 v[4:5], v[2:3], off
	s_andn2_b64 exec, exec, s[6:7]
	s_cbranch_execz .LBB206_89
.LBB206_82:                             ; =>This Loop Header: Depth=1
                                        ;     Child Loop BB206_84 Depth 2
                                        ;     Child Loop BB206_88 Depth 2
	v_lshlrev_b32_e32 v1, 2, v0
	v_add_u32_e32 v2, 0, v1
	v_add_u32_e32 v3, v2, v1
	ds_read_b32 v1, v2
	ds_read_b64 v[2:3], v3 offset:8192
	s_and_b64 vcc, exec, s[0:1]
	v_pk_mov_b32 v[4:5], s[4:5], s[4:5] op_sel:[0,1]
	s_mov_b32 s11, 0
	s_cbranch_vccnz .LBB206_86
; %bb.83:                               ;   in Loop: Header=BB206_82 Depth=1
	s_mov_b32 s12, 0
	v_pk_mov_b32 v[4:5], s[4:5], s[4:5] op_sel:[0,1]
.LBB206_84:                             ;   Parent Loop BB206_82 Depth=1
                                        ; =>  This Inner Loop Header: Depth=2
	v_mov_b32_e32 v12, s12
	ds_read2_b32 v[6:7], v12 offset1:1
	ds_read2_b32 v[8:9], v12 offset0:2 offset1:3
	ds_read2_b32 v[10:11], v12 offset0:4 offset1:5
	;; [unrolled: 1-line block ×3, first 2 shown]
	s_add_i32 s11, s11, 8
	s_waitcnt lgkmcnt(3)
	v_cmp_gt_i32_e32 vcc, v1, v6
	v_cndmask_b32_e64 v6, 0, 1, vcc
	v_cmp_gt_i32_e32 vcc, v1, v7
	v_cndmask_b32_e64 v7, 0, 1, vcc
	s_waitcnt lgkmcnt(2)
	v_cmp_gt_i32_e32 vcc, v1, v8
	v_cndmask_b32_e64 v8, 0, 1, vcc
	v_cmp_gt_i32_e32 vcc, v1, v9
	v_cndmask_b32_e64 v9, 0, 1, vcc
	;; [unrolled: 5-line block ×4, first 2 shown]
	v_add_co_u32_e32 v4, vcc, v4, v6
	v_addc_co_u32_e32 v5, vcc, 0, v5, vcc
	v_add_co_u32_e32 v4, vcc, v4, v7
	v_addc_co_u32_e32 v5, vcc, 0, v5, vcc
	;; [unrolled: 2-line block ×7, first 2 shown]
	s_add_i32 s12, s12, 32
	v_add_co_u32_e32 v4, vcc, v4, v13
	s_cmp_eq_u32 s10, s11
	v_addc_co_u32_e32 v5, vcc, 0, v5, vcc
	s_cbranch_scc0 .LBB206_84
; %bb.85:                               ;   in Loop: Header=BB206_82 Depth=1
	s_mov_b32 s11, s10
.LBB206_86:                             ;   in Loop: Header=BB206_82 Depth=1
	s_and_b64 vcc, exec, s[2:3]
	s_cbranch_vccnz .LBB206_81
; %bb.87:                               ;   in Loop: Header=BB206_82 Depth=1
	s_lshl_b32 s11, s11, 2
	s_add_i32 s11, s11, 0
	s_mov_b32 s12, s9
.LBB206_88:                             ;   Parent Loop BB206_82 Depth=1
                                        ; =>  This Inner Loop Header: Depth=2
	v_mov_b32_e32 v6, s11
	ds_read_b32 v6, v6
	s_add_i32 s11, s11, 4
	s_add_i32 s12, s12, -1
	s_cmp_lg_u32 s12, 0
	s_waitcnt lgkmcnt(0)
	v_cmp_gt_i32_e32 vcc, v1, v6
	v_cndmask_b32_e64 v6, 0, 1, vcc
	v_add_co_u32_e32 v4, vcc, v4, v6
	v_addc_co_u32_e32 v5, vcc, 0, v5, vcc
	s_cbranch_scc1 .LBB206_88
	s_branch .LBB206_81
.LBB206_89:
	s_endpgm
	.section	.rodata,"a",@progbits
	.p2align	6, 0x0
	.amdhsa_kernel _ZN9rocsparseL26csrgemm_fill_block_per_rowILj1024ELj32ELj2048ELj137ELj64ElidEEvT5_PKS1_S3_NS_24const_host_device_scalarIT6_EEPKT4_S3_PKS5_S9_S3_SB_S6_S9_S3_SB_S9_PS1_PS5_21rocsparse_index_base_SE_SE_SE_bbb
		.amdhsa_group_segment_fixed_size 0
		.amdhsa_private_segment_fixed_size 0
		.amdhsa_kernarg_size 156
		.amdhsa_user_sgpr_count 6
		.amdhsa_user_sgpr_private_segment_buffer 1
		.amdhsa_user_sgpr_dispatch_ptr 0
		.amdhsa_user_sgpr_queue_ptr 0
		.amdhsa_user_sgpr_kernarg_segment_ptr 1
		.amdhsa_user_sgpr_dispatch_id 0
		.amdhsa_user_sgpr_flat_scratch_init 0
		.amdhsa_user_sgpr_kernarg_preload_length 0
		.amdhsa_user_sgpr_kernarg_preload_offset 0
		.amdhsa_user_sgpr_private_segment_size 0
		.amdhsa_uses_dynamic_stack 0
		.amdhsa_system_sgpr_private_segment_wavefront_offset 0
		.amdhsa_system_sgpr_workgroup_id_x 1
		.amdhsa_system_sgpr_workgroup_id_y 0
		.amdhsa_system_sgpr_workgroup_id_z 0
		.amdhsa_system_sgpr_workgroup_info 0
		.amdhsa_system_vgpr_workitem_id 0
		.amdhsa_next_free_vgpr 27
		.amdhsa_next_free_sgpr 54
		.amdhsa_accum_offset 28
		.amdhsa_reserve_vcc 1
		.amdhsa_reserve_flat_scratch 0
		.amdhsa_float_round_mode_32 0
		.amdhsa_float_round_mode_16_64 0
		.amdhsa_float_denorm_mode_32 3
		.amdhsa_float_denorm_mode_16_64 3
		.amdhsa_dx10_clamp 1
		.amdhsa_ieee_mode 1
		.amdhsa_fp16_overflow 0
		.amdhsa_tg_split 0
		.amdhsa_exception_fp_ieee_invalid_op 0
		.amdhsa_exception_fp_denorm_src 0
		.amdhsa_exception_fp_ieee_div_zero 0
		.amdhsa_exception_fp_ieee_overflow 0
		.amdhsa_exception_fp_ieee_underflow 0
		.amdhsa_exception_fp_ieee_inexact 0
		.amdhsa_exception_int_div_zero 0
	.end_amdhsa_kernel
	.section	.text._ZN9rocsparseL26csrgemm_fill_block_per_rowILj1024ELj32ELj2048ELj137ELj64ElidEEvT5_PKS1_S3_NS_24const_host_device_scalarIT6_EEPKT4_S3_PKS5_S9_S3_SB_S6_S9_S3_SB_S9_PS1_PS5_21rocsparse_index_base_SE_SE_SE_bbb,"axG",@progbits,_ZN9rocsparseL26csrgemm_fill_block_per_rowILj1024ELj32ELj2048ELj137ELj64ElidEEvT5_PKS1_S3_NS_24const_host_device_scalarIT6_EEPKT4_S3_PKS5_S9_S3_SB_S6_S9_S3_SB_S9_PS1_PS5_21rocsparse_index_base_SE_SE_SE_bbb,comdat
.Lfunc_end206:
	.size	_ZN9rocsparseL26csrgemm_fill_block_per_rowILj1024ELj32ELj2048ELj137ELj64ElidEEvT5_PKS1_S3_NS_24const_host_device_scalarIT6_EEPKT4_S3_PKS5_S9_S3_SB_S6_S9_S3_SB_S9_PS1_PS5_21rocsparse_index_base_SE_SE_SE_bbb, .Lfunc_end206-_ZN9rocsparseL26csrgemm_fill_block_per_rowILj1024ELj32ELj2048ELj137ELj64ElidEEvT5_PKS1_S3_NS_24const_host_device_scalarIT6_EEPKT4_S3_PKS5_S9_S3_SB_S6_S9_S3_SB_S9_PS1_PS5_21rocsparse_index_base_SE_SE_SE_bbb
                                        ; -- End function
	.section	.AMDGPU.csdata,"",@progbits
; Kernel info:
; codeLenInByte = 3152
; NumSgprs: 58
; NumVgprs: 27
; NumAgprs: 0
; TotalNumVgprs: 27
; ScratchSize: 0
; MemoryBound: 0
; FloatMode: 240
; IeeeMode: 1
; LDSByteSize: 0 bytes/workgroup (compile time only)
; SGPRBlocks: 7
; VGPRBlocks: 3
; NumSGPRsForWavesPerEU: 58
; NumVGPRsForWavesPerEU: 27
; AccumOffset: 28
; Occupancy: 8
; WaveLimiterHint : 1
; COMPUTE_PGM_RSRC2:SCRATCH_EN: 0
; COMPUTE_PGM_RSRC2:USER_SGPR: 6
; COMPUTE_PGM_RSRC2:TRAP_HANDLER: 0
; COMPUTE_PGM_RSRC2:TGID_X_EN: 1
; COMPUTE_PGM_RSRC2:TGID_Y_EN: 0
; COMPUTE_PGM_RSRC2:TGID_Z_EN: 0
; COMPUTE_PGM_RSRC2:TIDIG_COMP_CNT: 0
; COMPUTE_PGM_RSRC3_GFX90A:ACCUM_OFFSET: 6
; COMPUTE_PGM_RSRC3_GFX90A:TG_SPLIT: 0
	.section	.text._ZN9rocsparseL26csrgemm_fill_block_per_rowILj1024ELj64ELj4096ELj137ELj32ElidEEvT5_PKS1_S3_NS_24const_host_device_scalarIT6_EEPKT4_S3_PKS5_S9_S3_SB_S6_S9_S3_SB_S9_PS1_PS5_21rocsparse_index_base_SE_SE_SE_bbb,"axG",@progbits,_ZN9rocsparseL26csrgemm_fill_block_per_rowILj1024ELj64ELj4096ELj137ELj32ElidEEvT5_PKS1_S3_NS_24const_host_device_scalarIT6_EEPKT4_S3_PKS5_S9_S3_SB_S6_S9_S3_SB_S9_PS1_PS5_21rocsparse_index_base_SE_SE_SE_bbb,comdat
	.globl	_ZN9rocsparseL26csrgemm_fill_block_per_rowILj1024ELj64ELj4096ELj137ELj32ElidEEvT5_PKS1_S3_NS_24const_host_device_scalarIT6_EEPKT4_S3_PKS5_S9_S3_SB_S6_S9_S3_SB_S9_PS1_PS5_21rocsparse_index_base_SE_SE_SE_bbb ; -- Begin function _ZN9rocsparseL26csrgemm_fill_block_per_rowILj1024ELj64ELj4096ELj137ELj32ElidEEvT5_PKS1_S3_NS_24const_host_device_scalarIT6_EEPKT4_S3_PKS5_S9_S3_SB_S6_S9_S3_SB_S9_PS1_PS5_21rocsparse_index_base_SE_SE_SE_bbb
	.p2align	8
	.type	_ZN9rocsparseL26csrgemm_fill_block_per_rowILj1024ELj64ELj4096ELj137ELj32ElidEEvT5_PKS1_S3_NS_24const_host_device_scalarIT6_EEPKT4_S3_PKS5_S9_S3_SB_S6_S9_S3_SB_S9_PS1_PS5_21rocsparse_index_base_SE_SE_SE_bbb,@function
_ZN9rocsparseL26csrgemm_fill_block_per_rowILj1024ELj64ELj4096ELj137ELj32ElidEEvT5_PKS1_S3_NS_24const_host_device_scalarIT6_EEPKT4_S3_PKS5_S9_S3_SB_S6_S9_S3_SB_S9_PS1_PS5_21rocsparse_index_base_SE_SE_SE_bbb: ; @_ZN9rocsparseL26csrgemm_fill_block_per_rowILj1024ELj64ELj4096ELj137ELj32ElidEEvT5_PKS1_S3_NS_24const_host_device_scalarIT6_EEPKT4_S3_PKS5_S9_S3_SB_S6_S9_S3_SB_S9_PS1_PS5_21rocsparse_index_base_SE_SE_SE_bbb
; %bb.0:
	s_load_dword s7, s[4:5], 0x98
	s_load_dwordx4 s[68:71], s[4:5], 0x88
	s_load_dwordx2 s[0:1], s[4:5], 0x18
	s_load_dwordx2 s[24:25], s[4:5], 0x50
	s_waitcnt lgkmcnt(0)
	s_and_b32 s2, 1, s7
	s_bitcmp1_b32 s7, 16
	s_cselect_b64 s[26:27], -1, 0
	s_cmp_eq_u32 s2, 1
	s_cselect_b64 s[22:23], -1, 0
	s_and_b64 s[2:3], s[22:23], exec
	s_cselect_b32 s3, s1, 0
	s_cselect_b32 s2, s0, 0
	s_xor_b64 s[8:9], s[22:23], -1
	s_or_b64 s[8:9], s[8:9], s[26:27]
	s_and_b64 vcc, exec, s[8:9]
	v_pk_mov_b32 v[4:5], s[2:3], s[2:3] op_sel:[0,1]
	s_cbranch_vccnz .LBB207_2
; %bb.1:
	v_pk_mov_b32 v[2:3], s[0:1], s[0:1] op_sel:[0,1]
	flat_load_dwordx2 v[4:5], v[2:3]
.LBB207_2:
	s_load_dwordx4 s[72:75], s[4:5], 0x78
	s_load_dwordx8 s[60:67], s[4:5], 0x58
	s_load_dwordx4 s[0:3], s[4:5], 0x40
	s_load_dwordx4 s[16:19], s[4:5], 0x8
	s_load_dwordx8 s[8:15], s[4:5], 0x20
	s_bitcmp1_b32 s7, 8
	s_cselect_b64 s[20:21], -1, 0
	s_and_b64 s[28:29], s[20:21], exec
	s_cselect_b32 s29, s25, 0
	s_cselect_b32 s28, s24, 0
	s_xor_b64 s[30:31], s[20:21], -1
	s_or_b64 s[26:27], s[30:31], s[26:27]
	s_and_b64 vcc, exec, s[26:27]
	v_pk_mov_b32 v[2:3], s[28:29], s[28:29] op_sel:[0,1]
	s_cbranch_vccnz .LBB207_4
; %bb.3:
	v_pk_mov_b32 v[2:3], s[24:25], s[24:25] op_sel:[0,1]
	flat_load_dwordx2 v[2:3], v[2:3]
.LBB207_4:
	s_load_dword s33, s[4:5], 0x0
	v_lshl_add_u32 v1, v0, 3, 0
	v_mov_b32_e32 v6, 0
	v_add_u32_e32 v1, 0x4000, v1
	v_or_b32_e32 v16, 0xfffffc00, v0
	v_lshl_add_u32 v17, v0, 2, 0
	s_mov_b64 s[4:5], 0
	s_waitcnt lgkmcnt(0)
	v_mov_b32_e32 v8, s33
	v_mov_b32_e32 v7, v6
	s_movk_i32 s7, 0xbff
	v_mov_b32_e32 v9, v17
	v_mov_b32_e32 v10, v16
	;; [unrolled: 1-line block ×3, first 2 shown]
.LBB207_5:                              ; =>This Inner Loop Header: Depth=1
	v_add_u32_e32 v10, 0x400, v10
	v_cmp_lt_u32_e32 vcc, s7, v10
	ds_write_b32 v9, v8
	ds_write_b64 v11, v[6:7]
	v_add_u32_e32 v11, 0x2000, v11
	s_or_b64 s[4:5], vcc, s[4:5]
	v_add_u32_e32 v9, 0x1000, v9
	s_andn2_b64 exec, exec, s[4:5]
	s_cbranch_execnz .LBB207_5
; %bb.6:
	s_or_b64 exec, exec, s[4:5]
	s_waitcnt lgkmcnt(0)
	s_barrier
	s_load_dword s4, s[16:17], 0x0
	s_mov_b32 s5, 0
	s_waitcnt lgkmcnt(0)
	s_add_i32 s4, s4, s6
	s_lshl_b64 s[4:5], s[4:5], 2
	s_add_u32 s4, s18, s4
	s_addc_u32 s5, s19, s5
	s_load_dword s76, s[4:5], 0x0
	s_and_b64 vcc, exec, s[22:23]
	s_cbranch_vccz .LBB207_26
; %bb.7:
	s_waitcnt lgkmcnt(0)
	s_ashr_i32 s77, s76, 31
	s_lshl_b64 s[4:5], s[76:77], 3
	s_add_u32 s4, s8, s4
	s_addc_u32 s5, s9, s5
	s_load_dwordx4 s[16:19], s[4:5], 0x0
	v_lshrrev_b32_e32 v6, 6, v0
	v_subrev_co_u32_e32 v6, vcc, s68, v6
	v_subb_co_u32_e64 v7, s[6:7], 0, 0, vcc
	s_waitcnt lgkmcnt(0)
	s_sub_u32 s4, s18, s68
	v_mov_b32_e32 v8, s17
	v_add_co_u32_e32 v6, vcc, s16, v6
	s_subb_u32 s5, s19, 0
	v_addc_co_u32_e32 v7, vcc, v8, v7, vcc
	v_cmp_gt_i64_e32 vcc, s[4:5], v[6:7]
	s_and_saveexec_b64 s[6:7], vcc
	s_cbranch_execz .LBB207_25
; %bb.8:
	v_and_b32_e32 v8, 63, v0
	v_subrev_co_u32_e32 v18, vcc, s69, v8
	s_mov_b32 s16, 0
	v_subb_co_u32_e64 v19, s[8:9], 0, 0, vcc
	s_mov_b32 s36, s69
	s_mov_b64 s[8:9], 0
	v_mov_b32_e32 v20, s11
	v_mov_b32_e32 v21, s15
	;; [unrolled: 1-line block ×3, first 2 shown]
	s_movk_i32 s11, 0x89
	s_branch .LBB207_10
.LBB207_9:                              ;   in Loop: Header=BB207_10 Depth=1
	s_or_b64 exec, exec, s[16:17]
	v_add_co_u32_e32 v6, vcc, 16, v6
	v_addc_co_u32_e32 v7, vcc, 0, v7, vcc
	v_cmp_le_i64_e32 vcc, s[4:5], v[6:7]
	s_or_b64 s[8:9], vcc, s[8:9]
	s_andn2_b64 exec, exec, s[8:9]
	s_cbranch_execz .LBB207_25
.LBB207_10:                             ; =>This Loop Header: Depth=1
                                        ;     Child Loop BB207_13 Depth 2
                                        ;       Child Loop BB207_15 Depth 3
	v_lshlrev_b64 v[8:9], 2, v[6:7]
	v_add_co_u32_e32 v8, vcc, s10, v8
	v_addc_co_u32_e32 v9, vcc, v20, v9, vcc
	global_load_dword v8, v[8:9], off
	s_waitcnt vmcnt(0)
	v_subrev_u32_e32 v8, s68, v8
	v_ashrrev_i32_e32 v9, 31, v8
	v_lshlrev_b64 v[8:9], 3, v[8:9]
	v_add_co_u32_e32 v8, vcc, s14, v8
	v_addc_co_u32_e32 v9, vcc, v21, v9, vcc
	global_load_dwordx4 v[10:13], v[8:9], off
	s_waitcnt vmcnt(0)
	v_subrev_co_u32_e32 v8, vcc, s36, v12
	v_subb_co_u32_e32 v9, vcc, v13, v22, vcc
	v_add_co_u32_e32 v10, vcc, v10, v18
	v_addc_co_u32_e32 v11, vcc, v11, v19, vcc
	v_cmp_lt_i64_e32 vcc, v[10:11], v[8:9]
	s_and_saveexec_b64 s[16:17], vcc
	s_cbranch_execz .LBB207_9
; %bb.11:                               ;   in Loop: Header=BB207_10 Depth=1
	v_lshlrev_b64 v[12:13], 3, v[6:7]
	v_mov_b32_e32 v14, s13
	v_add_co_u32_e32 v12, vcc, s12, v12
	v_addc_co_u32_e32 v13, vcc, v14, v13, vcc
	global_load_dwordx2 v[12:13], v[12:13], off
	s_mov_b64 s[18:19], 0
	s_waitcnt vmcnt(0)
	v_mul_f64 v[12:13], v[4:5], v[12:13]
	s_branch .LBB207_13
.LBB207_12:                             ;   in Loop: Header=BB207_13 Depth=2
	s_or_b64 exec, exec, s[22:23]
	v_add_co_u32_e32 v10, vcc, 64, v10
	v_addc_co_u32_e32 v11, vcc, 0, v11, vcc
	v_cmp_ge_i64_e32 vcc, v[10:11], v[8:9]
	s_or_b64 s[18:19], vcc, s[18:19]
	s_andn2_b64 exec, exec, s[18:19]
	s_cbranch_execz .LBB207_9
.LBB207_13:                             ;   Parent Loop BB207_10 Depth=1
                                        ; =>  This Loop Header: Depth=2
                                        ;       Child Loop BB207_15 Depth 3
	v_lshlrev_b64 v[14:15], 2, v[10:11]
	v_mov_b32_e32 v23, s1
	v_add_co_u32_e32 v14, vcc, s0, v14
	v_addc_co_u32_e32 v15, vcc, v23, v15, vcc
	global_load_dword v23, v[14:15], off
	v_lshlrev_b64 v[14:15], 3, v[10:11]
	v_mov_b32_e32 v24, s3
	v_add_co_u32_e32 v14, vcc, s2, v14
	v_addc_co_u32_e32 v15, vcc, v24, v15, vcc
	global_load_dwordx2 v[14:15], v[14:15], off
	s_mov_b64 s[22:23], 0
	s_waitcnt vmcnt(1)
	v_subrev_u32_e32 v23, s69, v23
	v_mul_lo_u32 v24, v23, s11
	v_and_b32_e32 v24, 0xfff, v24
	s_waitcnt vmcnt(0)
	v_mul_f64 v[14:15], v[12:13], v[14:15]
	s_branch .LBB207_15
.LBB207_14:                             ;   in Loop: Header=BB207_15 Depth=3
	s_or_b64 exec, exec, s[24:25]
	s_xor_b64 s[24:25], s[26:27], -1
	s_and_b64 s[24:25], exec, s[24:25]
	s_or_b64 s[22:23], s[24:25], s[22:23]
	s_andn2_b64 exec, exec, s[22:23]
	s_cbranch_execz .LBB207_12
.LBB207_15:                             ;   Parent Loop BB207_10 Depth=1
                                        ;     Parent Loop BB207_13 Depth=2
                                        ; =>    This Inner Loop Header: Depth=3
	v_lshl_add_u32 v25, v24, 2, 0
	ds_read_b32 v26, v25
                                        ; implicit-def: $sgpr26_sgpr27
	s_waitcnt lgkmcnt(0)
	v_cmp_ne_u32_e32 vcc, v26, v23
	s_and_saveexec_b64 s[24:25], vcc
	s_xor_b64 s[24:25], exec, s[24:25]
	s_cbranch_execz .LBB207_23
; %bb.16:                               ;   in Loop: Header=BB207_15 Depth=3
	v_cmp_ne_u32_e32 vcc, s33, v26
                                        ; implicit-def: $sgpr26_sgpr27
	s_and_saveexec_b64 s[28:29], vcc
	s_xor_b64 s[28:29], exec, s[28:29]
; %bb.17:                               ;   in Loop: Header=BB207_15 Depth=3
	v_add_u32_e32 v24, 1, v24
	v_and_b32_e32 v24, 0xfff, v24
	s_mov_b64 s[26:27], -1
                                        ; implicit-def: $vgpr25
; %bb.18:                               ;   in Loop: Header=BB207_15 Depth=3
	s_andn2_saveexec_b64 s[28:29], s[28:29]
	s_cbranch_execz .LBB207_22
; %bb.19:                               ;   in Loop: Header=BB207_15 Depth=3
	v_mov_b32_e32 v26, s33
	ds_cmpst_rtn_b32 v26, v25, v26, v23
	s_mov_b64 s[30:31], -1
	s_waitcnt lgkmcnt(0)
	v_cmp_eq_u32_e32 vcc, s33, v26
	s_and_saveexec_b64 s[34:35], vcc
	s_cbranch_execz .LBB207_21
; %bb.20:                               ;   in Loop: Header=BB207_15 Depth=3
	v_lshl_add_u32 v25, v24, 2, v25
	ds_add_f64 v25, v[14:15] offset:16384
	s_xor_b64 s[30:31], exec, -1
.LBB207_21:                             ;   in Loop: Header=BB207_15 Depth=3
	s_or_b64 exec, exec, s[34:35]
	s_andn2_b64 s[26:27], s[26:27], exec
	s_and_b64 s[30:31], s[30:31], exec
	s_or_b64 s[26:27], s[26:27], s[30:31]
.LBB207_22:                             ;   in Loop: Header=BB207_15 Depth=3
	s_or_b64 exec, exec, s[28:29]
	s_and_b64 s[26:27], s[26:27], exec
                                        ; implicit-def: $vgpr25
.LBB207_23:                             ;   in Loop: Header=BB207_15 Depth=3
	s_andn2_saveexec_b64 s[24:25], s[24:25]
	s_cbranch_execz .LBB207_14
; %bb.24:                               ;   in Loop: Header=BB207_15 Depth=3
	v_lshl_add_u32 v25, v24, 2, v25
	ds_add_f64 v25, v[14:15] offset:16384
	s_andn2_b64 s[26:27], s[26:27], exec
	s_branch .LBB207_14
.LBB207_25:
	s_or_b64 exec, exec, s[6:7]
.LBB207_26:
	s_andn2_b64 vcc, exec, s[20:21]
	s_cbranch_vccnz .LBB207_43
; %bb.27:
	s_waitcnt lgkmcnt(0)
	s_ashr_i32 s77, s76, 31
	s_lshl_b64 s[0:1], s[76:77], 3
	s_add_u32 s0, s60, s0
	s_addc_u32 s1, s61, s1
	s_load_dwordx4 s[4:7], s[0:1], 0x0
	s_waitcnt vmcnt(0)
	v_subrev_co_u32_e32 v4, vcc, s71, v0
	v_subb_co_u32_e64 v5, s[0:1], 0, 0, vcc
	s_waitcnt lgkmcnt(0)
	s_sub_u32 s0, s6, s71
	v_mov_b32_e32 v6, s5
	v_add_co_u32_e32 v4, vcc, s4, v4
	s_subb_u32 s1, s7, 0
	v_addc_co_u32_e32 v5, vcc, v6, v5, vcc
	v_cmp_gt_i64_e32 vcc, s[0:1], v[4:5]
	s_and_saveexec_b64 s[2:3], vcc
	s_cbranch_execz .LBB207_42
; %bb.28:
	s_mov_b64 s[4:5], 0
	v_mov_b32_e32 v8, s63
	v_mov_b32_e32 v9, s65
	s_movk_i32 s18, 0x89
	s_branch .LBB207_30
.LBB207_29:                             ;   in Loop: Header=BB207_30 Depth=1
	s_or_b64 exec, exec, s[6:7]
	v_add_co_u32_e32 v4, vcc, 0x400, v4
	v_addc_co_u32_e32 v5, vcc, 0, v5, vcc
	v_cmp_le_i64_e32 vcc, s[0:1], v[4:5]
	s_or_b64 s[4:5], vcc, s[4:5]
	s_andn2_b64 exec, exec, s[4:5]
	s_cbranch_execz .LBB207_42
.LBB207_30:                             ; =>This Loop Header: Depth=1
                                        ;     Child Loop BB207_32 Depth 2
	v_lshlrev_b64 v[6:7], 2, v[4:5]
	v_add_co_u32_e32 v6, vcc, s62, v6
	v_addc_co_u32_e32 v7, vcc, v8, v7, vcc
	global_load_dword v10, v[6:7], off
	v_lshlrev_b64 v[6:7], 3, v[4:5]
	v_add_co_u32_e32 v6, vcc, s64, v6
	v_addc_co_u32_e32 v7, vcc, v9, v7, vcc
	global_load_dwordx2 v[6:7], v[6:7], off
	s_mov_b64 s[6:7], 0
	s_waitcnt vmcnt(1)
	v_subrev_u32_e32 v10, s71, v10
	v_mul_lo_u32 v11, v10, s18
	v_and_b32_e32 v11, 0xfff, v11
	s_waitcnt vmcnt(0)
	v_mul_f64 v[6:7], v[2:3], v[6:7]
	s_branch .LBB207_32
.LBB207_31:                             ;   in Loop: Header=BB207_32 Depth=2
	s_or_b64 exec, exec, s[8:9]
	s_xor_b64 s[8:9], s[10:11], -1
	s_and_b64 s[8:9], exec, s[8:9]
	s_or_b64 s[6:7], s[8:9], s[6:7]
	s_andn2_b64 exec, exec, s[6:7]
	s_cbranch_execz .LBB207_29
.LBB207_32:                             ;   Parent Loop BB207_30 Depth=1
                                        ; =>  This Inner Loop Header: Depth=2
	v_lshl_add_u32 v12, v11, 2, 0
	ds_read_b32 v13, v12
                                        ; implicit-def: $sgpr10_sgpr11
	s_waitcnt lgkmcnt(0)
	v_cmp_ne_u32_e32 vcc, v13, v10
	s_and_saveexec_b64 s[8:9], vcc
	s_xor_b64 s[8:9], exec, s[8:9]
	s_cbranch_execz .LBB207_40
; %bb.33:                               ;   in Loop: Header=BB207_32 Depth=2
	v_cmp_ne_u32_e32 vcc, s33, v13
                                        ; implicit-def: $sgpr10_sgpr11
	s_and_saveexec_b64 s[12:13], vcc
	s_xor_b64 s[12:13], exec, s[12:13]
; %bb.34:                               ;   in Loop: Header=BB207_32 Depth=2
	v_add_u32_e32 v11, 1, v11
	v_and_b32_e32 v11, 0xfff, v11
	s_mov_b64 s[10:11], -1
                                        ; implicit-def: $vgpr12
; %bb.35:                               ;   in Loop: Header=BB207_32 Depth=2
	s_andn2_saveexec_b64 s[12:13], s[12:13]
	s_cbranch_execz .LBB207_39
; %bb.36:                               ;   in Loop: Header=BB207_32 Depth=2
	v_mov_b32_e32 v13, s33
	ds_cmpst_rtn_b32 v13, v12, v13, v10
	s_mov_b64 s[14:15], -1
	s_waitcnt lgkmcnt(0)
	v_cmp_eq_u32_e32 vcc, s33, v13
	s_and_saveexec_b64 s[16:17], vcc
	s_cbranch_execz .LBB207_38
; %bb.37:                               ;   in Loop: Header=BB207_32 Depth=2
	v_lshl_add_u32 v12, v11, 2, v12
	ds_add_f64 v12, v[6:7] offset:16384
	s_xor_b64 s[14:15], exec, -1
.LBB207_38:                             ;   in Loop: Header=BB207_32 Depth=2
	s_or_b64 exec, exec, s[16:17]
	s_andn2_b64 s[10:11], s[10:11], exec
	s_and_b64 s[14:15], s[14:15], exec
	s_or_b64 s[10:11], s[10:11], s[14:15]
.LBB207_39:                             ;   in Loop: Header=BB207_32 Depth=2
	s_or_b64 exec, exec, s[12:13]
	s_and_b64 s[10:11], s[10:11], exec
                                        ; implicit-def: $vgpr12
.LBB207_40:                             ;   in Loop: Header=BB207_32 Depth=2
	s_andn2_saveexec_b64 s[8:9], s[8:9]
	s_cbranch_execz .LBB207_31
; %bb.41:                               ;   in Loop: Header=BB207_32 Depth=2
	v_lshl_add_u32 v12, v11, 2, v12
	ds_add_f64 v12, v[6:7] offset:16384
	s_andn2_b64 s[10:11], s[10:11], exec
	s_branch .LBB207_31
.LBB207_42:
	s_or_b64 exec, exec, s[2:3]
.LBB207_43:
	s_waitcnt vmcnt(0)
	v_mbcnt_lo_u32_b32 v2, -1, 0
	v_mbcnt_hi_u32_b32 v2, -1, v2
	v_lshrrev_b32_e32 v4, 3, v0
	v_sub_u32_e32 v2, 63, v2
	v_and_b32_e32 v4, 0x7c, v4
	s_movk_i32 s0, 0x3ff
	s_movk_i32 s4, 0x5f
	;; [unrolled: 1-line block ×30, first 2 shown]
	v_mov_b32_e32 v6, 0
	v_lshrrev_b64 v[2:3], v2, -1
	v_add_u32_e32 v7, 0, v4
	v_cmp_eq_u32_e32 vcc, s0, v0
	v_cmp_lt_u32_e64 s[0:1], 31, v0
	v_cmp_lt_u32_e64 s[2:3], 63, v0
	;; [unrolled: 1-line block ×31, first 2 shown]
	s_mov_b64 s[68:69], 0
	s_movk_i32 s71, 0xbff
	v_mov_b32_e32 v8, 0
	s_waitcnt lgkmcnt(0)
	s_barrier
	s_branch .LBB207_45
.LBB207_44:                             ;   in Loop: Header=BB207_45 Depth=1
	s_or_b64 exec, exec, s[64:65]
	s_waitcnt lgkmcnt(0)
	s_barrier
	ds_read_b32 v4, v6 offset:49276
	v_add_u32_e32 v16, 0x400, v16
	v_cmp_lt_u32_e64 s[64:65], s71, v16
	v_add_u32_e32 v1, 0x2000, v1
	s_or_b64 s[68:69], s[64:65], s[68:69]
	s_waitcnt lgkmcnt(0)
	v_add_u32_e32 v8, v4, v8
	v_add_u32_e32 v17, 0x1000, v17
	s_andn2_b64 exec, exec, s[68:69]
	s_cbranch_execz .LBB207_111
.LBB207_45:                             ; =>This Inner Loop Header: Depth=1
	ds_read_b32 v9, v17
	ds_read_b64 v[4:5], v1
	s_waitcnt lgkmcnt(0)
	s_barrier
	v_cmp_gt_i32_e64 s[64:65], s33, v9
	v_and_b32_e32 v11, s64, v2
	s_bcnt1_i32_b64 s77, s[64:65]
	v_and_b32_e32 v10, s65, v3
	v_bcnt_u32_b32 v11, v11, 0
	v_bcnt_u32_b32 v10, v10, v11
	v_mov_b32_e32 v11, s77
	ds_write_b32 v7, v11 offset:49152
	s_waitcnt lgkmcnt(0)
	s_barrier
	s_and_saveexec_b64 s[78:79], s[0:1]
	s_cbranch_execnz .LBB207_78
; %bb.46:                               ;   in Loop: Header=BB207_45 Depth=1
	s_or_b64 exec, exec, s[78:79]
	s_and_saveexec_b64 s[78:79], s[2:3]
	s_cbranch_execnz .LBB207_79
.LBB207_47:                             ;   in Loop: Header=BB207_45 Depth=1
	s_or_b64 exec, exec, s[78:79]
	s_and_saveexec_b64 s[78:79], s[4:5]
	s_cbranch_execnz .LBB207_80
.LBB207_48:                             ;   in Loop: Header=BB207_45 Depth=1
	s_or_b64 exec, exec, s[78:79]
	s_and_saveexec_b64 s[78:79], s[6:7]
	s_cbranch_execnz .LBB207_81
.LBB207_49:                             ;   in Loop: Header=BB207_45 Depth=1
	s_or_b64 exec, exec, s[78:79]
	s_and_saveexec_b64 s[78:79], s[8:9]
	s_cbranch_execnz .LBB207_82
.LBB207_50:                             ;   in Loop: Header=BB207_45 Depth=1
	s_or_b64 exec, exec, s[78:79]
	s_and_saveexec_b64 s[78:79], s[10:11]
	s_cbranch_execnz .LBB207_83
.LBB207_51:                             ;   in Loop: Header=BB207_45 Depth=1
	s_or_b64 exec, exec, s[78:79]
	s_and_saveexec_b64 s[78:79], s[12:13]
	s_cbranch_execnz .LBB207_84
.LBB207_52:                             ;   in Loop: Header=BB207_45 Depth=1
	s_or_b64 exec, exec, s[78:79]
	s_and_saveexec_b64 s[78:79], s[14:15]
	s_cbranch_execnz .LBB207_85
.LBB207_53:                             ;   in Loop: Header=BB207_45 Depth=1
	s_or_b64 exec, exec, s[78:79]
	s_and_saveexec_b64 s[78:79], s[16:17]
	s_cbranch_execnz .LBB207_86
.LBB207_54:                             ;   in Loop: Header=BB207_45 Depth=1
	s_or_b64 exec, exec, s[78:79]
	s_and_saveexec_b64 s[78:79], s[18:19]
	s_cbranch_execnz .LBB207_87
.LBB207_55:                             ;   in Loop: Header=BB207_45 Depth=1
	s_or_b64 exec, exec, s[78:79]
	s_and_saveexec_b64 s[78:79], s[20:21]
	s_cbranch_execnz .LBB207_88
.LBB207_56:                             ;   in Loop: Header=BB207_45 Depth=1
	s_or_b64 exec, exec, s[78:79]
	s_and_saveexec_b64 s[78:79], s[22:23]
	s_cbranch_execnz .LBB207_89
.LBB207_57:                             ;   in Loop: Header=BB207_45 Depth=1
	s_or_b64 exec, exec, s[78:79]
	s_and_saveexec_b64 s[78:79], s[24:25]
	s_cbranch_execnz .LBB207_90
.LBB207_58:                             ;   in Loop: Header=BB207_45 Depth=1
	s_or_b64 exec, exec, s[78:79]
	s_and_saveexec_b64 s[78:79], s[26:27]
	s_cbranch_execnz .LBB207_91
.LBB207_59:                             ;   in Loop: Header=BB207_45 Depth=1
	s_or_b64 exec, exec, s[78:79]
	s_and_saveexec_b64 s[78:79], s[28:29]
	s_cbranch_execnz .LBB207_92
.LBB207_60:                             ;   in Loop: Header=BB207_45 Depth=1
	s_or_b64 exec, exec, s[78:79]
	s_and_saveexec_b64 s[78:79], s[30:31]
	s_cbranch_execnz .LBB207_93
.LBB207_61:                             ;   in Loop: Header=BB207_45 Depth=1
	s_or_b64 exec, exec, s[78:79]
	s_and_saveexec_b64 s[78:79], s[34:35]
	s_cbranch_execnz .LBB207_94
.LBB207_62:                             ;   in Loop: Header=BB207_45 Depth=1
	s_or_b64 exec, exec, s[78:79]
	s_and_saveexec_b64 s[78:79], s[36:37]
	s_cbranch_execnz .LBB207_95
.LBB207_63:                             ;   in Loop: Header=BB207_45 Depth=1
	s_or_b64 exec, exec, s[78:79]
	s_and_saveexec_b64 s[78:79], s[38:39]
	s_cbranch_execnz .LBB207_96
.LBB207_64:                             ;   in Loop: Header=BB207_45 Depth=1
	s_or_b64 exec, exec, s[78:79]
	s_and_saveexec_b64 s[78:79], s[40:41]
	s_cbranch_execnz .LBB207_97
.LBB207_65:                             ;   in Loop: Header=BB207_45 Depth=1
	s_or_b64 exec, exec, s[78:79]
	s_and_saveexec_b64 s[78:79], s[42:43]
	s_cbranch_execnz .LBB207_98
.LBB207_66:                             ;   in Loop: Header=BB207_45 Depth=1
	s_or_b64 exec, exec, s[78:79]
	s_and_saveexec_b64 s[78:79], s[44:45]
	s_cbranch_execnz .LBB207_99
.LBB207_67:                             ;   in Loop: Header=BB207_45 Depth=1
	s_or_b64 exec, exec, s[78:79]
	s_and_saveexec_b64 s[78:79], s[46:47]
	s_cbranch_execnz .LBB207_100
.LBB207_68:                             ;   in Loop: Header=BB207_45 Depth=1
	s_or_b64 exec, exec, s[78:79]
	s_and_saveexec_b64 s[78:79], s[48:49]
	s_cbranch_execnz .LBB207_101
.LBB207_69:                             ;   in Loop: Header=BB207_45 Depth=1
	s_or_b64 exec, exec, s[78:79]
	s_and_saveexec_b64 s[78:79], s[50:51]
	s_cbranch_execnz .LBB207_102
.LBB207_70:                             ;   in Loop: Header=BB207_45 Depth=1
	s_or_b64 exec, exec, s[78:79]
	s_and_saveexec_b64 s[78:79], s[52:53]
	s_cbranch_execnz .LBB207_103
.LBB207_71:                             ;   in Loop: Header=BB207_45 Depth=1
	s_or_b64 exec, exec, s[78:79]
	s_and_saveexec_b64 s[78:79], s[54:55]
	s_cbranch_execnz .LBB207_104
.LBB207_72:                             ;   in Loop: Header=BB207_45 Depth=1
	s_or_b64 exec, exec, s[78:79]
	s_and_saveexec_b64 s[78:79], s[56:57]
	s_cbranch_execnz .LBB207_105
.LBB207_73:                             ;   in Loop: Header=BB207_45 Depth=1
	s_or_b64 exec, exec, s[78:79]
	s_and_saveexec_b64 s[78:79], s[58:59]
	s_cbranch_execnz .LBB207_106
.LBB207_74:                             ;   in Loop: Header=BB207_45 Depth=1
	s_or_b64 exec, exec, s[78:79]
	s_and_saveexec_b64 s[78:79], s[60:61]
	s_cbranch_execnz .LBB207_107
.LBB207_75:                             ;   in Loop: Header=BB207_45 Depth=1
	s_or_b64 exec, exec, s[78:79]
	s_and_saveexec_b64 s[78:79], s[62:63]
	s_cbranch_execnz .LBB207_108
.LBB207_76:                             ;   in Loop: Header=BB207_45 Depth=1
	s_or_b64 exec, exec, s[78:79]
	s_and_saveexec_b64 s[78:79], s[64:65]
	s_cbranch_execnz .LBB207_109
.LBB207_77:                             ;   in Loop: Header=BB207_45 Depth=1
	s_or_b64 exec, exec, s[78:79]
	s_and_saveexec_b64 s[64:65], vcc
	s_cbranch_execz .LBB207_44
	s_branch .LBB207_110
.LBB207_78:                             ;   in Loop: Header=BB207_45 Depth=1
	ds_read_b32 v11, v6 offset:49152
	s_waitcnt lgkmcnt(0)
	v_add_u32_e32 v10, v11, v10
	s_or_b64 exec, exec, s[78:79]
	s_and_saveexec_b64 s[78:79], s[2:3]
	s_cbranch_execz .LBB207_47
.LBB207_79:                             ;   in Loop: Header=BB207_45 Depth=1
	ds_read_b32 v11, v6 offset:49156
	s_waitcnt lgkmcnt(0)
	v_add_u32_e32 v10, v11, v10
	s_or_b64 exec, exec, s[78:79]
	s_and_saveexec_b64 s[78:79], s[4:5]
	s_cbranch_execz .LBB207_48
.LBB207_80:                             ;   in Loop: Header=BB207_45 Depth=1
	ds_read_b32 v11, v6 offset:49160
	s_waitcnt lgkmcnt(0)
	v_add_u32_e32 v10, v11, v10
	s_or_b64 exec, exec, s[78:79]
	s_and_saveexec_b64 s[78:79], s[6:7]
	s_cbranch_execz .LBB207_49
.LBB207_81:                             ;   in Loop: Header=BB207_45 Depth=1
	ds_read_b32 v11, v6 offset:49164
	s_waitcnt lgkmcnt(0)
	v_add_u32_e32 v10, v11, v10
	s_or_b64 exec, exec, s[78:79]
	s_and_saveexec_b64 s[78:79], s[8:9]
	s_cbranch_execz .LBB207_50
.LBB207_82:                             ;   in Loop: Header=BB207_45 Depth=1
	ds_read_b32 v11, v6 offset:49168
	s_waitcnt lgkmcnt(0)
	v_add_u32_e32 v10, v11, v10
	s_or_b64 exec, exec, s[78:79]
	s_and_saveexec_b64 s[78:79], s[10:11]
	s_cbranch_execz .LBB207_51
.LBB207_83:                             ;   in Loop: Header=BB207_45 Depth=1
	ds_read_b32 v11, v6 offset:49172
	s_waitcnt lgkmcnt(0)
	v_add_u32_e32 v10, v11, v10
	s_or_b64 exec, exec, s[78:79]
	s_and_saveexec_b64 s[78:79], s[12:13]
	s_cbranch_execz .LBB207_52
.LBB207_84:                             ;   in Loop: Header=BB207_45 Depth=1
	ds_read_b32 v11, v6 offset:49176
	s_waitcnt lgkmcnt(0)
	v_add_u32_e32 v10, v11, v10
	s_or_b64 exec, exec, s[78:79]
	s_and_saveexec_b64 s[78:79], s[14:15]
	s_cbranch_execz .LBB207_53
.LBB207_85:                             ;   in Loop: Header=BB207_45 Depth=1
	ds_read_b32 v11, v6 offset:49180
	s_waitcnt lgkmcnt(0)
	v_add_u32_e32 v10, v11, v10
	s_or_b64 exec, exec, s[78:79]
	s_and_saveexec_b64 s[78:79], s[16:17]
	s_cbranch_execz .LBB207_54
.LBB207_86:                             ;   in Loop: Header=BB207_45 Depth=1
	ds_read_b32 v11, v6 offset:49184
	s_waitcnt lgkmcnt(0)
	v_add_u32_e32 v10, v11, v10
	s_or_b64 exec, exec, s[78:79]
	s_and_saveexec_b64 s[78:79], s[18:19]
	s_cbranch_execz .LBB207_55
.LBB207_87:                             ;   in Loop: Header=BB207_45 Depth=1
	ds_read_b32 v11, v6 offset:49188
	s_waitcnt lgkmcnt(0)
	v_add_u32_e32 v10, v11, v10
	s_or_b64 exec, exec, s[78:79]
	s_and_saveexec_b64 s[78:79], s[20:21]
	s_cbranch_execz .LBB207_56
.LBB207_88:                             ;   in Loop: Header=BB207_45 Depth=1
	ds_read_b32 v11, v6 offset:49192
	s_waitcnt lgkmcnt(0)
	v_add_u32_e32 v10, v11, v10
	s_or_b64 exec, exec, s[78:79]
	s_and_saveexec_b64 s[78:79], s[22:23]
	s_cbranch_execz .LBB207_57
.LBB207_89:                             ;   in Loop: Header=BB207_45 Depth=1
	ds_read_b32 v11, v6 offset:49196
	s_waitcnt lgkmcnt(0)
	v_add_u32_e32 v10, v11, v10
	s_or_b64 exec, exec, s[78:79]
	s_and_saveexec_b64 s[78:79], s[24:25]
	s_cbranch_execz .LBB207_58
.LBB207_90:                             ;   in Loop: Header=BB207_45 Depth=1
	ds_read_b32 v11, v6 offset:49200
	s_waitcnt lgkmcnt(0)
	v_add_u32_e32 v10, v11, v10
	s_or_b64 exec, exec, s[78:79]
	s_and_saveexec_b64 s[78:79], s[26:27]
	s_cbranch_execz .LBB207_59
.LBB207_91:                             ;   in Loop: Header=BB207_45 Depth=1
	ds_read_b32 v11, v6 offset:49204
	s_waitcnt lgkmcnt(0)
	v_add_u32_e32 v10, v11, v10
	s_or_b64 exec, exec, s[78:79]
	s_and_saveexec_b64 s[78:79], s[28:29]
	s_cbranch_execz .LBB207_60
.LBB207_92:                             ;   in Loop: Header=BB207_45 Depth=1
	ds_read_b32 v11, v6 offset:49208
	s_waitcnt lgkmcnt(0)
	v_add_u32_e32 v10, v11, v10
	s_or_b64 exec, exec, s[78:79]
	s_and_saveexec_b64 s[78:79], s[30:31]
	s_cbranch_execz .LBB207_61
.LBB207_93:                             ;   in Loop: Header=BB207_45 Depth=1
	ds_read_b32 v11, v6 offset:49212
	s_waitcnt lgkmcnt(0)
	v_add_u32_e32 v10, v11, v10
	s_or_b64 exec, exec, s[78:79]
	s_and_saveexec_b64 s[78:79], s[34:35]
	s_cbranch_execz .LBB207_62
.LBB207_94:                             ;   in Loop: Header=BB207_45 Depth=1
	ds_read_b32 v11, v6 offset:49216
	s_waitcnt lgkmcnt(0)
	v_add_u32_e32 v10, v11, v10
	s_or_b64 exec, exec, s[78:79]
	s_and_saveexec_b64 s[78:79], s[36:37]
	s_cbranch_execz .LBB207_63
.LBB207_95:                             ;   in Loop: Header=BB207_45 Depth=1
	ds_read_b32 v11, v6 offset:49220
	s_waitcnt lgkmcnt(0)
	v_add_u32_e32 v10, v11, v10
	s_or_b64 exec, exec, s[78:79]
	s_and_saveexec_b64 s[78:79], s[38:39]
	s_cbranch_execz .LBB207_64
.LBB207_96:                             ;   in Loop: Header=BB207_45 Depth=1
	ds_read_b32 v11, v6 offset:49224
	s_waitcnt lgkmcnt(0)
	v_add_u32_e32 v10, v11, v10
	s_or_b64 exec, exec, s[78:79]
	s_and_saveexec_b64 s[78:79], s[40:41]
	s_cbranch_execz .LBB207_65
.LBB207_97:                             ;   in Loop: Header=BB207_45 Depth=1
	ds_read_b32 v11, v6 offset:49228
	s_waitcnt lgkmcnt(0)
	v_add_u32_e32 v10, v11, v10
	s_or_b64 exec, exec, s[78:79]
	s_and_saveexec_b64 s[78:79], s[42:43]
	s_cbranch_execz .LBB207_66
.LBB207_98:                             ;   in Loop: Header=BB207_45 Depth=1
	ds_read_b32 v11, v6 offset:49232
	s_waitcnt lgkmcnt(0)
	v_add_u32_e32 v10, v11, v10
	s_or_b64 exec, exec, s[78:79]
	s_and_saveexec_b64 s[78:79], s[44:45]
	s_cbranch_execz .LBB207_67
.LBB207_99:                             ;   in Loop: Header=BB207_45 Depth=1
	ds_read_b32 v11, v6 offset:49236
	s_waitcnt lgkmcnt(0)
	v_add_u32_e32 v10, v11, v10
	s_or_b64 exec, exec, s[78:79]
	s_and_saveexec_b64 s[78:79], s[46:47]
	s_cbranch_execz .LBB207_68
.LBB207_100:                            ;   in Loop: Header=BB207_45 Depth=1
	ds_read_b32 v11, v6 offset:49240
	s_waitcnt lgkmcnt(0)
	v_add_u32_e32 v10, v11, v10
	s_or_b64 exec, exec, s[78:79]
	s_and_saveexec_b64 s[78:79], s[48:49]
	s_cbranch_execz .LBB207_69
.LBB207_101:                            ;   in Loop: Header=BB207_45 Depth=1
	ds_read_b32 v11, v6 offset:49244
	s_waitcnt lgkmcnt(0)
	v_add_u32_e32 v10, v11, v10
	s_or_b64 exec, exec, s[78:79]
	s_and_saveexec_b64 s[78:79], s[50:51]
	s_cbranch_execz .LBB207_70
.LBB207_102:                            ;   in Loop: Header=BB207_45 Depth=1
	ds_read_b32 v11, v6 offset:49248
	s_waitcnt lgkmcnt(0)
	v_add_u32_e32 v10, v11, v10
	s_or_b64 exec, exec, s[78:79]
	s_and_saveexec_b64 s[78:79], s[52:53]
	s_cbranch_execz .LBB207_71
.LBB207_103:                            ;   in Loop: Header=BB207_45 Depth=1
	ds_read_b32 v11, v6 offset:49252
	s_waitcnt lgkmcnt(0)
	v_add_u32_e32 v10, v11, v10
	s_or_b64 exec, exec, s[78:79]
	s_and_saveexec_b64 s[78:79], s[54:55]
	s_cbranch_execz .LBB207_72
.LBB207_104:                            ;   in Loop: Header=BB207_45 Depth=1
	ds_read_b32 v11, v6 offset:49256
	s_waitcnt lgkmcnt(0)
	v_add_u32_e32 v10, v11, v10
	s_or_b64 exec, exec, s[78:79]
	s_and_saveexec_b64 s[78:79], s[56:57]
	s_cbranch_execz .LBB207_73
.LBB207_105:                            ;   in Loop: Header=BB207_45 Depth=1
	ds_read_b32 v11, v6 offset:49260
	s_waitcnt lgkmcnt(0)
	v_add_u32_e32 v10, v11, v10
	s_or_b64 exec, exec, s[78:79]
	s_and_saveexec_b64 s[78:79], s[58:59]
	s_cbranch_execz .LBB207_74
.LBB207_106:                            ;   in Loop: Header=BB207_45 Depth=1
	ds_read_b32 v11, v6 offset:49264
	s_waitcnt lgkmcnt(0)
	v_add_u32_e32 v10, v11, v10
	s_or_b64 exec, exec, s[78:79]
	s_and_saveexec_b64 s[78:79], s[60:61]
	s_cbranch_execz .LBB207_75
.LBB207_107:                            ;   in Loop: Header=BB207_45 Depth=1
	ds_read_b32 v11, v6 offset:49268
	s_waitcnt lgkmcnt(0)
	v_add_u32_e32 v10, v11, v10
	s_or_b64 exec, exec, s[78:79]
	s_and_saveexec_b64 s[78:79], s[62:63]
	s_cbranch_execz .LBB207_76
.LBB207_108:                            ;   in Loop: Header=BB207_45 Depth=1
	ds_read_b32 v11, v6 offset:49272
	s_waitcnt lgkmcnt(0)
	v_add_u32_e32 v10, v11, v10
	s_or_b64 exec, exec, s[78:79]
	s_and_saveexec_b64 s[78:79], s[64:65]
	s_cbranch_execz .LBB207_77
.LBB207_109:                            ;   in Loop: Header=BB207_45 Depth=1
	v_add3_u32 v11, v8, -1, v10
	v_lshl_add_u32 v12, v11, 2, 0
	v_lshl_add_u32 v11, v11, 3, 0
	ds_write_b32 v12, v9
	ds_write_b64 v11, v[4:5] offset:16384
	s_or_b64 exec, exec, s[78:79]
	s_and_saveexec_b64 s[64:65], vcc
	s_cbranch_execz .LBB207_44
.LBB207_110:                            ;   in Loop: Header=BB207_45 Depth=1
	ds_write_b32 v6, v10 offset:49276
	s_branch .LBB207_44
.LBB207_111:
	s_or_b64 exec, exec, s[68:69]
	s_ashr_i32 s77, s76, 31
	s_lshl_b64 s[0:1], s[76:77], 3
	s_add_u32 s0, s66, s0
	s_addc_u32 s1, s67, s1
	s_load_dwordx4 s[0:3], s[0:1], 0x0
	s_waitcnt lgkmcnt(0)
	s_sub_i32 s8, s2, s0
	v_cmp_gt_i32_e32 vcc, s8, v0
	s_and_saveexec_b64 s[4:5], vcc
	s_cbranch_execz .LBB207_121
; %bb.112:
	s_sub_u32 s4, s0, s70
	s_subb_u32 s5, s1, 0
	s_and_b32 s9, s8, 7
	s_sub_i32 s0, s0, s2
	s_cmp_lt_u32 s0, -7
	s_cselect_b64 s[0:1], -1, 0
	s_and_b32 s10, s8, -8
	s_cmp_lg_u32 s9, 0
	v_cndmask_b32_e64 v1, 0, 1, s[0:1]
	s_cselect_b64 s[2:3], -1, 0
	v_cmp_ne_u32_e64 s[0:1], 1, v1
	v_cndmask_b32_e64 v1, 0, 1, s[2:3]
	s_mov_b64 s[6:7], 0
	v_cmp_ne_u32_e64 s[2:3], 1, v1
	s_branch .LBB207_114
.LBB207_113:                            ;   in Loop: Header=BB207_114 Depth=1
	v_lshlrev_b64 v[6:7], 2, v[4:5]
	v_mov_b32_e32 v8, s73
	v_add_co_u32_e32 v6, vcc, s72, v6
	s_waitcnt lgkmcnt(1)
	v_add_u32_e32 v1, s70, v1
	v_addc_co_u32_e32 v7, vcc, v8, v7, vcc
	v_lshlrev_b64 v[4:5], 3, v[4:5]
	global_store_dword v[6:7], v1, off
	v_mov_b32_e32 v1, s75
	v_add_co_u32_e32 v4, vcc, s74, v4
	v_addc_co_u32_e32 v5, vcc, v1, v5, vcc
	v_add_u32_e32 v0, 0x400, v0
	v_cmp_le_i32_e32 vcc, s8, v0
	s_or_b64 s[6:7], vcc, s[6:7]
	s_waitcnt lgkmcnt(0)
	global_store_dwordx2 v[4:5], v[2:3], off
	s_andn2_b64 exec, exec, s[6:7]
	s_cbranch_execz .LBB207_121
.LBB207_114:                            ; =>This Loop Header: Depth=1
                                        ;     Child Loop BB207_116 Depth 2
                                        ;     Child Loop BB207_120 Depth 2
	v_lshlrev_b32_e32 v1, 2, v0
	v_add_u32_e32 v2, 0, v1
	v_add_u32_e32 v3, v2, v1
	ds_read_b32 v1, v2
	ds_read_b64 v[2:3], v3 offset:16384
	s_and_b64 vcc, exec, s[0:1]
	v_pk_mov_b32 v[4:5], s[4:5], s[4:5] op_sel:[0,1]
	s_mov_b32 s11, 0
	s_cbranch_vccnz .LBB207_118
; %bb.115:                              ;   in Loop: Header=BB207_114 Depth=1
	s_mov_b32 s12, 0
	v_pk_mov_b32 v[4:5], s[4:5], s[4:5] op_sel:[0,1]
.LBB207_116:                            ;   Parent Loop BB207_114 Depth=1
                                        ; =>  This Inner Loop Header: Depth=2
	v_mov_b32_e32 v12, s12
	ds_read2_b32 v[6:7], v12 offset1:1
	ds_read2_b32 v[8:9], v12 offset0:2 offset1:3
	ds_read2_b32 v[10:11], v12 offset0:4 offset1:5
	;; [unrolled: 1-line block ×3, first 2 shown]
	s_add_i32 s11, s11, 8
	s_waitcnt lgkmcnt(3)
	v_cmp_gt_i32_e32 vcc, v1, v6
	v_cndmask_b32_e64 v6, 0, 1, vcc
	v_cmp_gt_i32_e32 vcc, v1, v7
	v_cndmask_b32_e64 v7, 0, 1, vcc
	s_waitcnt lgkmcnt(2)
	v_cmp_gt_i32_e32 vcc, v1, v8
	v_cndmask_b32_e64 v8, 0, 1, vcc
	v_cmp_gt_i32_e32 vcc, v1, v9
	v_cndmask_b32_e64 v9, 0, 1, vcc
	s_waitcnt lgkmcnt(1)
	v_cmp_gt_i32_e32 vcc, v1, v10
	v_cndmask_b32_e64 v10, 0, 1, vcc
	v_cmp_gt_i32_e32 vcc, v1, v11
	v_cndmask_b32_e64 v11, 0, 1, vcc
	s_waitcnt lgkmcnt(0)
	v_cmp_gt_i32_e32 vcc, v1, v12
	v_cndmask_b32_e64 v12, 0, 1, vcc
	v_cmp_gt_i32_e32 vcc, v1, v13
	v_cndmask_b32_e64 v13, 0, 1, vcc
	v_add_co_u32_e32 v4, vcc, v4, v6
	v_addc_co_u32_e32 v5, vcc, 0, v5, vcc
	v_add_co_u32_e32 v4, vcc, v4, v7
	v_addc_co_u32_e32 v5, vcc, 0, v5, vcc
	;; [unrolled: 2-line block ×7, first 2 shown]
	s_add_i32 s12, s12, 32
	v_add_co_u32_e32 v4, vcc, v4, v13
	s_cmp_eq_u32 s10, s11
	v_addc_co_u32_e32 v5, vcc, 0, v5, vcc
	s_cbranch_scc0 .LBB207_116
; %bb.117:                              ;   in Loop: Header=BB207_114 Depth=1
	s_mov_b32 s11, s10
.LBB207_118:                            ;   in Loop: Header=BB207_114 Depth=1
	s_and_b64 vcc, exec, s[2:3]
	s_cbranch_vccnz .LBB207_113
; %bb.119:                              ;   in Loop: Header=BB207_114 Depth=1
	s_lshl_b32 s11, s11, 2
	s_add_i32 s11, s11, 0
	s_mov_b32 s12, s9
.LBB207_120:                            ;   Parent Loop BB207_114 Depth=1
                                        ; =>  This Inner Loop Header: Depth=2
	v_mov_b32_e32 v6, s11
	ds_read_b32 v6, v6
	s_add_i32 s11, s11, 4
	s_add_i32 s12, s12, -1
	s_cmp_lg_u32 s12, 0
	s_waitcnt lgkmcnt(0)
	v_cmp_gt_i32_e32 vcc, v1, v6
	v_cndmask_b32_e64 v6, 0, 1, vcc
	v_add_co_u32_e32 v4, vcc, v4, v6
	v_addc_co_u32_e32 v5, vcc, 0, v5, vcc
	s_cbranch_scc1 .LBB207_120
	s_branch .LBB207_113
.LBB207_121:
	s_endpgm
	.section	.rodata,"a",@progbits
	.p2align	6, 0x0
	.amdhsa_kernel _ZN9rocsparseL26csrgemm_fill_block_per_rowILj1024ELj64ELj4096ELj137ELj32ElidEEvT5_PKS1_S3_NS_24const_host_device_scalarIT6_EEPKT4_S3_PKS5_S9_S3_SB_S6_S9_S3_SB_S9_PS1_PS5_21rocsparse_index_base_SE_SE_SE_bbb
		.amdhsa_group_segment_fixed_size 0
		.amdhsa_private_segment_fixed_size 0
		.amdhsa_kernarg_size 156
		.amdhsa_user_sgpr_count 6
		.amdhsa_user_sgpr_private_segment_buffer 1
		.amdhsa_user_sgpr_dispatch_ptr 0
		.amdhsa_user_sgpr_queue_ptr 0
		.amdhsa_user_sgpr_kernarg_segment_ptr 1
		.amdhsa_user_sgpr_dispatch_id 0
		.amdhsa_user_sgpr_flat_scratch_init 0
		.amdhsa_user_sgpr_kernarg_preload_length 0
		.amdhsa_user_sgpr_kernarg_preload_offset 0
		.amdhsa_user_sgpr_private_segment_size 0
		.amdhsa_uses_dynamic_stack 0
		.amdhsa_system_sgpr_private_segment_wavefront_offset 0
		.amdhsa_system_sgpr_workgroup_id_x 1
		.amdhsa_system_sgpr_workgroup_id_y 0
		.amdhsa_system_sgpr_workgroup_id_z 0
		.amdhsa_system_sgpr_workgroup_info 0
		.amdhsa_system_vgpr_workitem_id 0
		.amdhsa_next_free_vgpr 27
		.amdhsa_next_free_sgpr 80
		.amdhsa_accum_offset 28
		.amdhsa_reserve_vcc 1
		.amdhsa_reserve_flat_scratch 0
		.amdhsa_float_round_mode_32 0
		.amdhsa_float_round_mode_16_64 0
		.amdhsa_float_denorm_mode_32 3
		.amdhsa_float_denorm_mode_16_64 3
		.amdhsa_dx10_clamp 1
		.amdhsa_ieee_mode 1
		.amdhsa_fp16_overflow 0
		.amdhsa_tg_split 0
		.amdhsa_exception_fp_ieee_invalid_op 0
		.amdhsa_exception_fp_denorm_src 0
		.amdhsa_exception_fp_ieee_div_zero 0
		.amdhsa_exception_fp_ieee_overflow 0
		.amdhsa_exception_fp_ieee_underflow 0
		.amdhsa_exception_fp_ieee_inexact 0
		.amdhsa_exception_int_div_zero 0
	.end_amdhsa_kernel
	.section	.text._ZN9rocsparseL26csrgemm_fill_block_per_rowILj1024ELj64ELj4096ELj137ELj32ElidEEvT5_PKS1_S3_NS_24const_host_device_scalarIT6_EEPKT4_S3_PKS5_S9_S3_SB_S6_S9_S3_SB_S9_PS1_PS5_21rocsparse_index_base_SE_SE_SE_bbb,"axG",@progbits,_ZN9rocsparseL26csrgemm_fill_block_per_rowILj1024ELj64ELj4096ELj137ELj32ElidEEvT5_PKS1_S3_NS_24const_host_device_scalarIT6_EEPKT4_S3_PKS5_S9_S3_SB_S6_S9_S3_SB_S9_PS1_PS5_21rocsparse_index_base_SE_SE_SE_bbb,comdat
.Lfunc_end207:
	.size	_ZN9rocsparseL26csrgemm_fill_block_per_rowILj1024ELj64ELj4096ELj137ELj32ElidEEvT5_PKS1_S3_NS_24const_host_device_scalarIT6_EEPKT4_S3_PKS5_S9_S3_SB_S6_S9_S3_SB_S9_PS1_PS5_21rocsparse_index_base_SE_SE_SE_bbb, .Lfunc_end207-_ZN9rocsparseL26csrgemm_fill_block_per_rowILj1024ELj64ELj4096ELj137ELj32ElidEEvT5_PKS1_S3_NS_24const_host_device_scalarIT6_EEPKT4_S3_PKS5_S9_S3_SB_S6_S9_S3_SB_S9_PS1_PS5_21rocsparse_index_base_SE_SE_SE_bbb
                                        ; -- End function
	.section	.AMDGPU.csdata,"",@progbits
; Kernel info:
; codeLenInByte = 3988
; NumSgprs: 84
; NumVgprs: 27
; NumAgprs: 0
; TotalNumVgprs: 27
; ScratchSize: 0
; MemoryBound: 0
; FloatMode: 240
; IeeeMode: 1
; LDSByteSize: 0 bytes/workgroup (compile time only)
; SGPRBlocks: 10
; VGPRBlocks: 3
; NumSGPRsForWavesPerEU: 84
; NumVGPRsForWavesPerEU: 27
; AccumOffset: 28
; Occupancy: 8
; WaveLimiterHint : 1
; COMPUTE_PGM_RSRC2:SCRATCH_EN: 0
; COMPUTE_PGM_RSRC2:USER_SGPR: 6
; COMPUTE_PGM_RSRC2:TRAP_HANDLER: 0
; COMPUTE_PGM_RSRC2:TGID_X_EN: 1
; COMPUTE_PGM_RSRC2:TGID_Y_EN: 0
; COMPUTE_PGM_RSRC2:TGID_Z_EN: 0
; COMPUTE_PGM_RSRC2:TIDIG_COMP_CNT: 0
; COMPUTE_PGM_RSRC3_GFX90A:ACCUM_OFFSET: 6
; COMPUTE_PGM_RSRC3_GFX90A:TG_SPLIT: 0
	.section	.text._ZN9rocsparseL26csrgemm_fill_block_per_rowILj1024ELj64ELj4096ELj137ELj64ElidEEvT5_PKS1_S3_NS_24const_host_device_scalarIT6_EEPKT4_S3_PKS5_S9_S3_SB_S6_S9_S3_SB_S9_PS1_PS5_21rocsparse_index_base_SE_SE_SE_bbb,"axG",@progbits,_ZN9rocsparseL26csrgemm_fill_block_per_rowILj1024ELj64ELj4096ELj137ELj64ElidEEvT5_PKS1_S3_NS_24const_host_device_scalarIT6_EEPKT4_S3_PKS5_S9_S3_SB_S6_S9_S3_SB_S9_PS1_PS5_21rocsparse_index_base_SE_SE_SE_bbb,comdat
	.globl	_ZN9rocsparseL26csrgemm_fill_block_per_rowILj1024ELj64ELj4096ELj137ELj64ElidEEvT5_PKS1_S3_NS_24const_host_device_scalarIT6_EEPKT4_S3_PKS5_S9_S3_SB_S6_S9_S3_SB_S9_PS1_PS5_21rocsparse_index_base_SE_SE_SE_bbb ; -- Begin function _ZN9rocsparseL26csrgemm_fill_block_per_rowILj1024ELj64ELj4096ELj137ELj64ElidEEvT5_PKS1_S3_NS_24const_host_device_scalarIT6_EEPKT4_S3_PKS5_S9_S3_SB_S6_S9_S3_SB_S9_PS1_PS5_21rocsparse_index_base_SE_SE_SE_bbb
	.p2align	8
	.type	_ZN9rocsparseL26csrgemm_fill_block_per_rowILj1024ELj64ELj4096ELj137ELj64ElidEEvT5_PKS1_S3_NS_24const_host_device_scalarIT6_EEPKT4_S3_PKS5_S9_S3_SB_S6_S9_S3_SB_S9_PS1_PS5_21rocsparse_index_base_SE_SE_SE_bbb,@function
_ZN9rocsparseL26csrgemm_fill_block_per_rowILj1024ELj64ELj4096ELj137ELj64ElidEEvT5_PKS1_S3_NS_24const_host_device_scalarIT6_EEPKT4_S3_PKS5_S9_S3_SB_S6_S9_S3_SB_S9_PS1_PS5_21rocsparse_index_base_SE_SE_SE_bbb: ; @_ZN9rocsparseL26csrgemm_fill_block_per_rowILj1024ELj64ELj4096ELj137ELj64ElidEEvT5_PKS1_S3_NS_24const_host_device_scalarIT6_EEPKT4_S3_PKS5_S9_S3_SB_S6_S9_S3_SB_S9_PS1_PS5_21rocsparse_index_base_SE_SE_SE_bbb
; %bb.0:
	s_load_dword s7, s[4:5], 0x98
	s_load_dwordx4 s[44:47], s[4:5], 0x88
	s_load_dwordx2 s[0:1], s[4:5], 0x18
	s_load_dwordx2 s[24:25], s[4:5], 0x50
	s_waitcnt lgkmcnt(0)
	s_and_b32 s2, 1, s7
	s_bitcmp1_b32 s7, 16
	s_cselect_b64 s[26:27], -1, 0
	s_cmp_eq_u32 s2, 1
	s_cselect_b64 s[22:23], -1, 0
	s_and_b64 s[2:3], s[22:23], exec
	s_cselect_b32 s3, s1, 0
	s_cselect_b32 s2, s0, 0
	s_xor_b64 s[8:9], s[22:23], -1
	s_or_b64 s[8:9], s[8:9], s[26:27]
	s_and_b64 vcc, exec, s[8:9]
	v_pk_mov_b32 v[4:5], s[2:3], s[2:3] op_sel:[0,1]
	s_cbranch_vccnz .LBB208_2
; %bb.1:
	v_pk_mov_b32 v[2:3], s[0:1], s[0:1] op_sel:[0,1]
	flat_load_dwordx2 v[4:5], v[2:3]
.LBB208_2:
	s_load_dwordx4 s[48:51], s[4:5], 0x78
	s_load_dwordx8 s[36:43], s[4:5], 0x58
	s_load_dwordx4 s[0:3], s[4:5], 0x40
	s_load_dwordx4 s[16:19], s[4:5], 0x8
	s_load_dwordx8 s[8:15], s[4:5], 0x20
	s_bitcmp1_b32 s7, 8
	s_cselect_b64 s[20:21], -1, 0
	s_and_b64 s[28:29], s[20:21], exec
	s_cselect_b32 s29, s25, 0
	s_cselect_b32 s28, s24, 0
	s_xor_b64 s[30:31], s[20:21], -1
	s_or_b64 s[26:27], s[30:31], s[26:27]
	s_and_b64 vcc, exec, s[26:27]
	v_pk_mov_b32 v[2:3], s[28:29], s[28:29] op_sel:[0,1]
	s_cbranch_vccnz .LBB208_4
; %bb.3:
	v_pk_mov_b32 v[2:3], s[24:25], s[24:25] op_sel:[0,1]
	flat_load_dwordx2 v[2:3], v[2:3]
.LBB208_4:
	s_load_dword s33, s[4:5], 0x0
	v_lshl_add_u32 v1, v0, 3, 0
	v_mov_b32_e32 v6, 0
	v_add_u32_e32 v1, 0x4000, v1
	v_or_b32_e32 v16, 0xfffffc00, v0
	v_lshl_add_u32 v17, v0, 2, 0
	s_mov_b64 s[4:5], 0
	s_waitcnt lgkmcnt(0)
	v_mov_b32_e32 v8, s33
	v_mov_b32_e32 v7, v6
	s_movk_i32 s7, 0xbff
	v_mov_b32_e32 v9, v17
	v_mov_b32_e32 v10, v16
	;; [unrolled: 1-line block ×3, first 2 shown]
.LBB208_5:                              ; =>This Inner Loop Header: Depth=1
	v_add_u32_e32 v10, 0x400, v10
	v_cmp_lt_u32_e32 vcc, s7, v10
	ds_write_b32 v9, v8
	ds_write_b64 v11, v[6:7]
	v_add_u32_e32 v11, 0x2000, v11
	s_or_b64 s[4:5], vcc, s[4:5]
	v_add_u32_e32 v9, 0x1000, v9
	s_andn2_b64 exec, exec, s[4:5]
	s_cbranch_execnz .LBB208_5
; %bb.6:
	s_or_b64 exec, exec, s[4:5]
	s_waitcnt lgkmcnt(0)
	s_barrier
	s_load_dword s4, s[16:17], 0x0
	s_mov_b32 s5, 0
	v_lshrrev_b32_e32 v18, 6, v0
	s_waitcnt lgkmcnt(0)
	s_add_i32 s4, s4, s6
	s_lshl_b64 s[4:5], s[4:5], 2
	s_add_u32 s4, s18, s4
	s_addc_u32 s5, s19, s5
	s_load_dword s34, s[4:5], 0x0
	s_and_b64 vcc, exec, s[22:23]
	s_cbranch_vccz .LBB208_26
; %bb.7:
	s_waitcnt lgkmcnt(0)
	s_ashr_i32 s35, s34, 31
	s_lshl_b64 s[4:5], s[34:35], 3
	s_add_u32 s4, s8, s4
	s_addc_u32 s5, s9, s5
	s_load_dwordx4 s[16:19], s[4:5], 0x0
	v_subrev_co_u32_e32 v6, vcc, s44, v18
	v_subb_co_u32_e64 v7, s[4:5], 0, 0, vcc
	s_waitcnt lgkmcnt(0)
	s_sub_u32 s4, s18, s44
	v_mov_b32_e32 v8, s17
	v_add_co_u32_e32 v6, vcc, s16, v6
	s_subb_u32 s5, s19, 0
	v_addc_co_u32_e32 v7, vcc, v8, v7, vcc
	v_cmp_gt_i64_e32 vcc, s[4:5], v[6:7]
	s_and_saveexec_b64 s[6:7], vcc
	s_cbranch_execz .LBB208_25
; %bb.8:
	v_and_b32_e32 v8, 63, v0
	v_subrev_co_u32_e32 v19, vcc, s45, v8
	s_mov_b32 s16, 0
	v_subb_co_u32_e64 v20, s[8:9], 0, 0, vcc
	s_mov_b32 s35, s45
	s_mov_b64 s[8:9], 0
	v_mov_b32_e32 v21, s11
	v_mov_b32_e32 v22, s15
	;; [unrolled: 1-line block ×3, first 2 shown]
	s_movk_i32 s11, 0x89
	s_branch .LBB208_10
.LBB208_9:                              ;   in Loop: Header=BB208_10 Depth=1
	s_or_b64 exec, exec, s[16:17]
	v_add_co_u32_e32 v6, vcc, 16, v6
	v_addc_co_u32_e32 v7, vcc, 0, v7, vcc
	v_cmp_le_i64_e32 vcc, s[4:5], v[6:7]
	s_or_b64 s[8:9], vcc, s[8:9]
	s_andn2_b64 exec, exec, s[8:9]
	s_cbranch_execz .LBB208_25
.LBB208_10:                             ; =>This Loop Header: Depth=1
                                        ;     Child Loop BB208_13 Depth 2
                                        ;       Child Loop BB208_15 Depth 3
	v_lshlrev_b64 v[8:9], 2, v[6:7]
	v_add_co_u32_e32 v8, vcc, s10, v8
	v_addc_co_u32_e32 v9, vcc, v21, v9, vcc
	global_load_dword v8, v[8:9], off
	s_waitcnt vmcnt(0)
	v_subrev_u32_e32 v8, s44, v8
	v_ashrrev_i32_e32 v9, 31, v8
	v_lshlrev_b64 v[8:9], 3, v[8:9]
	v_add_co_u32_e32 v8, vcc, s14, v8
	v_addc_co_u32_e32 v9, vcc, v22, v9, vcc
	global_load_dwordx4 v[10:13], v[8:9], off
	s_waitcnt vmcnt(0)
	v_subrev_co_u32_e32 v8, vcc, s35, v12
	v_subb_co_u32_e32 v9, vcc, v13, v23, vcc
	v_add_co_u32_e32 v10, vcc, v10, v19
	v_addc_co_u32_e32 v11, vcc, v11, v20, vcc
	v_cmp_lt_i64_e32 vcc, v[10:11], v[8:9]
	s_and_saveexec_b64 s[16:17], vcc
	s_cbranch_execz .LBB208_9
; %bb.11:                               ;   in Loop: Header=BB208_10 Depth=1
	v_lshlrev_b64 v[12:13], 3, v[6:7]
	v_mov_b32_e32 v14, s13
	v_add_co_u32_e32 v12, vcc, s12, v12
	v_addc_co_u32_e32 v13, vcc, v14, v13, vcc
	global_load_dwordx2 v[12:13], v[12:13], off
	s_mov_b64 s[18:19], 0
	s_waitcnt vmcnt(0)
	v_mul_f64 v[12:13], v[4:5], v[12:13]
	s_branch .LBB208_13
.LBB208_12:                             ;   in Loop: Header=BB208_13 Depth=2
	s_or_b64 exec, exec, s[22:23]
	v_add_co_u32_e32 v10, vcc, 64, v10
	v_addc_co_u32_e32 v11, vcc, 0, v11, vcc
	v_cmp_ge_i64_e32 vcc, v[10:11], v[8:9]
	s_or_b64 s[18:19], vcc, s[18:19]
	s_andn2_b64 exec, exec, s[18:19]
	s_cbranch_execz .LBB208_9
.LBB208_13:                             ;   Parent Loop BB208_10 Depth=1
                                        ; =>  This Loop Header: Depth=2
                                        ;       Child Loop BB208_15 Depth 3
	v_lshlrev_b64 v[14:15], 2, v[10:11]
	v_mov_b32_e32 v24, s1
	v_add_co_u32_e32 v14, vcc, s0, v14
	v_addc_co_u32_e32 v15, vcc, v24, v15, vcc
	global_load_dword v24, v[14:15], off
	v_lshlrev_b64 v[14:15], 3, v[10:11]
	v_mov_b32_e32 v25, s3
	v_add_co_u32_e32 v14, vcc, s2, v14
	v_addc_co_u32_e32 v15, vcc, v25, v15, vcc
	global_load_dwordx2 v[14:15], v[14:15], off
	s_mov_b64 s[22:23], 0
	s_waitcnt vmcnt(1)
	v_subrev_u32_e32 v24, s45, v24
	v_mul_lo_u32 v25, v24, s11
	v_and_b32_e32 v25, 0xfff, v25
	s_waitcnt vmcnt(0)
	v_mul_f64 v[14:15], v[12:13], v[14:15]
	s_branch .LBB208_15
.LBB208_14:                             ;   in Loop: Header=BB208_15 Depth=3
	s_or_b64 exec, exec, s[24:25]
	s_xor_b64 s[24:25], s[26:27], -1
	s_and_b64 s[24:25], exec, s[24:25]
	s_or_b64 s[22:23], s[24:25], s[22:23]
	s_andn2_b64 exec, exec, s[22:23]
	s_cbranch_execz .LBB208_12
.LBB208_15:                             ;   Parent Loop BB208_10 Depth=1
                                        ;     Parent Loop BB208_13 Depth=2
                                        ; =>    This Inner Loop Header: Depth=3
	v_lshl_add_u32 v26, v25, 2, 0
	ds_read_b32 v27, v26
                                        ; implicit-def: $sgpr26_sgpr27
	s_waitcnt lgkmcnt(0)
	v_cmp_ne_u32_e32 vcc, v27, v24
	s_and_saveexec_b64 s[24:25], vcc
	s_xor_b64 s[24:25], exec, s[24:25]
	s_cbranch_execz .LBB208_23
; %bb.16:                               ;   in Loop: Header=BB208_15 Depth=3
	v_cmp_ne_u32_e32 vcc, s33, v27
                                        ; implicit-def: $sgpr26_sgpr27
	s_and_saveexec_b64 s[28:29], vcc
	s_xor_b64 s[28:29], exec, s[28:29]
; %bb.17:                               ;   in Loop: Header=BB208_15 Depth=3
	v_add_u32_e32 v25, 1, v25
	v_and_b32_e32 v25, 0xfff, v25
	s_mov_b64 s[26:27], -1
                                        ; implicit-def: $vgpr26
; %bb.18:                               ;   in Loop: Header=BB208_15 Depth=3
	s_andn2_saveexec_b64 s[28:29], s[28:29]
	s_cbranch_execz .LBB208_22
; %bb.19:                               ;   in Loop: Header=BB208_15 Depth=3
	v_mov_b32_e32 v27, s33
	ds_cmpst_rtn_b32 v27, v26, v27, v24
	s_mov_b64 s[30:31], -1
	s_waitcnt lgkmcnt(0)
	v_cmp_eq_u32_e32 vcc, s33, v27
	s_and_saveexec_b64 s[52:53], vcc
	s_cbranch_execz .LBB208_21
; %bb.20:                               ;   in Loop: Header=BB208_15 Depth=3
	v_lshl_add_u32 v26, v25, 2, v26
	ds_add_f64 v26, v[14:15] offset:16384
	s_xor_b64 s[30:31], exec, -1
.LBB208_21:                             ;   in Loop: Header=BB208_15 Depth=3
	s_or_b64 exec, exec, s[52:53]
	s_andn2_b64 s[26:27], s[26:27], exec
	s_and_b64 s[30:31], s[30:31], exec
	s_or_b64 s[26:27], s[26:27], s[30:31]
.LBB208_22:                             ;   in Loop: Header=BB208_15 Depth=3
	s_or_b64 exec, exec, s[28:29]
	s_and_b64 s[26:27], s[26:27], exec
                                        ; implicit-def: $vgpr26
.LBB208_23:                             ;   in Loop: Header=BB208_15 Depth=3
	s_andn2_saveexec_b64 s[24:25], s[24:25]
	s_cbranch_execz .LBB208_14
; %bb.24:                               ;   in Loop: Header=BB208_15 Depth=3
	v_lshl_add_u32 v26, v25, 2, v26
	ds_add_f64 v26, v[14:15] offset:16384
	s_andn2_b64 s[26:27], s[26:27], exec
	s_branch .LBB208_14
.LBB208_25:
	s_or_b64 exec, exec, s[6:7]
.LBB208_26:
	s_andn2_b64 vcc, exec, s[20:21]
	s_cbranch_vccnz .LBB208_43
; %bb.27:
	s_waitcnt lgkmcnt(0)
	s_ashr_i32 s35, s34, 31
	s_lshl_b64 s[0:1], s[34:35], 3
	s_add_u32 s0, s36, s0
	s_addc_u32 s1, s37, s1
	s_load_dwordx4 s[4:7], s[0:1], 0x0
	s_waitcnt vmcnt(0)
	v_subrev_co_u32_e32 v4, vcc, s47, v0
	v_subb_co_u32_e64 v5, s[0:1], 0, 0, vcc
	s_waitcnt lgkmcnt(0)
	s_sub_u32 s0, s6, s47
	v_mov_b32_e32 v6, s5
	v_add_co_u32_e32 v4, vcc, s4, v4
	s_subb_u32 s1, s7, 0
	v_addc_co_u32_e32 v5, vcc, v6, v5, vcc
	v_cmp_gt_i64_e32 vcc, s[0:1], v[4:5]
	s_and_saveexec_b64 s[2:3], vcc
	s_cbranch_execz .LBB208_42
; %bb.28:
	s_mov_b64 s[4:5], 0
	v_mov_b32_e32 v8, s39
	v_mov_b32_e32 v9, s41
	s_movk_i32 s18, 0x89
	s_branch .LBB208_30
.LBB208_29:                             ;   in Loop: Header=BB208_30 Depth=1
	s_or_b64 exec, exec, s[6:7]
	v_add_co_u32_e32 v4, vcc, 0x400, v4
	v_addc_co_u32_e32 v5, vcc, 0, v5, vcc
	v_cmp_le_i64_e32 vcc, s[0:1], v[4:5]
	s_or_b64 s[4:5], vcc, s[4:5]
	s_andn2_b64 exec, exec, s[4:5]
	s_cbranch_execz .LBB208_42
.LBB208_30:                             ; =>This Loop Header: Depth=1
                                        ;     Child Loop BB208_32 Depth 2
	v_lshlrev_b64 v[6:7], 2, v[4:5]
	v_add_co_u32_e32 v6, vcc, s38, v6
	v_addc_co_u32_e32 v7, vcc, v8, v7, vcc
	global_load_dword v10, v[6:7], off
	v_lshlrev_b64 v[6:7], 3, v[4:5]
	v_add_co_u32_e32 v6, vcc, s40, v6
	v_addc_co_u32_e32 v7, vcc, v9, v7, vcc
	global_load_dwordx2 v[6:7], v[6:7], off
	s_mov_b64 s[6:7], 0
	s_waitcnt vmcnt(1)
	v_subrev_u32_e32 v10, s47, v10
	v_mul_lo_u32 v11, v10, s18
	v_and_b32_e32 v11, 0xfff, v11
	s_waitcnt vmcnt(0)
	v_mul_f64 v[6:7], v[2:3], v[6:7]
	s_branch .LBB208_32
.LBB208_31:                             ;   in Loop: Header=BB208_32 Depth=2
	s_or_b64 exec, exec, s[8:9]
	s_xor_b64 s[8:9], s[10:11], -1
	s_and_b64 s[8:9], exec, s[8:9]
	s_or_b64 s[6:7], s[8:9], s[6:7]
	s_andn2_b64 exec, exec, s[6:7]
	s_cbranch_execz .LBB208_29
.LBB208_32:                             ;   Parent Loop BB208_30 Depth=1
                                        ; =>  This Inner Loop Header: Depth=2
	v_lshl_add_u32 v12, v11, 2, 0
	ds_read_b32 v13, v12
                                        ; implicit-def: $sgpr10_sgpr11
	s_waitcnt lgkmcnt(0)
	v_cmp_ne_u32_e32 vcc, v13, v10
	s_and_saveexec_b64 s[8:9], vcc
	s_xor_b64 s[8:9], exec, s[8:9]
	s_cbranch_execz .LBB208_40
; %bb.33:                               ;   in Loop: Header=BB208_32 Depth=2
	v_cmp_ne_u32_e32 vcc, s33, v13
                                        ; implicit-def: $sgpr10_sgpr11
	s_and_saveexec_b64 s[12:13], vcc
	s_xor_b64 s[12:13], exec, s[12:13]
; %bb.34:                               ;   in Loop: Header=BB208_32 Depth=2
	v_add_u32_e32 v11, 1, v11
	v_and_b32_e32 v11, 0xfff, v11
	s_mov_b64 s[10:11], -1
                                        ; implicit-def: $vgpr12
; %bb.35:                               ;   in Loop: Header=BB208_32 Depth=2
	s_andn2_saveexec_b64 s[12:13], s[12:13]
	s_cbranch_execz .LBB208_39
; %bb.36:                               ;   in Loop: Header=BB208_32 Depth=2
	v_mov_b32_e32 v13, s33
	ds_cmpst_rtn_b32 v13, v12, v13, v10
	s_mov_b64 s[14:15], -1
	s_waitcnt lgkmcnt(0)
	v_cmp_eq_u32_e32 vcc, s33, v13
	s_and_saveexec_b64 s[16:17], vcc
	s_cbranch_execz .LBB208_38
; %bb.37:                               ;   in Loop: Header=BB208_32 Depth=2
	v_lshl_add_u32 v12, v11, 2, v12
	ds_add_f64 v12, v[6:7] offset:16384
	s_xor_b64 s[14:15], exec, -1
.LBB208_38:                             ;   in Loop: Header=BB208_32 Depth=2
	s_or_b64 exec, exec, s[16:17]
	s_andn2_b64 s[10:11], s[10:11], exec
	s_and_b64 s[14:15], s[14:15], exec
	s_or_b64 s[10:11], s[10:11], s[14:15]
.LBB208_39:                             ;   in Loop: Header=BB208_32 Depth=2
	s_or_b64 exec, exec, s[12:13]
	s_and_b64 s[10:11], s[10:11], exec
                                        ; implicit-def: $vgpr12
.LBB208_40:                             ;   in Loop: Header=BB208_32 Depth=2
	s_andn2_saveexec_b64 s[8:9], s[8:9]
	s_cbranch_execz .LBB208_31
; %bb.41:                               ;   in Loop: Header=BB208_32 Depth=2
	v_lshl_add_u32 v12, v11, 2, v12
	ds_add_f64 v12, v[6:7] offset:16384
	s_andn2_b64 s[10:11], s[10:11], exec
	s_branch .LBB208_31
.LBB208_42:
	s_or_b64 exec, exec, s[2:3]
.LBB208_43:
	s_waitcnt vmcnt(0)
	v_mbcnt_lo_u32_b32 v2, -1, 0
	v_mbcnt_hi_u32_b32 v2, -1, v2
	v_sub_u32_e32 v2, 63, v2
	s_movk_i32 s0, 0x3ff
	s_movk_i32 s2, 0x7f
	;; [unrolled: 1-line block ×15, first 2 shown]
	v_mov_b32_e32 v6, 0
	v_lshrrev_b64 v[2:3], v2, -1
	v_lshl_add_u32 v7, v18, 2, 0
	v_cmp_eq_u32_e32 vcc, s0, v0
	v_cmp_lt_u32_e64 s[0:1], 63, v0
	v_cmp_lt_u32_e64 s[2:3], s2, v0
	;; [unrolled: 1-line block ×15, first 2 shown]
	s_mov_b64 s[36:37], 0
	s_movk_i32 s35, 0xbff
	v_mov_b32_e32 v8, 0
	s_waitcnt lgkmcnt(0)
	s_barrier
	s_branch .LBB208_45
.LBB208_44:                             ;   in Loop: Header=BB208_45 Depth=1
	s_or_b64 exec, exec, s[30:31]
	s_waitcnt lgkmcnt(0)
	s_barrier
	ds_read_b32 v4, v6 offset:49212
	v_add_u32_e32 v16, 0x400, v16
	v_cmp_lt_u32_e64 s[30:31], s35, v16
	v_add_u32_e32 v1, 0x2000, v1
	s_or_b64 s[36:37], s[30:31], s[36:37]
	s_waitcnt lgkmcnt(0)
	v_add_u32_e32 v8, v4, v8
	v_add_u32_e32 v17, 0x1000, v17
	s_andn2_b64 exec, exec, s[36:37]
	s_cbranch_execz .LBB208_79
.LBB208_45:                             ; =>This Inner Loop Header: Depth=1
	ds_read_b32 v9, v17
	ds_read_b64 v[4:5], v1
	s_waitcnt lgkmcnt(0)
	s_barrier
	v_cmp_gt_i32_e64 s[30:31], s33, v9
	v_and_b32_e32 v11, s30, v2
	s_bcnt1_i32_b64 s38, s[30:31]
	v_and_b32_e32 v10, s31, v3
	v_bcnt_u32_b32 v11, v11, 0
	v_bcnt_u32_b32 v10, v10, v11
	v_mov_b32_e32 v11, s38
	ds_write_b32 v7, v11 offset:49152
	s_waitcnt lgkmcnt(0)
	s_barrier
	s_and_saveexec_b64 s[38:39], s[0:1]
	s_cbranch_execnz .LBB208_62
; %bb.46:                               ;   in Loop: Header=BB208_45 Depth=1
	s_or_b64 exec, exec, s[38:39]
	s_and_saveexec_b64 s[38:39], s[2:3]
	s_cbranch_execnz .LBB208_63
.LBB208_47:                             ;   in Loop: Header=BB208_45 Depth=1
	s_or_b64 exec, exec, s[38:39]
	s_and_saveexec_b64 s[38:39], s[4:5]
	s_cbranch_execnz .LBB208_64
.LBB208_48:                             ;   in Loop: Header=BB208_45 Depth=1
	s_or_b64 exec, exec, s[38:39]
	s_and_saveexec_b64 s[38:39], s[6:7]
	s_cbranch_execnz .LBB208_65
.LBB208_49:                             ;   in Loop: Header=BB208_45 Depth=1
	s_or_b64 exec, exec, s[38:39]
	s_and_saveexec_b64 s[38:39], s[8:9]
	s_cbranch_execnz .LBB208_66
.LBB208_50:                             ;   in Loop: Header=BB208_45 Depth=1
	s_or_b64 exec, exec, s[38:39]
	s_and_saveexec_b64 s[38:39], s[10:11]
	s_cbranch_execnz .LBB208_67
.LBB208_51:                             ;   in Loop: Header=BB208_45 Depth=1
	s_or_b64 exec, exec, s[38:39]
	s_and_saveexec_b64 s[38:39], s[12:13]
	s_cbranch_execnz .LBB208_68
.LBB208_52:                             ;   in Loop: Header=BB208_45 Depth=1
	s_or_b64 exec, exec, s[38:39]
	s_and_saveexec_b64 s[38:39], s[14:15]
	s_cbranch_execnz .LBB208_69
.LBB208_53:                             ;   in Loop: Header=BB208_45 Depth=1
	s_or_b64 exec, exec, s[38:39]
	s_and_saveexec_b64 s[38:39], s[16:17]
	s_cbranch_execnz .LBB208_70
.LBB208_54:                             ;   in Loop: Header=BB208_45 Depth=1
	s_or_b64 exec, exec, s[38:39]
	s_and_saveexec_b64 s[38:39], s[18:19]
	s_cbranch_execnz .LBB208_71
.LBB208_55:                             ;   in Loop: Header=BB208_45 Depth=1
	s_or_b64 exec, exec, s[38:39]
	s_and_saveexec_b64 s[38:39], s[20:21]
	s_cbranch_execnz .LBB208_72
.LBB208_56:                             ;   in Loop: Header=BB208_45 Depth=1
	s_or_b64 exec, exec, s[38:39]
	s_and_saveexec_b64 s[38:39], s[22:23]
	s_cbranch_execnz .LBB208_73
.LBB208_57:                             ;   in Loop: Header=BB208_45 Depth=1
	s_or_b64 exec, exec, s[38:39]
	s_and_saveexec_b64 s[38:39], s[24:25]
	s_cbranch_execnz .LBB208_74
.LBB208_58:                             ;   in Loop: Header=BB208_45 Depth=1
	s_or_b64 exec, exec, s[38:39]
	s_and_saveexec_b64 s[38:39], s[26:27]
	s_cbranch_execnz .LBB208_75
.LBB208_59:                             ;   in Loop: Header=BB208_45 Depth=1
	s_or_b64 exec, exec, s[38:39]
	s_and_saveexec_b64 s[38:39], s[28:29]
	s_cbranch_execnz .LBB208_76
.LBB208_60:                             ;   in Loop: Header=BB208_45 Depth=1
	s_or_b64 exec, exec, s[38:39]
	s_and_saveexec_b64 s[38:39], s[30:31]
	s_cbranch_execnz .LBB208_77
.LBB208_61:                             ;   in Loop: Header=BB208_45 Depth=1
	s_or_b64 exec, exec, s[38:39]
	s_and_saveexec_b64 s[30:31], vcc
	s_cbranch_execz .LBB208_44
	s_branch .LBB208_78
.LBB208_62:                             ;   in Loop: Header=BB208_45 Depth=1
	ds_read_b32 v11, v6 offset:49152
	s_waitcnt lgkmcnt(0)
	v_add_u32_e32 v10, v11, v10
	s_or_b64 exec, exec, s[38:39]
	s_and_saveexec_b64 s[38:39], s[2:3]
	s_cbranch_execz .LBB208_47
.LBB208_63:                             ;   in Loop: Header=BB208_45 Depth=1
	ds_read_b32 v11, v6 offset:49156
	s_waitcnt lgkmcnt(0)
	v_add_u32_e32 v10, v11, v10
	s_or_b64 exec, exec, s[38:39]
	s_and_saveexec_b64 s[38:39], s[4:5]
	s_cbranch_execz .LBB208_48
.LBB208_64:                             ;   in Loop: Header=BB208_45 Depth=1
	ds_read_b32 v11, v6 offset:49160
	s_waitcnt lgkmcnt(0)
	v_add_u32_e32 v10, v11, v10
	s_or_b64 exec, exec, s[38:39]
	s_and_saveexec_b64 s[38:39], s[6:7]
	s_cbranch_execz .LBB208_49
.LBB208_65:                             ;   in Loop: Header=BB208_45 Depth=1
	ds_read_b32 v11, v6 offset:49164
	s_waitcnt lgkmcnt(0)
	v_add_u32_e32 v10, v11, v10
	s_or_b64 exec, exec, s[38:39]
	s_and_saveexec_b64 s[38:39], s[8:9]
	s_cbranch_execz .LBB208_50
.LBB208_66:                             ;   in Loop: Header=BB208_45 Depth=1
	ds_read_b32 v11, v6 offset:49168
	s_waitcnt lgkmcnt(0)
	v_add_u32_e32 v10, v11, v10
	s_or_b64 exec, exec, s[38:39]
	s_and_saveexec_b64 s[38:39], s[10:11]
	s_cbranch_execz .LBB208_51
.LBB208_67:                             ;   in Loop: Header=BB208_45 Depth=1
	ds_read_b32 v11, v6 offset:49172
	s_waitcnt lgkmcnt(0)
	v_add_u32_e32 v10, v11, v10
	s_or_b64 exec, exec, s[38:39]
	s_and_saveexec_b64 s[38:39], s[12:13]
	s_cbranch_execz .LBB208_52
.LBB208_68:                             ;   in Loop: Header=BB208_45 Depth=1
	ds_read_b32 v11, v6 offset:49176
	s_waitcnt lgkmcnt(0)
	v_add_u32_e32 v10, v11, v10
	s_or_b64 exec, exec, s[38:39]
	s_and_saveexec_b64 s[38:39], s[14:15]
	s_cbranch_execz .LBB208_53
.LBB208_69:                             ;   in Loop: Header=BB208_45 Depth=1
	ds_read_b32 v11, v6 offset:49180
	s_waitcnt lgkmcnt(0)
	v_add_u32_e32 v10, v11, v10
	s_or_b64 exec, exec, s[38:39]
	s_and_saveexec_b64 s[38:39], s[16:17]
	s_cbranch_execz .LBB208_54
.LBB208_70:                             ;   in Loop: Header=BB208_45 Depth=1
	ds_read_b32 v11, v6 offset:49184
	s_waitcnt lgkmcnt(0)
	v_add_u32_e32 v10, v11, v10
	s_or_b64 exec, exec, s[38:39]
	s_and_saveexec_b64 s[38:39], s[18:19]
	s_cbranch_execz .LBB208_55
.LBB208_71:                             ;   in Loop: Header=BB208_45 Depth=1
	ds_read_b32 v11, v6 offset:49188
	s_waitcnt lgkmcnt(0)
	v_add_u32_e32 v10, v11, v10
	s_or_b64 exec, exec, s[38:39]
	s_and_saveexec_b64 s[38:39], s[20:21]
	s_cbranch_execz .LBB208_56
.LBB208_72:                             ;   in Loop: Header=BB208_45 Depth=1
	ds_read_b32 v11, v6 offset:49192
	s_waitcnt lgkmcnt(0)
	v_add_u32_e32 v10, v11, v10
	s_or_b64 exec, exec, s[38:39]
	s_and_saveexec_b64 s[38:39], s[22:23]
	s_cbranch_execz .LBB208_57
.LBB208_73:                             ;   in Loop: Header=BB208_45 Depth=1
	ds_read_b32 v11, v6 offset:49196
	s_waitcnt lgkmcnt(0)
	v_add_u32_e32 v10, v11, v10
	s_or_b64 exec, exec, s[38:39]
	s_and_saveexec_b64 s[38:39], s[24:25]
	s_cbranch_execz .LBB208_58
.LBB208_74:                             ;   in Loop: Header=BB208_45 Depth=1
	ds_read_b32 v11, v6 offset:49200
	s_waitcnt lgkmcnt(0)
	v_add_u32_e32 v10, v11, v10
	s_or_b64 exec, exec, s[38:39]
	s_and_saveexec_b64 s[38:39], s[26:27]
	s_cbranch_execz .LBB208_59
.LBB208_75:                             ;   in Loop: Header=BB208_45 Depth=1
	ds_read_b32 v11, v6 offset:49204
	s_waitcnt lgkmcnt(0)
	v_add_u32_e32 v10, v11, v10
	s_or_b64 exec, exec, s[38:39]
	s_and_saveexec_b64 s[38:39], s[28:29]
	s_cbranch_execz .LBB208_60
.LBB208_76:                             ;   in Loop: Header=BB208_45 Depth=1
	ds_read_b32 v11, v6 offset:49208
	s_waitcnt lgkmcnt(0)
	v_add_u32_e32 v10, v11, v10
	s_or_b64 exec, exec, s[38:39]
	s_and_saveexec_b64 s[38:39], s[30:31]
	s_cbranch_execz .LBB208_61
.LBB208_77:                             ;   in Loop: Header=BB208_45 Depth=1
	v_add3_u32 v11, v8, -1, v10
	v_lshl_add_u32 v12, v11, 2, 0
	v_lshl_add_u32 v11, v11, 3, 0
	ds_write_b32 v12, v9
	ds_write_b64 v11, v[4:5] offset:16384
	s_or_b64 exec, exec, s[38:39]
	s_and_saveexec_b64 s[30:31], vcc
	s_cbranch_execz .LBB208_44
.LBB208_78:                             ;   in Loop: Header=BB208_45 Depth=1
	ds_write_b32 v6, v10 offset:49212
	s_branch .LBB208_44
.LBB208_79:
	s_or_b64 exec, exec, s[36:37]
	s_ashr_i32 s35, s34, 31
	s_lshl_b64 s[0:1], s[34:35], 3
	s_add_u32 s0, s42, s0
	s_addc_u32 s1, s43, s1
	s_load_dwordx4 s[0:3], s[0:1], 0x0
	s_waitcnt lgkmcnt(0)
	s_sub_i32 s8, s2, s0
	v_cmp_gt_i32_e32 vcc, s8, v0
	s_and_saveexec_b64 s[4:5], vcc
	s_cbranch_execz .LBB208_89
; %bb.80:
	s_sub_u32 s4, s0, s46
	s_subb_u32 s5, s1, 0
	s_and_b32 s9, s8, 7
	s_sub_i32 s0, s0, s2
	s_cmp_lt_u32 s0, -7
	s_cselect_b64 s[0:1], -1, 0
	s_and_b32 s10, s8, -8
	s_cmp_lg_u32 s9, 0
	v_cndmask_b32_e64 v1, 0, 1, s[0:1]
	s_cselect_b64 s[2:3], -1, 0
	v_cmp_ne_u32_e64 s[0:1], 1, v1
	v_cndmask_b32_e64 v1, 0, 1, s[2:3]
	s_mov_b64 s[6:7], 0
	v_cmp_ne_u32_e64 s[2:3], 1, v1
	s_branch .LBB208_82
.LBB208_81:                             ;   in Loop: Header=BB208_82 Depth=1
	v_lshlrev_b64 v[6:7], 2, v[4:5]
	v_mov_b32_e32 v8, s49
	v_add_co_u32_e32 v6, vcc, s48, v6
	s_waitcnt lgkmcnt(1)
	v_add_u32_e32 v1, s46, v1
	v_addc_co_u32_e32 v7, vcc, v8, v7, vcc
	v_lshlrev_b64 v[4:5], 3, v[4:5]
	global_store_dword v[6:7], v1, off
	v_mov_b32_e32 v1, s51
	v_add_co_u32_e32 v4, vcc, s50, v4
	v_addc_co_u32_e32 v5, vcc, v1, v5, vcc
	v_add_u32_e32 v0, 0x400, v0
	v_cmp_le_i32_e32 vcc, s8, v0
	s_or_b64 s[6:7], vcc, s[6:7]
	s_waitcnt lgkmcnt(0)
	global_store_dwordx2 v[4:5], v[2:3], off
	s_andn2_b64 exec, exec, s[6:7]
	s_cbranch_execz .LBB208_89
.LBB208_82:                             ; =>This Loop Header: Depth=1
                                        ;     Child Loop BB208_84 Depth 2
                                        ;     Child Loop BB208_88 Depth 2
	v_lshlrev_b32_e32 v1, 2, v0
	v_add_u32_e32 v2, 0, v1
	v_add_u32_e32 v3, v2, v1
	ds_read_b32 v1, v2
	ds_read_b64 v[2:3], v3 offset:16384
	s_and_b64 vcc, exec, s[0:1]
	v_pk_mov_b32 v[4:5], s[4:5], s[4:5] op_sel:[0,1]
	s_mov_b32 s11, 0
	s_cbranch_vccnz .LBB208_86
; %bb.83:                               ;   in Loop: Header=BB208_82 Depth=1
	s_mov_b32 s12, 0
	v_pk_mov_b32 v[4:5], s[4:5], s[4:5] op_sel:[0,1]
.LBB208_84:                             ;   Parent Loop BB208_82 Depth=1
                                        ; =>  This Inner Loop Header: Depth=2
	v_mov_b32_e32 v12, s12
	ds_read2_b32 v[6:7], v12 offset1:1
	ds_read2_b32 v[8:9], v12 offset0:2 offset1:3
	ds_read2_b32 v[10:11], v12 offset0:4 offset1:5
	ds_read2_b32 v[12:13], v12 offset0:6 offset1:7
	s_add_i32 s11, s11, 8
	s_waitcnt lgkmcnt(3)
	v_cmp_gt_i32_e32 vcc, v1, v6
	v_cndmask_b32_e64 v6, 0, 1, vcc
	v_cmp_gt_i32_e32 vcc, v1, v7
	v_cndmask_b32_e64 v7, 0, 1, vcc
	s_waitcnt lgkmcnt(2)
	v_cmp_gt_i32_e32 vcc, v1, v8
	v_cndmask_b32_e64 v8, 0, 1, vcc
	v_cmp_gt_i32_e32 vcc, v1, v9
	v_cndmask_b32_e64 v9, 0, 1, vcc
	;; [unrolled: 5-line block ×4, first 2 shown]
	v_add_co_u32_e32 v4, vcc, v4, v6
	v_addc_co_u32_e32 v5, vcc, 0, v5, vcc
	v_add_co_u32_e32 v4, vcc, v4, v7
	v_addc_co_u32_e32 v5, vcc, 0, v5, vcc
	;; [unrolled: 2-line block ×7, first 2 shown]
	s_add_i32 s12, s12, 32
	v_add_co_u32_e32 v4, vcc, v4, v13
	s_cmp_eq_u32 s10, s11
	v_addc_co_u32_e32 v5, vcc, 0, v5, vcc
	s_cbranch_scc0 .LBB208_84
; %bb.85:                               ;   in Loop: Header=BB208_82 Depth=1
	s_mov_b32 s11, s10
.LBB208_86:                             ;   in Loop: Header=BB208_82 Depth=1
	s_and_b64 vcc, exec, s[2:3]
	s_cbranch_vccnz .LBB208_81
; %bb.87:                               ;   in Loop: Header=BB208_82 Depth=1
	s_lshl_b32 s11, s11, 2
	s_add_i32 s11, s11, 0
	s_mov_b32 s12, s9
.LBB208_88:                             ;   Parent Loop BB208_82 Depth=1
                                        ; =>  This Inner Loop Header: Depth=2
	v_mov_b32_e32 v6, s11
	ds_read_b32 v6, v6
	s_add_i32 s11, s11, 4
	s_add_i32 s12, s12, -1
	s_cmp_lg_u32 s12, 0
	s_waitcnt lgkmcnt(0)
	v_cmp_gt_i32_e32 vcc, v1, v6
	v_cndmask_b32_e64 v6, 0, 1, vcc
	v_add_co_u32_e32 v4, vcc, v4, v6
	v_addc_co_u32_e32 v5, vcc, 0, v5, vcc
	s_cbranch_scc1 .LBB208_88
	s_branch .LBB208_81
.LBB208_89:
	s_endpgm
	.section	.rodata,"a",@progbits
	.p2align	6, 0x0
	.amdhsa_kernel _ZN9rocsparseL26csrgemm_fill_block_per_rowILj1024ELj64ELj4096ELj137ELj64ElidEEvT5_PKS1_S3_NS_24const_host_device_scalarIT6_EEPKT4_S3_PKS5_S9_S3_SB_S6_S9_S3_SB_S9_PS1_PS5_21rocsparse_index_base_SE_SE_SE_bbb
		.amdhsa_group_segment_fixed_size 0
		.amdhsa_private_segment_fixed_size 0
		.amdhsa_kernarg_size 156
		.amdhsa_user_sgpr_count 6
		.amdhsa_user_sgpr_private_segment_buffer 1
		.amdhsa_user_sgpr_dispatch_ptr 0
		.amdhsa_user_sgpr_queue_ptr 0
		.amdhsa_user_sgpr_kernarg_segment_ptr 1
		.amdhsa_user_sgpr_dispatch_id 0
		.amdhsa_user_sgpr_flat_scratch_init 0
		.amdhsa_user_sgpr_kernarg_preload_length 0
		.amdhsa_user_sgpr_kernarg_preload_offset 0
		.amdhsa_user_sgpr_private_segment_size 0
		.amdhsa_uses_dynamic_stack 0
		.amdhsa_system_sgpr_private_segment_wavefront_offset 0
		.amdhsa_system_sgpr_workgroup_id_x 1
		.amdhsa_system_sgpr_workgroup_id_y 0
		.amdhsa_system_sgpr_workgroup_id_z 0
		.amdhsa_system_sgpr_workgroup_info 0
		.amdhsa_system_vgpr_workitem_id 0
		.amdhsa_next_free_vgpr 28
		.amdhsa_next_free_sgpr 54
		.amdhsa_accum_offset 28
		.amdhsa_reserve_vcc 1
		.amdhsa_reserve_flat_scratch 0
		.amdhsa_float_round_mode_32 0
		.amdhsa_float_round_mode_16_64 0
		.amdhsa_float_denorm_mode_32 3
		.amdhsa_float_denorm_mode_16_64 3
		.amdhsa_dx10_clamp 1
		.amdhsa_ieee_mode 1
		.amdhsa_fp16_overflow 0
		.amdhsa_tg_split 0
		.amdhsa_exception_fp_ieee_invalid_op 0
		.amdhsa_exception_fp_denorm_src 0
		.amdhsa_exception_fp_ieee_div_zero 0
		.amdhsa_exception_fp_ieee_overflow 0
		.amdhsa_exception_fp_ieee_underflow 0
		.amdhsa_exception_fp_ieee_inexact 0
		.amdhsa_exception_int_div_zero 0
	.end_amdhsa_kernel
	.section	.text._ZN9rocsparseL26csrgemm_fill_block_per_rowILj1024ELj64ELj4096ELj137ELj64ElidEEvT5_PKS1_S3_NS_24const_host_device_scalarIT6_EEPKT4_S3_PKS5_S9_S3_SB_S6_S9_S3_SB_S9_PS1_PS5_21rocsparse_index_base_SE_SE_SE_bbb,"axG",@progbits,_ZN9rocsparseL26csrgemm_fill_block_per_rowILj1024ELj64ELj4096ELj137ELj64ElidEEvT5_PKS1_S3_NS_24const_host_device_scalarIT6_EEPKT4_S3_PKS5_S9_S3_SB_S6_S9_S3_SB_S9_PS1_PS5_21rocsparse_index_base_SE_SE_SE_bbb,comdat
.Lfunc_end208:
	.size	_ZN9rocsparseL26csrgemm_fill_block_per_rowILj1024ELj64ELj4096ELj137ELj64ElidEEvT5_PKS1_S3_NS_24const_host_device_scalarIT6_EEPKT4_S3_PKS5_S9_S3_SB_S6_S9_S3_SB_S9_PS1_PS5_21rocsparse_index_base_SE_SE_SE_bbb, .Lfunc_end208-_ZN9rocsparseL26csrgemm_fill_block_per_rowILj1024ELj64ELj4096ELj137ELj64ElidEEvT5_PKS1_S3_NS_24const_host_device_scalarIT6_EEPKT4_S3_PKS5_S9_S3_SB_S6_S9_S3_SB_S9_PS1_PS5_21rocsparse_index_base_SE_SE_SE_bbb
                                        ; -- End function
	.section	.AMDGPU.csdata,"",@progbits
; Kernel info:
; codeLenInByte = 3152
; NumSgprs: 58
; NumVgprs: 28
; NumAgprs: 0
; TotalNumVgprs: 28
; ScratchSize: 0
; MemoryBound: 0
; FloatMode: 240
; IeeeMode: 1
; LDSByteSize: 0 bytes/workgroup (compile time only)
; SGPRBlocks: 7
; VGPRBlocks: 3
; NumSGPRsForWavesPerEU: 58
; NumVGPRsForWavesPerEU: 28
; AccumOffset: 28
; Occupancy: 8
; WaveLimiterHint : 1
; COMPUTE_PGM_RSRC2:SCRATCH_EN: 0
; COMPUTE_PGM_RSRC2:USER_SGPR: 6
; COMPUTE_PGM_RSRC2:TRAP_HANDLER: 0
; COMPUTE_PGM_RSRC2:TGID_X_EN: 1
; COMPUTE_PGM_RSRC2:TGID_Y_EN: 0
; COMPUTE_PGM_RSRC2:TGID_Z_EN: 0
; COMPUTE_PGM_RSRC2:TIDIG_COMP_CNT: 0
; COMPUTE_PGM_RSRC3_GFX90A:ACCUM_OFFSET: 6
; COMPUTE_PGM_RSRC3_GFX90A:TG_SPLIT: 0
	.section	.text._ZN9rocsparseL26csrgemm_fill_block_per_rowILj1024ELj64ELj8192ELj137ELj32ElidEEvT5_PKS1_S3_NS_24const_host_device_scalarIT6_EEPKT4_S3_PKS5_S9_S3_SB_S6_S9_S3_SB_S9_PS1_PS5_21rocsparse_index_base_SE_SE_SE_bbb,"axG",@progbits,_ZN9rocsparseL26csrgemm_fill_block_per_rowILj1024ELj64ELj8192ELj137ELj32ElidEEvT5_PKS1_S3_NS_24const_host_device_scalarIT6_EEPKT4_S3_PKS5_S9_S3_SB_S6_S9_S3_SB_S9_PS1_PS5_21rocsparse_index_base_SE_SE_SE_bbb,comdat
	.globl	_ZN9rocsparseL26csrgemm_fill_block_per_rowILj1024ELj64ELj8192ELj137ELj32ElidEEvT5_PKS1_S3_NS_24const_host_device_scalarIT6_EEPKT4_S3_PKS5_S9_S3_SB_S6_S9_S3_SB_S9_PS1_PS5_21rocsparse_index_base_SE_SE_SE_bbb ; -- Begin function _ZN9rocsparseL26csrgemm_fill_block_per_rowILj1024ELj64ELj8192ELj137ELj32ElidEEvT5_PKS1_S3_NS_24const_host_device_scalarIT6_EEPKT4_S3_PKS5_S9_S3_SB_S6_S9_S3_SB_S9_PS1_PS5_21rocsparse_index_base_SE_SE_SE_bbb
	.p2align	8
	.type	_ZN9rocsparseL26csrgemm_fill_block_per_rowILj1024ELj64ELj8192ELj137ELj32ElidEEvT5_PKS1_S3_NS_24const_host_device_scalarIT6_EEPKT4_S3_PKS5_S9_S3_SB_S6_S9_S3_SB_S9_PS1_PS5_21rocsparse_index_base_SE_SE_SE_bbb,@function
_ZN9rocsparseL26csrgemm_fill_block_per_rowILj1024ELj64ELj8192ELj137ELj32ElidEEvT5_PKS1_S3_NS_24const_host_device_scalarIT6_EEPKT4_S3_PKS5_S9_S3_SB_S6_S9_S3_SB_S9_PS1_PS5_21rocsparse_index_base_SE_SE_SE_bbb: ; @_ZN9rocsparseL26csrgemm_fill_block_per_rowILj1024ELj64ELj8192ELj137ELj32ElidEEvT5_PKS1_S3_NS_24const_host_device_scalarIT6_EEPKT4_S3_PKS5_S9_S3_SB_S6_S9_S3_SB_S9_PS1_PS5_21rocsparse_index_base_SE_SE_SE_bbb
; %bb.0:
	s_load_dword s7, s[4:5], 0x98
	s_load_dwordx4 s[0:3], s[4:5], 0x8
	s_load_dwordx2 s[14:15], s[4:5], 0x18
	s_load_dwordx4 s[64:67], s[4:5], 0x88
	s_load_dwordx2 s[10:11], s[4:5], 0x50
	s_waitcnt lgkmcnt(0)
	s_and_b32 s8, 1, s7
	s_bitcmp1_b32 s7, 16
	s_cselect_b64 s[12:13], -1, 0
	s_cmp_eq_u32 s8, 1
	s_cselect_b64 s[8:9], -1, 0
	s_and_b64 s[16:17], s[8:9], exec
	s_cselect_b32 s17, s15, 0
	s_cselect_b32 s16, s14, 0
	s_xor_b64 s[18:19], s[8:9], -1
	s_or_b64 s[18:19], s[18:19], s[12:13]
	s_and_b64 vcc, exec, s[18:19]
	v_pk_mov_b32 v[4:5], s[16:17], s[16:17] op_sel:[0,1]
	s_cbranch_vccnz .LBB209_2
; %bb.1:
	v_pk_mov_b32 v[2:3], s[14:15], s[14:15] op_sel:[0,1]
	flat_load_dwordx2 v[4:5], v[2:3]
.LBB209_2:
	s_bitcmp1_b32 s7, 8
	s_cselect_b64 s[16:17], -1, 0
	s_and_b64 s[14:15], s[16:17], exec
	s_cselect_b32 s15, s11, 0
	s_cselect_b32 s14, s10, 0
	s_xor_b64 s[18:19], s[16:17], -1
	s_or_b64 s[12:13], s[18:19], s[12:13]
	s_and_b64 vcc, exec, s[12:13]
	v_pk_mov_b32 v[2:3], s[14:15], s[14:15] op_sel:[0,1]
	s_cbranch_vccnz .LBB209_4
; %bb.3:
	v_pk_mov_b32 v[2:3], s[10:11], s[10:11] op_sel:[0,1]
	flat_load_dwordx2 v[2:3], v[2:3]
.LBB209_4:
	s_load_dword s33, s[4:5], 0x0
	v_lshlrev_b32_e32 v6, 2, v0
	s_mov_b32 s10, 0
	v_add_u32_e32 v1, 0, v6
	s_mov_b32 s11, s10
	v_add_u32_e32 v8, v1, v6
	v_pk_mov_b32 v[6:7], s[10:11], s[10:11] op_sel:[0,1]
	s_waitcnt lgkmcnt(0)
	v_mov_b32_e32 v9, s33
	ds_write_b64 v8, v[6:7] offset:32768
	v_mov_b32_e32 v8, s33
	s_add_i32 s7, 0, 0x8000
	ds_write2st64_b32 v1, v9, v8 offset1:16
	v_lshl_add_u32 v8, v0, 3, s7
	v_mov_b32_e32 v10, s33
	ds_write2st64_b64 v8, v[6:7], v[6:7] offset0:16 offset1:32
	ds_write2st64_b32 v1, v9, v10 offset0:32 offset1:48
	ds_write2st64_b64 v8, v[6:7], v[6:7] offset0:48 offset1:64
	ds_write2st64_b32 v1, v9, v10 offset0:64 offset1:80
	;; [unrolled: 2-line block ×3, first 2 shown]
	ds_write_b64 v8, v[6:7] offset:57344
	s_waitcnt lgkmcnt(0)
	s_barrier
	s_load_dword s0, s[0:1], 0x0
	s_mov_b32 s1, s10
	s_waitcnt lgkmcnt(0)
	s_add_i32 s0, s0, s6
	s_lshl_b64 s[0:1], s[0:1], 2
	s_add_u32 s0, s2, s0
	s_addc_u32 s1, s3, s1
	s_load_dword s42, s[0:1], 0x0
	s_andn2_b64 vcc, exec, s[8:9]
	s_cbranch_vccnz .LBB209_24
; %bb.5:
	s_load_dwordx2 s[0:1], s[4:5], 0x20
	s_waitcnt lgkmcnt(0)
	s_ashr_i32 s43, s42, 31
	s_lshl_b64 s[2:3], s[42:43], 3
	v_lshrrev_b32_e32 v6, 6, v0
	v_subrev_co_u32_e32 v6, vcc, s64, v6
	s_add_u32 s0, s0, s2
	s_addc_u32 s1, s1, s3
	s_load_dwordx4 s[8:11], s[0:1], 0x0
	v_subb_co_u32_e64 v7, s[0:1], 0, 0, vcc
	s_waitcnt lgkmcnt(0)
	s_sub_u32 s0, s10, s64
	v_mov_b32_e32 v8, s9
	v_add_co_u32_e32 v6, vcc, s8, v6
	s_subb_u32 s1, s11, 0
	v_addc_co_u32_e32 v7, vcc, v8, v7, vcc
	v_cmp_gt_i64_e32 vcc, s[0:1], v[6:7]
	s_and_saveexec_b64 s[2:3], vcc
	s_cbranch_execz .LBB209_23
; %bb.6:
	s_load_dwordx2 s[6:7], s[4:5], 0x48
	s_load_dwordx8 s[8:15], s[4:5], 0x28
	v_and_b32_e32 v8, 63, v0
	v_subrev_co_u32_e32 v16, vcc, s65, v8
	s_mov_b32 s20, 0
	v_subb_co_u32_e64 v17, s[18:19], 0, 0, vcc
	s_mov_b32 s38, s65
	s_mov_b64 s[18:19], 0
	s_waitcnt lgkmcnt(0)
	v_mov_b32_e32 v18, s9
	v_mov_b32_e32 v19, s13
	;; [unrolled: 1-line block ×3, first 2 shown]
	s_movk_i32 s9, 0x89
	s_branch .LBB209_8
.LBB209_7:                              ;   in Loop: Header=BB209_8 Depth=1
	s_or_b64 exec, exec, s[20:21]
	v_add_co_u32_e32 v6, vcc, 16, v6
	v_addc_co_u32_e32 v7, vcc, 0, v7, vcc
	v_cmp_le_i64_e32 vcc, s[0:1], v[6:7]
	s_or_b64 s[18:19], vcc, s[18:19]
	s_andn2_b64 exec, exec, s[18:19]
	s_cbranch_execz .LBB209_23
.LBB209_8:                              ; =>This Loop Header: Depth=1
                                        ;     Child Loop BB209_11 Depth 2
                                        ;       Child Loop BB209_13 Depth 3
	v_lshlrev_b64 v[8:9], 2, v[6:7]
	v_add_co_u32_e32 v8, vcc, s8, v8
	v_addc_co_u32_e32 v9, vcc, v18, v9, vcc
	global_load_dword v8, v[8:9], off
	s_waitcnt vmcnt(0)
	v_subrev_u32_e32 v8, s64, v8
	v_ashrrev_i32_e32 v9, 31, v8
	v_lshlrev_b64 v[8:9], 3, v[8:9]
	v_add_co_u32_e32 v8, vcc, s12, v8
	v_addc_co_u32_e32 v9, vcc, v19, v9, vcc
	global_load_dwordx4 v[10:13], v[8:9], off
	s_waitcnt vmcnt(0)
	v_subrev_co_u32_e32 v8, vcc, s38, v12
	v_subb_co_u32_e32 v9, vcc, v13, v20, vcc
	v_add_co_u32_e32 v10, vcc, v10, v16
	v_addc_co_u32_e32 v11, vcc, v11, v17, vcc
	v_cmp_lt_i64_e32 vcc, v[10:11], v[8:9]
	s_and_saveexec_b64 s[20:21], vcc
	s_cbranch_execz .LBB209_7
; %bb.9:                                ;   in Loop: Header=BB209_8 Depth=1
	v_lshlrev_b64 v[12:13], 3, v[6:7]
	v_mov_b32_e32 v14, s11
	v_add_co_u32_e32 v12, vcc, s10, v12
	v_addc_co_u32_e32 v13, vcc, v14, v13, vcc
	global_load_dwordx2 v[12:13], v[12:13], off
	s_mov_b64 s[22:23], 0
	s_waitcnt vmcnt(0)
	v_mul_f64 v[12:13], v[4:5], v[12:13]
	s_branch .LBB209_11
.LBB209_10:                             ;   in Loop: Header=BB209_11 Depth=2
	s_or_b64 exec, exec, s[24:25]
	v_add_co_u32_e32 v10, vcc, 64, v10
	v_addc_co_u32_e32 v11, vcc, 0, v11, vcc
	v_cmp_ge_i64_e32 vcc, v[10:11], v[8:9]
	s_or_b64 s[22:23], vcc, s[22:23]
	s_andn2_b64 exec, exec, s[22:23]
	s_cbranch_execz .LBB209_7
.LBB209_11:                             ;   Parent Loop BB209_8 Depth=1
                                        ; =>  This Loop Header: Depth=2
                                        ;       Child Loop BB209_13 Depth 3
	v_lshlrev_b64 v[14:15], 2, v[10:11]
	v_mov_b32_e32 v21, s15
	v_add_co_u32_e32 v14, vcc, s14, v14
	v_addc_co_u32_e32 v15, vcc, v21, v15, vcc
	global_load_dword v21, v[14:15], off
	v_lshlrev_b64 v[14:15], 3, v[10:11]
	v_mov_b32_e32 v22, s7
	v_add_co_u32_e32 v14, vcc, s6, v14
	v_addc_co_u32_e32 v15, vcc, v22, v15, vcc
	global_load_dwordx2 v[14:15], v[14:15], off
	s_mov_b64 s[24:25], 0
	s_waitcnt vmcnt(1)
	v_subrev_u32_e32 v21, s65, v21
	v_mul_lo_u32 v22, v21, s9
	v_and_b32_e32 v22, 0x1fff, v22
	s_waitcnt vmcnt(0)
	v_mul_f64 v[14:15], v[12:13], v[14:15]
	s_branch .LBB209_13
.LBB209_12:                             ;   in Loop: Header=BB209_13 Depth=3
	s_or_b64 exec, exec, s[26:27]
	s_xor_b64 s[26:27], s[28:29], -1
	s_and_b64 s[26:27], exec, s[26:27]
	s_or_b64 s[24:25], s[26:27], s[24:25]
	s_andn2_b64 exec, exec, s[24:25]
	s_cbranch_execz .LBB209_10
.LBB209_13:                             ;   Parent Loop BB209_8 Depth=1
                                        ;     Parent Loop BB209_11 Depth=2
                                        ; =>    This Inner Loop Header: Depth=3
	v_lshl_add_u32 v23, v22, 2, 0
	ds_read_b32 v24, v23
                                        ; implicit-def: $sgpr28_sgpr29
	s_waitcnt lgkmcnt(0)
	v_cmp_ne_u32_e32 vcc, v24, v21
	s_and_saveexec_b64 s[26:27], vcc
	s_xor_b64 s[26:27], exec, s[26:27]
	s_cbranch_execz .LBB209_21
; %bb.14:                               ;   in Loop: Header=BB209_13 Depth=3
	v_cmp_ne_u32_e32 vcc, s33, v24
                                        ; implicit-def: $sgpr28_sgpr29
	s_and_saveexec_b64 s[30:31], vcc
	s_xor_b64 s[30:31], exec, s[30:31]
; %bb.15:                               ;   in Loop: Header=BB209_13 Depth=3
	v_add_u32_e32 v22, 1, v22
	v_and_b32_e32 v22, 0x1fff, v22
	s_mov_b64 s[28:29], -1
                                        ; implicit-def: $vgpr23
; %bb.16:                               ;   in Loop: Header=BB209_13 Depth=3
	s_andn2_saveexec_b64 s[30:31], s[30:31]
	s_cbranch_execz .LBB209_20
; %bb.17:                               ;   in Loop: Header=BB209_13 Depth=3
	v_mov_b32_e32 v24, s33
	ds_cmpst_rtn_b32 v24, v23, v24, v21
	s_mov_b64 s[34:35], -1
	s_waitcnt lgkmcnt(0)
	v_cmp_eq_u32_e32 vcc, s33, v24
	s_and_saveexec_b64 s[36:37], vcc
	s_cbranch_execz .LBB209_19
; %bb.18:                               ;   in Loop: Header=BB209_13 Depth=3
	v_lshl_add_u32 v23, v22, 2, v23
	ds_add_f64 v23, v[14:15] offset:32768
	s_xor_b64 s[34:35], exec, -1
.LBB209_19:                             ;   in Loop: Header=BB209_13 Depth=3
	s_or_b64 exec, exec, s[36:37]
	s_andn2_b64 s[28:29], s[28:29], exec
	s_and_b64 s[34:35], s[34:35], exec
	s_or_b64 s[28:29], s[28:29], s[34:35]
.LBB209_20:                             ;   in Loop: Header=BB209_13 Depth=3
	s_or_b64 exec, exec, s[30:31]
	s_and_b64 s[28:29], s[28:29], exec
                                        ; implicit-def: $vgpr23
.LBB209_21:                             ;   in Loop: Header=BB209_13 Depth=3
	s_andn2_saveexec_b64 s[26:27], s[26:27]
	s_cbranch_execz .LBB209_12
; %bb.22:                               ;   in Loop: Header=BB209_13 Depth=3
	v_lshl_add_u32 v23, v22, 2, v23
	ds_add_f64 v23, v[14:15] offset:32768
	s_andn2_b64 s[28:29], s[28:29], exec
	s_branch .LBB209_12
.LBB209_23:
	s_or_b64 exec, exec, s[2:3]
.LBB209_24:
	s_load_dwordx2 s[24:25], s[4:5], 0x80
	s_load_dwordx4 s[0:3], s[4:5], 0x70
                                        ; implicit-def: $vgpr25 : SGPR spill to VGPR lane
	s_andn2_b64 vcc, exec, s[16:17]
	s_waitcnt lgkmcnt(0)
	v_writelane_b32 v25, s0, 0
	v_writelane_b32 v25, s1, 1
	;; [unrolled: 1-line block ×4, first 2 shown]
	s_cbranch_vccnz .LBB209_41
; %bb.25:
	s_load_dwordx2 s[0:1], s[4:5], 0x58
	s_ashr_i32 s43, s42, 31
	s_lshl_b64 s[2:3], s[42:43], 3
	s_waitcnt vmcnt(0)
	v_subrev_co_u32_e32 v4, vcc, s67, v0
	s_waitcnt lgkmcnt(0)
	s_add_u32 s0, s0, s2
	s_addc_u32 s1, s1, s3
	s_load_dwordx4 s[0:3], s[0:1], 0x0
	v_subb_co_u32_e64 v5, s[6:7], 0, 0, vcc
	s_waitcnt lgkmcnt(0)
	s_sub_u32 s6, s2, s67
	v_mov_b32_e32 v6, s1
	v_add_co_u32_e32 v4, vcc, s0, v4
	s_subb_u32 s7, s3, 0
	v_addc_co_u32_e32 v5, vcc, v6, v5, vcc
	v_cmp_gt_i64_e32 vcc, s[6:7], v[4:5]
	s_and_saveexec_b64 s[8:9], vcc
	s_cbranch_execz .LBB209_40
; %bb.26:
	s_load_dwordx4 s[0:3], s[4:5], 0x60
	s_mov_b64 s[4:5], 0
	s_waitcnt lgkmcnt(0)
	v_mov_b32_e32 v8, s1
	v_mov_b32_e32 v9, s3
	s_movk_i32 s1, 0x89
	s_branch .LBB209_28
.LBB209_27:                             ;   in Loop: Header=BB209_28 Depth=1
	s_or_b64 exec, exec, s[10:11]
	v_add_co_u32_e32 v4, vcc, 0x400, v4
	v_addc_co_u32_e32 v5, vcc, 0, v5, vcc
	v_cmp_le_i64_e32 vcc, s[6:7], v[4:5]
	s_or_b64 s[4:5], vcc, s[4:5]
	s_andn2_b64 exec, exec, s[4:5]
	s_cbranch_execz .LBB209_40
.LBB209_28:                             ; =>This Loop Header: Depth=1
                                        ;     Child Loop BB209_30 Depth 2
	v_lshlrev_b64 v[6:7], 2, v[4:5]
	v_add_co_u32_e32 v6, vcc, s0, v6
	v_addc_co_u32_e32 v7, vcc, v8, v7, vcc
	global_load_dword v10, v[6:7], off
	v_lshlrev_b64 v[6:7], 3, v[4:5]
	v_add_co_u32_e32 v6, vcc, s2, v6
	v_addc_co_u32_e32 v7, vcc, v9, v7, vcc
	global_load_dwordx2 v[6:7], v[6:7], off
	s_mov_b64 s[10:11], 0
	s_waitcnt vmcnt(1)
	v_subrev_u32_e32 v10, s67, v10
	v_mul_lo_u32 v11, v10, s1
	v_and_b32_e32 v11, 0x1fff, v11
	s_waitcnt vmcnt(0)
	v_mul_f64 v[6:7], v[2:3], v[6:7]
	s_branch .LBB209_30
.LBB209_29:                             ;   in Loop: Header=BB209_30 Depth=2
	s_or_b64 exec, exec, s[12:13]
	s_xor_b64 s[12:13], s[14:15], -1
	s_and_b64 s[12:13], exec, s[12:13]
	s_or_b64 s[10:11], s[12:13], s[10:11]
	s_andn2_b64 exec, exec, s[10:11]
	s_cbranch_execz .LBB209_27
.LBB209_30:                             ;   Parent Loop BB209_28 Depth=1
                                        ; =>  This Inner Loop Header: Depth=2
	v_lshl_add_u32 v12, v11, 2, 0
	ds_read_b32 v13, v12
                                        ; implicit-def: $sgpr14_sgpr15
	s_waitcnt lgkmcnt(0)
	v_cmp_ne_u32_e32 vcc, v13, v10
	s_and_saveexec_b64 s[12:13], vcc
	s_xor_b64 s[12:13], exec, s[12:13]
	s_cbranch_execz .LBB209_38
; %bb.31:                               ;   in Loop: Header=BB209_30 Depth=2
	v_cmp_ne_u32_e32 vcc, s33, v13
                                        ; implicit-def: $sgpr14_sgpr15
	s_and_saveexec_b64 s[16:17], vcc
	s_xor_b64 s[16:17], exec, s[16:17]
; %bb.32:                               ;   in Loop: Header=BB209_30 Depth=2
	v_add_u32_e32 v11, 1, v11
	v_and_b32_e32 v11, 0x1fff, v11
	s_mov_b64 s[14:15], -1
                                        ; implicit-def: $vgpr12
; %bb.33:                               ;   in Loop: Header=BB209_30 Depth=2
	s_andn2_saveexec_b64 s[16:17], s[16:17]
	s_cbranch_execz .LBB209_37
; %bb.34:                               ;   in Loop: Header=BB209_30 Depth=2
	v_mov_b32_e32 v13, s33
	ds_cmpst_rtn_b32 v13, v12, v13, v10
	s_mov_b64 s[18:19], -1
	s_waitcnt lgkmcnt(0)
	v_cmp_eq_u32_e32 vcc, s33, v13
	s_and_saveexec_b64 s[20:21], vcc
	s_cbranch_execz .LBB209_36
; %bb.35:                               ;   in Loop: Header=BB209_30 Depth=2
	v_lshl_add_u32 v12, v11, 2, v12
	ds_add_f64 v12, v[6:7] offset:32768
	s_xor_b64 s[18:19], exec, -1
.LBB209_36:                             ;   in Loop: Header=BB209_30 Depth=2
	s_or_b64 exec, exec, s[20:21]
	s_andn2_b64 s[14:15], s[14:15], exec
	s_and_b64 s[18:19], s[18:19], exec
	s_or_b64 s[14:15], s[14:15], s[18:19]
.LBB209_37:                             ;   in Loop: Header=BB209_30 Depth=2
	s_or_b64 exec, exec, s[16:17]
	s_and_b64 s[14:15], s[14:15], exec
                                        ; implicit-def: $vgpr12
.LBB209_38:                             ;   in Loop: Header=BB209_30 Depth=2
	s_andn2_saveexec_b64 s[12:13], s[12:13]
	s_cbranch_execz .LBB209_29
; %bb.39:                               ;   in Loop: Header=BB209_30 Depth=2
	v_lshl_add_u32 v12, v11, 2, v12
	ds_add_f64 v12, v[6:7] offset:32768
	s_andn2_b64 s[14:15], s[14:15], exec
	s_branch .LBB209_29
.LBB209_40:
	s_or_b64 exec, exec, s[8:9]
.LBB209_41:
	v_writelane_b32 v25, s24, 4
	v_writelane_b32 v25, s25, 5
	;; [unrolled: 1-line block ×4, first 2 shown]
	s_add_i32 s0, 0, 0x18000
	v_writelane_b32 v25, s0, 8
	s_add_i32 s60, 0, 0x18004
	v_writelane_b32 v25, s60, 9
	;; [unrolled: 2-line block ×5, first 2 shown]
	s_add_i32 s60, 0, 0x18014
	s_waitcnt vmcnt(0)
	v_lshrrev_b32_e32 v4, 3, v0
	v_writelane_b32 v25, s60, 13
	s_add_i32 s60, 0, 0x18018
	v_mbcnt_lo_u32_b32 v2, -1, 0
	v_and_b32_e32 v4, 0x7c, v4
	v_writelane_b32 v25, s60, 14
	s_add_i32 s60, 0, 0x1801c
	v_mbcnt_hi_u32_b32 v2, -1, v2
	v_add_u32_e32 v7, s0, v4
	s_movk_i32 s0, 0x3ff
	v_writelane_b32 v25, s60, 15
	s_add_i32 s60, 0, 0x18020
	v_sub_u32_e32 v2, 63, v2
	v_cmp_eq_u32_e32 vcc, s0, v0
	s_movk_i32 s0, 0x5f
	s_movk_i32 s2, 0x7f
	;; [unrolled: 1-line block ×29, first 2 shown]
	v_lshl_add_u32 v4, v0, 3, 0
	v_writelane_b32 v25, s60, 16
	s_add_i32 s60, 0, 0x18024
	v_mov_b32_e32 v6, 0
	v_lshrrev_b64 v[2:3], v2, -1
	v_cmp_lt_u32_e64 s[0:1], s0, v0
	v_cmp_lt_u32_e64 s[2:3], s2, v0
	;; [unrolled: 1-line block ×29, first 2 shown]
	v_add_u32_e32 v8, 0x8000, v4
	v_or_b32_e32 v9, 0xfffffc00, v0
	v_writelane_b32 v25, s60, 17
	s_add_i32 s88, 0, 0x18028
	s_add_i32 s89, 0, 0x1802c
	;; [unrolled: 1-line block ×22, first 2 shown]
	s_movk_i32 s85, 0x1bff
	v_cmp_lt_u32_e64 s[60:61], 31, v0
	v_cmp_lt_u32_e64 s[62:63], 63, v0
	s_mov_b64 s[76:77], 0
	s_waitcnt lgkmcnt(0)
	s_barrier
	s_branch .LBB209_43
.LBB209_42:                             ;   in Loop: Header=BB209_43 Depth=1
	s_or_b64 exec, exec, s[64:65]
	v_mov_b32_e32 v4, s84
	s_waitcnt lgkmcnt(0)
	s_barrier
	ds_read_b32 v4, v4
	v_add_u32_e32 v9, 0x400, v9
	v_cmp_lt_u32_e64 s[64:65], s85, v9
	v_add_u32_e32 v8, 0x2000, v8
	s_or_b64 s[76:77], s[64:65], s[76:77]
	s_waitcnt lgkmcnt(0)
	v_add_u32_e32 v6, v4, v6
	v_add_u32_e32 v1, 0x1000, v1
	s_andn2_b64 exec, exec, s[76:77]
	s_cbranch_execz .LBB209_109
.LBB209_43:                             ; =>This Inner Loop Header: Depth=1
	ds_read_b32 v10, v1
	ds_read_b64 v[4:5], v8
	s_waitcnt lgkmcnt(0)
	s_barrier
	v_cmp_gt_i32_e64 s[64:65], s33, v10
	v_and_b32_e32 v12, s64, v2
	s_bcnt1_i32_b64 s78, s[64:65]
	v_and_b32_e32 v11, s65, v3
	v_bcnt_u32_b32 v12, v12, 0
	v_bcnt_u32_b32 v11, v11, v12
	v_mov_b32_e32 v12, s78
	ds_write_b32 v7, v12
	s_waitcnt lgkmcnt(0)
	s_barrier
	s_and_saveexec_b64 s[78:79], s[60:61]
	s_cbranch_execnz .LBB209_76
; %bb.44:                               ;   in Loop: Header=BB209_43 Depth=1
	s_or_b64 exec, exec, s[78:79]
	s_and_saveexec_b64 s[78:79], s[62:63]
	s_cbranch_execnz .LBB209_77
.LBB209_45:                             ;   in Loop: Header=BB209_43 Depth=1
	s_or_b64 exec, exec, s[78:79]
	s_and_saveexec_b64 s[78:79], s[0:1]
	s_cbranch_execnz .LBB209_78
.LBB209_46:                             ;   in Loop: Header=BB209_43 Depth=1
	s_or_b64 exec, exec, s[78:79]
	s_and_saveexec_b64 s[78:79], s[2:3]
	s_cbranch_execnz .LBB209_79
.LBB209_47:                             ;   in Loop: Header=BB209_43 Depth=1
	s_or_b64 exec, exec, s[78:79]
	s_and_saveexec_b64 s[78:79], s[4:5]
	s_cbranch_execnz .LBB209_80
.LBB209_48:                             ;   in Loop: Header=BB209_43 Depth=1
	s_or_b64 exec, exec, s[78:79]
	s_and_saveexec_b64 s[78:79], s[6:7]
	s_cbranch_execnz .LBB209_81
.LBB209_49:                             ;   in Loop: Header=BB209_43 Depth=1
	s_or_b64 exec, exec, s[78:79]
	s_and_saveexec_b64 s[78:79], s[8:9]
	s_cbranch_execnz .LBB209_82
.LBB209_50:                             ;   in Loop: Header=BB209_43 Depth=1
	s_or_b64 exec, exec, s[78:79]
	s_and_saveexec_b64 s[78:79], s[10:11]
	s_cbranch_execnz .LBB209_83
.LBB209_51:                             ;   in Loop: Header=BB209_43 Depth=1
	s_or_b64 exec, exec, s[78:79]
	s_and_saveexec_b64 s[78:79], s[12:13]
	s_cbranch_execnz .LBB209_84
.LBB209_52:                             ;   in Loop: Header=BB209_43 Depth=1
	s_or_b64 exec, exec, s[78:79]
	s_and_saveexec_b64 s[78:79], s[14:15]
	s_cbranch_execnz .LBB209_85
.LBB209_53:                             ;   in Loop: Header=BB209_43 Depth=1
	s_or_b64 exec, exec, s[78:79]
	s_and_saveexec_b64 s[78:79], s[16:17]
	s_cbranch_execnz .LBB209_86
.LBB209_54:                             ;   in Loop: Header=BB209_43 Depth=1
	s_or_b64 exec, exec, s[78:79]
	s_and_saveexec_b64 s[78:79], s[18:19]
	s_cbranch_execnz .LBB209_87
.LBB209_55:                             ;   in Loop: Header=BB209_43 Depth=1
	s_or_b64 exec, exec, s[78:79]
	s_and_saveexec_b64 s[78:79], s[20:21]
	s_cbranch_execnz .LBB209_88
.LBB209_56:                             ;   in Loop: Header=BB209_43 Depth=1
	s_or_b64 exec, exec, s[78:79]
	s_and_saveexec_b64 s[78:79], s[22:23]
	s_cbranch_execnz .LBB209_89
.LBB209_57:                             ;   in Loop: Header=BB209_43 Depth=1
	s_or_b64 exec, exec, s[78:79]
	s_and_saveexec_b64 s[78:79], s[24:25]
	s_cbranch_execnz .LBB209_90
.LBB209_58:                             ;   in Loop: Header=BB209_43 Depth=1
	s_or_b64 exec, exec, s[78:79]
	s_and_saveexec_b64 s[78:79], s[26:27]
	s_cbranch_execnz .LBB209_91
.LBB209_59:                             ;   in Loop: Header=BB209_43 Depth=1
	s_or_b64 exec, exec, s[78:79]
	s_and_saveexec_b64 s[78:79], s[28:29]
	s_cbranch_execnz .LBB209_92
.LBB209_60:                             ;   in Loop: Header=BB209_43 Depth=1
	s_or_b64 exec, exec, s[78:79]
	s_and_saveexec_b64 s[78:79], s[30:31]
	s_cbranch_execnz .LBB209_93
.LBB209_61:                             ;   in Loop: Header=BB209_43 Depth=1
	s_or_b64 exec, exec, s[78:79]
	s_and_saveexec_b64 s[78:79], s[34:35]
	s_cbranch_execnz .LBB209_94
.LBB209_62:                             ;   in Loop: Header=BB209_43 Depth=1
	s_or_b64 exec, exec, s[78:79]
	s_and_saveexec_b64 s[78:79], s[36:37]
	s_cbranch_execnz .LBB209_95
.LBB209_63:                             ;   in Loop: Header=BB209_43 Depth=1
	s_or_b64 exec, exec, s[78:79]
	s_and_saveexec_b64 s[78:79], s[38:39]
	s_cbranch_execnz .LBB209_96
.LBB209_64:                             ;   in Loop: Header=BB209_43 Depth=1
	s_or_b64 exec, exec, s[78:79]
	s_and_saveexec_b64 s[78:79], s[40:41]
	s_cbranch_execnz .LBB209_97
.LBB209_65:                             ;   in Loop: Header=BB209_43 Depth=1
	s_or_b64 exec, exec, s[78:79]
	s_and_saveexec_b64 s[78:79], s[42:43]
	s_cbranch_execnz .LBB209_98
.LBB209_66:                             ;   in Loop: Header=BB209_43 Depth=1
	s_or_b64 exec, exec, s[78:79]
	s_and_saveexec_b64 s[78:79], s[44:45]
	s_cbranch_execnz .LBB209_99
.LBB209_67:                             ;   in Loop: Header=BB209_43 Depth=1
	s_or_b64 exec, exec, s[78:79]
	s_and_saveexec_b64 s[78:79], s[46:47]
	s_cbranch_execnz .LBB209_100
.LBB209_68:                             ;   in Loop: Header=BB209_43 Depth=1
	s_or_b64 exec, exec, s[78:79]
	s_and_saveexec_b64 s[78:79], s[48:49]
	s_cbranch_execnz .LBB209_101
.LBB209_69:                             ;   in Loop: Header=BB209_43 Depth=1
	s_or_b64 exec, exec, s[78:79]
	s_and_saveexec_b64 s[78:79], s[50:51]
	s_cbranch_execnz .LBB209_102
.LBB209_70:                             ;   in Loop: Header=BB209_43 Depth=1
	s_or_b64 exec, exec, s[78:79]
	s_and_saveexec_b64 s[78:79], s[52:53]
	s_cbranch_execnz .LBB209_103
.LBB209_71:                             ;   in Loop: Header=BB209_43 Depth=1
	s_or_b64 exec, exec, s[78:79]
	s_and_saveexec_b64 s[78:79], s[54:55]
	s_cbranch_execnz .LBB209_104
.LBB209_72:                             ;   in Loop: Header=BB209_43 Depth=1
	s_or_b64 exec, exec, s[78:79]
	s_and_saveexec_b64 s[78:79], s[56:57]
	s_cbranch_execnz .LBB209_105
.LBB209_73:                             ;   in Loop: Header=BB209_43 Depth=1
	s_or_b64 exec, exec, s[78:79]
	s_and_saveexec_b64 s[78:79], s[58:59]
	s_cbranch_execnz .LBB209_106
.LBB209_74:                             ;   in Loop: Header=BB209_43 Depth=1
	s_or_b64 exec, exec, s[78:79]
	s_and_saveexec_b64 s[78:79], s[64:65]
	s_cbranch_execnz .LBB209_107
.LBB209_75:                             ;   in Loop: Header=BB209_43 Depth=1
	s_or_b64 exec, exec, s[78:79]
	s_and_saveexec_b64 s[64:65], vcc
	s_cbranch_execz .LBB209_42
	s_branch .LBB209_108
.LBB209_76:                             ;   in Loop: Header=BB209_43 Depth=1
	v_readlane_b32 s86, v25, 8
	v_mov_b32_e32 v12, s86
	ds_read_b32 v12, v12
	s_waitcnt lgkmcnt(0)
	v_add_u32_e32 v11, v12, v11
	s_or_b64 exec, exec, s[78:79]
	s_and_saveexec_b64 s[78:79], s[62:63]
	s_cbranch_execz .LBB209_45
.LBB209_77:                             ;   in Loop: Header=BB209_43 Depth=1
	v_readlane_b32 s86, v25, 9
	v_mov_b32_e32 v12, s86
	ds_read_b32 v12, v12
	s_waitcnt lgkmcnt(0)
	v_add_u32_e32 v11, v12, v11
	s_or_b64 exec, exec, s[78:79]
	s_and_saveexec_b64 s[78:79], s[0:1]
	s_cbranch_execz .LBB209_46
.LBB209_78:                             ;   in Loop: Header=BB209_43 Depth=1
	v_readlane_b32 s86, v25, 10
	v_mov_b32_e32 v12, s86
	ds_read_b32 v12, v12
	s_waitcnt lgkmcnt(0)
	v_add_u32_e32 v11, v12, v11
	s_or_b64 exec, exec, s[78:79]
	s_and_saveexec_b64 s[78:79], s[2:3]
	s_cbranch_execz .LBB209_47
.LBB209_79:                             ;   in Loop: Header=BB209_43 Depth=1
	v_readlane_b32 s86, v25, 11
	v_mov_b32_e32 v12, s86
	ds_read_b32 v12, v12
	s_waitcnt lgkmcnt(0)
	v_add_u32_e32 v11, v12, v11
	s_or_b64 exec, exec, s[78:79]
	s_and_saveexec_b64 s[78:79], s[4:5]
	s_cbranch_execz .LBB209_48
.LBB209_80:                             ;   in Loop: Header=BB209_43 Depth=1
	v_readlane_b32 s86, v25, 12
	v_mov_b32_e32 v12, s86
	ds_read_b32 v12, v12
	s_waitcnt lgkmcnt(0)
	v_add_u32_e32 v11, v12, v11
	s_or_b64 exec, exec, s[78:79]
	s_and_saveexec_b64 s[78:79], s[6:7]
	s_cbranch_execz .LBB209_49
.LBB209_81:                             ;   in Loop: Header=BB209_43 Depth=1
	v_readlane_b32 s86, v25, 13
	v_mov_b32_e32 v12, s86
	ds_read_b32 v12, v12
	s_waitcnt lgkmcnt(0)
	v_add_u32_e32 v11, v12, v11
	s_or_b64 exec, exec, s[78:79]
	s_and_saveexec_b64 s[78:79], s[8:9]
	s_cbranch_execz .LBB209_50
.LBB209_82:                             ;   in Loop: Header=BB209_43 Depth=1
	v_readlane_b32 s86, v25, 14
	v_mov_b32_e32 v12, s86
	ds_read_b32 v12, v12
	s_waitcnt lgkmcnt(0)
	v_add_u32_e32 v11, v12, v11
	s_or_b64 exec, exec, s[78:79]
	s_and_saveexec_b64 s[78:79], s[10:11]
	s_cbranch_execz .LBB209_51
.LBB209_83:                             ;   in Loop: Header=BB209_43 Depth=1
	v_readlane_b32 s86, v25, 15
	v_mov_b32_e32 v12, s86
	ds_read_b32 v12, v12
	s_waitcnt lgkmcnt(0)
	v_add_u32_e32 v11, v12, v11
	s_or_b64 exec, exec, s[78:79]
	s_and_saveexec_b64 s[78:79], s[12:13]
	s_cbranch_execz .LBB209_52
.LBB209_84:                             ;   in Loop: Header=BB209_43 Depth=1
	v_readlane_b32 s86, v25, 16
	v_mov_b32_e32 v12, s86
	ds_read_b32 v12, v12
	s_waitcnt lgkmcnt(0)
	v_add_u32_e32 v11, v12, v11
	s_or_b64 exec, exec, s[78:79]
	s_and_saveexec_b64 s[78:79], s[14:15]
	s_cbranch_execz .LBB209_53
.LBB209_85:                             ;   in Loop: Header=BB209_43 Depth=1
	v_readlane_b32 s86, v25, 17
	v_mov_b32_e32 v12, s86
	ds_read_b32 v12, v12
	s_waitcnt lgkmcnt(0)
	v_add_u32_e32 v11, v12, v11
	s_or_b64 exec, exec, s[78:79]
	s_and_saveexec_b64 s[78:79], s[16:17]
	s_cbranch_execz .LBB209_54
.LBB209_86:                             ;   in Loop: Header=BB209_43 Depth=1
	v_mov_b32_e32 v12, s88
	ds_read_b32 v12, v12
	s_waitcnt lgkmcnt(0)
	v_add_u32_e32 v11, v12, v11
	s_or_b64 exec, exec, s[78:79]
	s_and_saveexec_b64 s[78:79], s[18:19]
	s_cbranch_execz .LBB209_55
.LBB209_87:                             ;   in Loop: Header=BB209_43 Depth=1
	v_mov_b32_e32 v12, s89
	ds_read_b32 v12, v12
	s_waitcnt lgkmcnt(0)
	v_add_u32_e32 v11, v12, v11
	s_or_b64 exec, exec, s[78:79]
	s_and_saveexec_b64 s[78:79], s[20:21]
	s_cbranch_execz .LBB209_56
.LBB209_88:                             ;   in Loop: Header=BB209_43 Depth=1
	v_mov_b32_e32 v12, s90
	ds_read_b32 v12, v12
	s_waitcnt lgkmcnt(0)
	v_add_u32_e32 v11, v12, v11
	s_or_b64 exec, exec, s[78:79]
	s_and_saveexec_b64 s[78:79], s[22:23]
	s_cbranch_execz .LBB209_57
.LBB209_89:                             ;   in Loop: Header=BB209_43 Depth=1
	v_mov_b32_e32 v12, s91
	ds_read_b32 v12, v12
	s_waitcnt lgkmcnt(0)
	v_add_u32_e32 v11, v12, v11
	s_or_b64 exec, exec, s[78:79]
	s_and_saveexec_b64 s[78:79], s[24:25]
	s_cbranch_execz .LBB209_58
.LBB209_90:                             ;   in Loop: Header=BB209_43 Depth=1
	v_mov_b32_e32 v12, s92
	ds_read_b32 v12, v12
	s_waitcnt lgkmcnt(0)
	v_add_u32_e32 v11, v12, v11
	s_or_b64 exec, exec, s[78:79]
	s_and_saveexec_b64 s[78:79], s[26:27]
	s_cbranch_execz .LBB209_59
.LBB209_91:                             ;   in Loop: Header=BB209_43 Depth=1
	v_mov_b32_e32 v12, s93
	ds_read_b32 v12, v12
	s_waitcnt lgkmcnt(0)
	v_add_u32_e32 v11, v12, v11
	s_or_b64 exec, exec, s[78:79]
	s_and_saveexec_b64 s[78:79], s[28:29]
	s_cbranch_execz .LBB209_60
.LBB209_92:                             ;   in Loop: Header=BB209_43 Depth=1
	v_mov_b32_e32 v12, s94
	ds_read_b32 v12, v12
	s_waitcnt lgkmcnt(0)
	v_add_u32_e32 v11, v12, v11
	s_or_b64 exec, exec, s[78:79]
	s_and_saveexec_b64 s[78:79], s[30:31]
	s_cbranch_execz .LBB209_61
.LBB209_93:                             ;   in Loop: Header=BB209_43 Depth=1
	v_mov_b32_e32 v12, s95
	ds_read_b32 v12, v12
	s_waitcnt lgkmcnt(0)
	v_add_u32_e32 v11, v12, v11
	s_or_b64 exec, exec, s[78:79]
	s_and_saveexec_b64 s[78:79], s[34:35]
	s_cbranch_execz .LBB209_62
.LBB209_94:                             ;   in Loop: Header=BB209_43 Depth=1
	v_mov_b32_e32 v12, s72
	ds_read_b32 v12, v12
	s_waitcnt lgkmcnt(0)
	v_add_u32_e32 v11, v12, v11
	s_or_b64 exec, exec, s[78:79]
	s_and_saveexec_b64 s[78:79], s[36:37]
	s_cbranch_execz .LBB209_63
.LBB209_95:                             ;   in Loop: Header=BB209_43 Depth=1
	v_mov_b32_e32 v12, s74
	ds_read_b32 v12, v12
	s_waitcnt lgkmcnt(0)
	v_add_u32_e32 v11, v12, v11
	s_or_b64 exec, exec, s[78:79]
	s_and_saveexec_b64 s[78:79], s[38:39]
	s_cbranch_execz .LBB209_64
.LBB209_96:                             ;   in Loop: Header=BB209_43 Depth=1
	v_mov_b32_e32 v12, s75
	ds_read_b32 v12, v12
	s_waitcnt lgkmcnt(0)
	v_add_u32_e32 v11, v12, v11
	s_or_b64 exec, exec, s[78:79]
	s_and_saveexec_b64 s[78:79], s[40:41]
	s_cbranch_execz .LBB209_65
.LBB209_97:                             ;   in Loop: Header=BB209_43 Depth=1
	v_mov_b32_e32 v12, s68
	ds_read_b32 v12, v12
	s_waitcnt lgkmcnt(0)
	v_add_u32_e32 v11, v12, v11
	s_or_b64 exec, exec, s[78:79]
	s_and_saveexec_b64 s[78:79], s[42:43]
	s_cbranch_execz .LBB209_66
.LBB209_98:                             ;   in Loop: Header=BB209_43 Depth=1
	v_mov_b32_e32 v12, s69
	ds_read_b32 v12, v12
	s_waitcnt lgkmcnt(0)
	v_add_u32_e32 v11, v12, v11
	s_or_b64 exec, exec, s[78:79]
	s_and_saveexec_b64 s[78:79], s[44:45]
	s_cbranch_execz .LBB209_67
.LBB209_99:                             ;   in Loop: Header=BB209_43 Depth=1
	v_mov_b32_e32 v12, s70
	ds_read_b32 v12, v12
	s_waitcnt lgkmcnt(0)
	v_add_u32_e32 v11, v12, v11
	s_or_b64 exec, exec, s[78:79]
	s_and_saveexec_b64 s[78:79], s[46:47]
	s_cbranch_execz .LBB209_68
.LBB209_100:                            ;   in Loop: Header=BB209_43 Depth=1
	v_mov_b32_e32 v12, s71
	ds_read_b32 v12, v12
	s_waitcnt lgkmcnt(0)
	v_add_u32_e32 v11, v12, v11
	s_or_b64 exec, exec, s[78:79]
	s_and_saveexec_b64 s[78:79], s[48:49]
	s_cbranch_execz .LBB209_69
.LBB209_101:                            ;   in Loop: Header=BB209_43 Depth=1
	v_mov_b32_e32 v12, s67
	ds_read_b32 v12, v12
	s_waitcnt lgkmcnt(0)
	v_add_u32_e32 v11, v12, v11
	s_or_b64 exec, exec, s[78:79]
	s_and_saveexec_b64 s[78:79], s[50:51]
	s_cbranch_execz .LBB209_70
.LBB209_102:                            ;   in Loop: Header=BB209_43 Depth=1
	v_mov_b32_e32 v12, s73
	ds_read_b32 v12, v12
	s_waitcnt lgkmcnt(0)
	v_add_u32_e32 v11, v12, v11
	s_or_b64 exec, exec, s[78:79]
	s_and_saveexec_b64 s[78:79], s[52:53]
	s_cbranch_execz .LBB209_71
.LBB209_103:                            ;   in Loop: Header=BB209_43 Depth=1
	v_mov_b32_e32 v12, s80
	ds_read_b32 v12, v12
	s_waitcnt lgkmcnt(0)
	v_add_u32_e32 v11, v12, v11
	s_or_b64 exec, exec, s[78:79]
	s_and_saveexec_b64 s[78:79], s[54:55]
	s_cbranch_execz .LBB209_72
.LBB209_104:                            ;   in Loop: Header=BB209_43 Depth=1
	v_mov_b32_e32 v12, s81
	ds_read_b32 v12, v12
	s_waitcnt lgkmcnt(0)
	v_add_u32_e32 v11, v12, v11
	s_or_b64 exec, exec, s[78:79]
	s_and_saveexec_b64 s[78:79], s[56:57]
	s_cbranch_execz .LBB209_73
.LBB209_105:                            ;   in Loop: Header=BB209_43 Depth=1
	v_mov_b32_e32 v12, s82
	ds_read_b32 v12, v12
	s_waitcnt lgkmcnt(0)
	v_add_u32_e32 v11, v12, v11
	s_or_b64 exec, exec, s[78:79]
	s_and_saveexec_b64 s[78:79], s[58:59]
	s_cbranch_execz .LBB209_74
.LBB209_106:                            ;   in Loop: Header=BB209_43 Depth=1
	v_mov_b32_e32 v12, s83
	ds_read_b32 v12, v12
	s_waitcnt lgkmcnt(0)
	v_add_u32_e32 v11, v12, v11
	s_or_b64 exec, exec, s[78:79]
	s_and_saveexec_b64 s[78:79], s[64:65]
	s_cbranch_execz .LBB209_75
.LBB209_107:                            ;   in Loop: Header=BB209_43 Depth=1
	v_add3_u32 v12, v6, -1, v11
	v_lshl_add_u32 v13, v12, 2, 0
	v_lshl_add_u32 v12, v12, 3, 0
	ds_write_b32 v13, v10
	ds_write_b64 v12, v[4:5] offset:32768
	s_or_b64 exec, exec, s[78:79]
	s_and_saveexec_b64 s[64:65], vcc
	s_cbranch_execz .LBB209_42
.LBB209_108:                            ;   in Loop: Header=BB209_43 Depth=1
	v_mov_b32_e32 v4, s84
	ds_write_b32 v4, v11
	s_branch .LBB209_42
.LBB209_109:
	s_or_b64 exec, exec, s[76:77]
	v_readlane_b32 s0, v25, 6
	v_readlane_b32 s1, v25, 7
	s_ashr_i32 s1, s0, 31
	s_lshl_b64 s[0:1], s[0:1], 3
	v_readlane_b32 s4, v25, 0
	v_readlane_b32 s5, v25, 1
	s_add_u32 s0, s4, s0
	s_addc_u32 s1, s5, s1
	s_load_dwordx4 s[0:3], s[0:1], 0x0
	v_readlane_b32 s6, v25, 2
	v_readlane_b32 s7, v25, 3
	s_waitcnt lgkmcnt(0)
	s_sub_i32 s8, s2, s0
	v_cmp_gt_i32_e32 vcc, s8, v0
	s_and_saveexec_b64 s[4:5], vcc
	v_readlane_b32 s14, v25, 4
	v_readlane_b32 s15, v25, 5
	s_cbranch_execz .LBB209_119
; %bb.110:
	s_sub_u32 s4, s0, s66
	s_subb_u32 s5, s1, 0
	s_and_b32 s9, s8, 7
	s_sub_i32 s0, s0, s2
	s_cmp_lt_u32 s0, -7
	s_cselect_b64 s[0:1], -1, 0
	s_and_b32 s10, s8, -8
	s_cmp_lg_u32 s9, 0
	v_cndmask_b32_e64 v1, 0, 1, s[0:1]
	s_cselect_b64 s[2:3], -1, 0
	v_cmp_ne_u32_e64 s[0:1], 1, v1
	v_cndmask_b32_e64 v1, 0, 1, s[2:3]
	s_mov_b64 s[6:7], 0
	v_cmp_ne_u32_e64 s[2:3], 1, v1
	s_branch .LBB209_112
.LBB209_111:                            ;   in Loop: Header=BB209_112 Depth=1
	v_readlane_b32 s16, v25, 0
	v_lshlrev_b64 v[6:7], 2, v[4:5]
	v_readlane_b32 s18, v25, 2
	v_readlane_b32 s19, v25, 3
	v_mov_b32_e32 v8, s19
	v_add_co_u32_e32 v6, vcc, s18, v6
	s_waitcnt lgkmcnt(1)
	v_add_u32_e32 v1, s66, v1
	v_addc_co_u32_e32 v7, vcc, v8, v7, vcc
	v_lshlrev_b64 v[4:5], 3, v[4:5]
	global_store_dword v[6:7], v1, off
	v_mov_b32_e32 v1, s15
	v_add_co_u32_e32 v4, vcc, s14, v4
	v_addc_co_u32_e32 v5, vcc, v1, v5, vcc
	v_add_u32_e32 v0, 0x400, v0
	v_cmp_le_i32_e32 vcc, s8, v0
	s_or_b64 s[6:7], vcc, s[6:7]
	v_readlane_b32 s17, v25, 1
	s_waitcnt lgkmcnt(0)
	global_store_dwordx2 v[4:5], v[2:3], off
	s_andn2_b64 exec, exec, s[6:7]
	s_cbranch_execz .LBB209_119
.LBB209_112:                            ; =>This Loop Header: Depth=1
                                        ;     Child Loop BB209_114 Depth 2
                                        ;     Child Loop BB209_118 Depth 2
	v_lshlrev_b32_e32 v1, 2, v0
	v_add_u32_e32 v2, 0, v1
	v_add_u32_e32 v3, v2, v1
	ds_read_b32 v1, v2
	ds_read_b64 v[2:3], v3 offset:32768
	s_and_b64 vcc, exec, s[0:1]
	v_pk_mov_b32 v[4:5], s[4:5], s[4:5] op_sel:[0,1]
	s_mov_b32 s11, 0
	s_cbranch_vccnz .LBB209_116
; %bb.113:                              ;   in Loop: Header=BB209_112 Depth=1
	s_mov_b32 s12, 0
	v_pk_mov_b32 v[4:5], s[4:5], s[4:5] op_sel:[0,1]
.LBB209_114:                            ;   Parent Loop BB209_112 Depth=1
                                        ; =>  This Inner Loop Header: Depth=2
	v_mov_b32_e32 v12, s12
	ds_read2_b32 v[6:7], v12 offset1:1
	ds_read2_b32 v[8:9], v12 offset0:2 offset1:3
	ds_read2_b32 v[10:11], v12 offset0:4 offset1:5
	;; [unrolled: 1-line block ×3, first 2 shown]
	s_add_i32 s11, s11, 8
	s_waitcnt lgkmcnt(3)
	v_cmp_gt_i32_e32 vcc, v1, v6
	v_cndmask_b32_e64 v6, 0, 1, vcc
	v_cmp_gt_i32_e32 vcc, v1, v7
	v_cndmask_b32_e64 v7, 0, 1, vcc
	s_waitcnt lgkmcnt(2)
	v_cmp_gt_i32_e32 vcc, v1, v8
	v_cndmask_b32_e64 v8, 0, 1, vcc
	v_cmp_gt_i32_e32 vcc, v1, v9
	v_cndmask_b32_e64 v9, 0, 1, vcc
	;; [unrolled: 5-line block ×4, first 2 shown]
	v_add_co_u32_e32 v4, vcc, v4, v6
	v_addc_co_u32_e32 v5, vcc, 0, v5, vcc
	v_add_co_u32_e32 v4, vcc, v4, v7
	v_addc_co_u32_e32 v5, vcc, 0, v5, vcc
	;; [unrolled: 2-line block ×7, first 2 shown]
	s_add_i32 s12, s12, 32
	v_add_co_u32_e32 v4, vcc, v4, v13
	s_cmp_eq_u32 s10, s11
	v_addc_co_u32_e32 v5, vcc, 0, v5, vcc
	s_cbranch_scc0 .LBB209_114
; %bb.115:                              ;   in Loop: Header=BB209_112 Depth=1
	s_mov_b32 s11, s10
.LBB209_116:                            ;   in Loop: Header=BB209_112 Depth=1
	s_and_b64 vcc, exec, s[2:3]
	s_cbranch_vccnz .LBB209_111
; %bb.117:                              ;   in Loop: Header=BB209_112 Depth=1
	s_lshl_b32 s11, s11, 2
	s_add_i32 s11, s11, 0
	s_mov_b32 s12, s9
.LBB209_118:                            ;   Parent Loop BB209_112 Depth=1
                                        ; =>  This Inner Loop Header: Depth=2
	v_mov_b32_e32 v6, s11
	ds_read_b32 v6, v6
	s_add_i32 s11, s11, 4
	s_add_i32 s12, s12, -1
	s_cmp_lg_u32 s12, 0
	s_waitcnt lgkmcnt(0)
	v_cmp_gt_i32_e32 vcc, v1, v6
	v_cndmask_b32_e64 v6, 0, 1, vcc
	v_add_co_u32_e32 v4, vcc, v4, v6
	v_addc_co_u32_e32 v5, vcc, 0, v5, vcc
	s_cbranch_scc1 .LBB209_118
	s_branch .LBB209_111
.LBB209_119:
	s_endpgm
	.section	.rodata,"a",@progbits
	.p2align	6, 0x0
	.amdhsa_kernel _ZN9rocsparseL26csrgemm_fill_block_per_rowILj1024ELj64ELj8192ELj137ELj32ElidEEvT5_PKS1_S3_NS_24const_host_device_scalarIT6_EEPKT4_S3_PKS5_S9_S3_SB_S6_S9_S3_SB_S9_PS1_PS5_21rocsparse_index_base_SE_SE_SE_bbb
		.amdhsa_group_segment_fixed_size 0
		.amdhsa_private_segment_fixed_size 0
		.amdhsa_kernarg_size 156
		.amdhsa_user_sgpr_count 6
		.amdhsa_user_sgpr_private_segment_buffer 1
		.amdhsa_user_sgpr_dispatch_ptr 0
		.amdhsa_user_sgpr_queue_ptr 0
		.amdhsa_user_sgpr_kernarg_segment_ptr 1
		.amdhsa_user_sgpr_dispatch_id 0
		.amdhsa_user_sgpr_flat_scratch_init 0
		.amdhsa_user_sgpr_kernarg_preload_length 0
		.amdhsa_user_sgpr_kernarg_preload_offset 0
		.amdhsa_user_sgpr_private_segment_size 0
		.amdhsa_uses_dynamic_stack 0
		.amdhsa_system_sgpr_private_segment_wavefront_offset 0
		.amdhsa_system_sgpr_workgroup_id_x 1
		.amdhsa_system_sgpr_workgroup_id_y 0
		.amdhsa_system_sgpr_workgroup_id_z 0
		.amdhsa_system_sgpr_workgroup_info 0
		.amdhsa_system_vgpr_workitem_id 0
		.amdhsa_next_free_vgpr 26
		.amdhsa_next_free_sgpr 96
		.amdhsa_accum_offset 28
		.amdhsa_reserve_vcc 1
		.amdhsa_reserve_flat_scratch 0
		.amdhsa_float_round_mode_32 0
		.amdhsa_float_round_mode_16_64 0
		.amdhsa_float_denorm_mode_32 3
		.amdhsa_float_denorm_mode_16_64 3
		.amdhsa_dx10_clamp 1
		.amdhsa_ieee_mode 1
		.amdhsa_fp16_overflow 0
		.amdhsa_tg_split 0
		.amdhsa_exception_fp_ieee_invalid_op 0
		.amdhsa_exception_fp_denorm_src 0
		.amdhsa_exception_fp_ieee_div_zero 0
		.amdhsa_exception_fp_ieee_overflow 0
		.amdhsa_exception_fp_ieee_underflow 0
		.amdhsa_exception_fp_ieee_inexact 0
		.amdhsa_exception_int_div_zero 0
	.end_amdhsa_kernel
	.section	.text._ZN9rocsparseL26csrgemm_fill_block_per_rowILj1024ELj64ELj8192ELj137ELj32ElidEEvT5_PKS1_S3_NS_24const_host_device_scalarIT6_EEPKT4_S3_PKS5_S9_S3_SB_S6_S9_S3_SB_S9_PS1_PS5_21rocsparse_index_base_SE_SE_SE_bbb,"axG",@progbits,_ZN9rocsparseL26csrgemm_fill_block_per_rowILj1024ELj64ELj8192ELj137ELj32ElidEEvT5_PKS1_S3_NS_24const_host_device_scalarIT6_EEPKT4_S3_PKS5_S9_S3_SB_S6_S9_S3_SB_S9_PS1_PS5_21rocsparse_index_base_SE_SE_SE_bbb,comdat
.Lfunc_end209:
	.size	_ZN9rocsparseL26csrgemm_fill_block_per_rowILj1024ELj64ELj8192ELj137ELj32ElidEEvT5_PKS1_S3_NS_24const_host_device_scalarIT6_EEPKT4_S3_PKS5_S9_S3_SB_S6_S9_S3_SB_S9_PS1_PS5_21rocsparse_index_base_SE_SE_SE_bbb, .Lfunc_end209-_ZN9rocsparseL26csrgemm_fill_block_per_rowILj1024ELj64ELj8192ELj137ELj32ElidEEvT5_PKS1_S3_NS_24const_host_device_scalarIT6_EEPKT4_S3_PKS5_S9_S3_SB_S6_S9_S3_SB_S9_PS1_PS5_21rocsparse_index_base_SE_SE_SE_bbb
                                        ; -- End function
	.section	.AMDGPU.csdata,"",@progbits
; Kernel info:
; codeLenInByte = 4756
; NumSgprs: 100
; NumVgprs: 26
; NumAgprs: 0
; TotalNumVgprs: 26
; ScratchSize: 0
; MemoryBound: 0
; FloatMode: 240
; IeeeMode: 1
; LDSByteSize: 0 bytes/workgroup (compile time only)
; SGPRBlocks: 12
; VGPRBlocks: 3
; NumSGPRsForWavesPerEU: 100
; NumVGPRsForWavesPerEU: 26
; AccumOffset: 28
; Occupancy: 8
; WaveLimiterHint : 1
; COMPUTE_PGM_RSRC2:SCRATCH_EN: 0
; COMPUTE_PGM_RSRC2:USER_SGPR: 6
; COMPUTE_PGM_RSRC2:TRAP_HANDLER: 0
; COMPUTE_PGM_RSRC2:TGID_X_EN: 1
; COMPUTE_PGM_RSRC2:TGID_Y_EN: 0
; COMPUTE_PGM_RSRC2:TGID_Z_EN: 0
; COMPUTE_PGM_RSRC2:TIDIG_COMP_CNT: 0
; COMPUTE_PGM_RSRC3_GFX90A:ACCUM_OFFSET: 6
; COMPUTE_PGM_RSRC3_GFX90A:TG_SPLIT: 0
	.section	.text._ZN9rocsparseL26csrgemm_fill_block_per_rowILj1024ELj64ELj8192ELj137ELj64ElidEEvT5_PKS1_S3_NS_24const_host_device_scalarIT6_EEPKT4_S3_PKS5_S9_S3_SB_S6_S9_S3_SB_S9_PS1_PS5_21rocsparse_index_base_SE_SE_SE_bbb,"axG",@progbits,_ZN9rocsparseL26csrgemm_fill_block_per_rowILj1024ELj64ELj8192ELj137ELj64ElidEEvT5_PKS1_S3_NS_24const_host_device_scalarIT6_EEPKT4_S3_PKS5_S9_S3_SB_S6_S9_S3_SB_S9_PS1_PS5_21rocsparse_index_base_SE_SE_SE_bbb,comdat
	.globl	_ZN9rocsparseL26csrgemm_fill_block_per_rowILj1024ELj64ELj8192ELj137ELj64ElidEEvT5_PKS1_S3_NS_24const_host_device_scalarIT6_EEPKT4_S3_PKS5_S9_S3_SB_S6_S9_S3_SB_S9_PS1_PS5_21rocsparse_index_base_SE_SE_SE_bbb ; -- Begin function _ZN9rocsparseL26csrgemm_fill_block_per_rowILj1024ELj64ELj8192ELj137ELj64ElidEEvT5_PKS1_S3_NS_24const_host_device_scalarIT6_EEPKT4_S3_PKS5_S9_S3_SB_S6_S9_S3_SB_S9_PS1_PS5_21rocsparse_index_base_SE_SE_SE_bbb
	.p2align	8
	.type	_ZN9rocsparseL26csrgemm_fill_block_per_rowILj1024ELj64ELj8192ELj137ELj64ElidEEvT5_PKS1_S3_NS_24const_host_device_scalarIT6_EEPKT4_S3_PKS5_S9_S3_SB_S6_S9_S3_SB_S9_PS1_PS5_21rocsparse_index_base_SE_SE_SE_bbb,@function
_ZN9rocsparseL26csrgemm_fill_block_per_rowILj1024ELj64ELj8192ELj137ELj64ElidEEvT5_PKS1_S3_NS_24const_host_device_scalarIT6_EEPKT4_S3_PKS5_S9_S3_SB_S6_S9_S3_SB_S9_PS1_PS5_21rocsparse_index_base_SE_SE_SE_bbb: ; @_ZN9rocsparseL26csrgemm_fill_block_per_rowILj1024ELj64ELj8192ELj137ELj64ElidEEvT5_PKS1_S3_NS_24const_host_device_scalarIT6_EEPKT4_S3_PKS5_S9_S3_SB_S6_S9_S3_SB_S9_PS1_PS5_21rocsparse_index_base_SE_SE_SE_bbb
; %bb.0:
	s_load_dword s7, s[4:5], 0x98
	s_load_dwordx4 s[0:3], s[4:5], 0x8
	s_load_dwordx2 s[14:15], s[4:5], 0x18
	s_load_dwordx4 s[36:39], s[4:5], 0x88
	s_load_dwordx2 s[10:11], s[4:5], 0x50
	s_waitcnt lgkmcnt(0)
	s_and_b32 s8, 1, s7
	s_bitcmp1_b32 s7, 16
	s_cselect_b64 s[12:13], -1, 0
	s_cmp_eq_u32 s8, 1
	s_cselect_b64 s[8:9], -1, 0
	s_and_b64 s[16:17], s[8:9], exec
	s_cselect_b32 s17, s15, 0
	s_cselect_b32 s16, s14, 0
	s_xor_b64 s[18:19], s[8:9], -1
	s_or_b64 s[18:19], s[18:19], s[12:13]
	s_and_b64 vcc, exec, s[18:19]
	v_pk_mov_b32 v[4:5], s[16:17], s[16:17] op_sel:[0,1]
	s_cbranch_vccnz .LBB210_2
; %bb.1:
	v_pk_mov_b32 v[2:3], s[14:15], s[14:15] op_sel:[0,1]
	flat_load_dwordx2 v[4:5], v[2:3]
.LBB210_2:
	s_bitcmp1_b32 s7, 8
	s_cselect_b64 s[16:17], -1, 0
	s_and_b64 s[14:15], s[16:17], exec
	s_cselect_b32 s15, s11, 0
	s_cselect_b32 s14, s10, 0
	s_xor_b64 s[18:19], s[16:17], -1
	s_or_b64 s[12:13], s[18:19], s[12:13]
	s_and_b64 vcc, exec, s[12:13]
	v_pk_mov_b32 v[2:3], s[14:15], s[14:15] op_sel:[0,1]
	s_cbranch_vccnz .LBB210_4
; %bb.3:
	v_pk_mov_b32 v[2:3], s[10:11], s[10:11] op_sel:[0,1]
	flat_load_dwordx2 v[2:3], v[2:3]
.LBB210_4:
	s_load_dword s33, s[4:5], 0x0
	v_lshlrev_b32_e32 v6, 2, v0
	s_mov_b32 s10, 0
	v_add_u32_e32 v1, 0, v6
	s_mov_b32 s11, s10
	v_add_u32_e32 v8, v1, v6
	v_pk_mov_b32 v[6:7], s[10:11], s[10:11] op_sel:[0,1]
	s_waitcnt lgkmcnt(0)
	v_mov_b32_e32 v9, s33
	ds_write_b64 v8, v[6:7] offset:32768
	v_mov_b32_e32 v8, s33
	s_add_i32 s7, 0, 0x8000
	ds_write2st64_b32 v1, v9, v8 offset1:16
	v_lshl_add_u32 v8, v0, 3, s7
	v_mov_b32_e32 v10, s33
	ds_write2st64_b64 v8, v[6:7], v[6:7] offset0:16 offset1:32
	ds_write2st64_b32 v1, v9, v10 offset0:32 offset1:48
	ds_write2st64_b64 v8, v[6:7], v[6:7] offset0:48 offset1:64
	ds_write2st64_b32 v1, v9, v10 offset0:64 offset1:80
	;; [unrolled: 2-line block ×3, first 2 shown]
	ds_write_b64 v8, v[6:7] offset:57344
	s_waitcnt lgkmcnt(0)
	s_barrier
	s_load_dword s0, s[0:1], 0x0
	s_mov_b32 s1, s10
	v_lshrrev_b32_e32 v16, 6, v0
	s_waitcnt lgkmcnt(0)
	s_add_i32 s0, s0, s6
	s_lshl_b64 s[0:1], s[0:1], 2
	s_add_u32 s0, s2, s0
	s_addc_u32 s1, s3, s1
	s_load_dword s34, s[0:1], 0x0
	s_andn2_b64 vcc, exec, s[8:9]
	s_cbranch_vccnz .LBB210_24
; %bb.5:
	s_load_dwordx2 s[0:1], s[4:5], 0x20
	s_waitcnt lgkmcnt(0)
	s_ashr_i32 s35, s34, 31
	s_lshl_b64 s[2:3], s[34:35], 3
	v_subrev_co_u32_e32 v6, vcc, s36, v16
	s_add_u32 s0, s0, s2
	s_addc_u32 s1, s1, s3
	s_load_dwordx4 s[8:11], s[0:1], 0x0
	v_subb_co_u32_e64 v7, s[0:1], 0, 0, vcc
	s_waitcnt lgkmcnt(0)
	s_sub_u32 s0, s10, s36
	v_mov_b32_e32 v8, s9
	v_add_co_u32_e32 v6, vcc, s8, v6
	s_subb_u32 s1, s11, 0
	v_addc_co_u32_e32 v7, vcc, v8, v7, vcc
	v_cmp_gt_i64_e32 vcc, s[0:1], v[6:7]
	s_and_saveexec_b64 s[2:3], vcc
	s_cbranch_execz .LBB210_23
; %bb.6:
	s_load_dwordx2 s[6:7], s[4:5], 0x48
	s_load_dwordx8 s[8:15], s[4:5], 0x28
	v_and_b32_e32 v8, 63, v0
	v_subrev_co_u32_e32 v17, vcc, s37, v8
	s_mov_b32 s20, 0
	v_subb_co_u32_e64 v18, s[18:19], 0, 0, vcc
	s_mov_b32 s35, s37
	s_mov_b64 s[18:19], 0
	s_waitcnt lgkmcnt(0)
	v_mov_b32_e32 v19, s9
	v_mov_b32_e32 v20, s13
	;; [unrolled: 1-line block ×3, first 2 shown]
	s_movk_i32 s9, 0x89
	s_branch .LBB210_8
.LBB210_7:                              ;   in Loop: Header=BB210_8 Depth=1
	s_or_b64 exec, exec, s[20:21]
	v_add_co_u32_e32 v6, vcc, 16, v6
	v_addc_co_u32_e32 v7, vcc, 0, v7, vcc
	v_cmp_le_i64_e32 vcc, s[0:1], v[6:7]
	s_or_b64 s[18:19], vcc, s[18:19]
	s_andn2_b64 exec, exec, s[18:19]
	s_cbranch_execz .LBB210_23
.LBB210_8:                              ; =>This Loop Header: Depth=1
                                        ;     Child Loop BB210_11 Depth 2
                                        ;       Child Loop BB210_13 Depth 3
	v_lshlrev_b64 v[8:9], 2, v[6:7]
	v_add_co_u32_e32 v8, vcc, s8, v8
	v_addc_co_u32_e32 v9, vcc, v19, v9, vcc
	global_load_dword v8, v[8:9], off
	s_waitcnt vmcnt(0)
	v_subrev_u32_e32 v8, s36, v8
	v_ashrrev_i32_e32 v9, 31, v8
	v_lshlrev_b64 v[8:9], 3, v[8:9]
	v_add_co_u32_e32 v8, vcc, s12, v8
	v_addc_co_u32_e32 v9, vcc, v20, v9, vcc
	global_load_dwordx4 v[10:13], v[8:9], off
	s_waitcnt vmcnt(0)
	v_subrev_co_u32_e32 v8, vcc, s35, v12
	v_subb_co_u32_e32 v9, vcc, v13, v21, vcc
	v_add_co_u32_e32 v10, vcc, v10, v17
	v_addc_co_u32_e32 v11, vcc, v11, v18, vcc
	v_cmp_lt_i64_e32 vcc, v[10:11], v[8:9]
	s_and_saveexec_b64 s[20:21], vcc
	s_cbranch_execz .LBB210_7
; %bb.9:                                ;   in Loop: Header=BB210_8 Depth=1
	v_lshlrev_b64 v[12:13], 3, v[6:7]
	v_mov_b32_e32 v14, s11
	v_add_co_u32_e32 v12, vcc, s10, v12
	v_addc_co_u32_e32 v13, vcc, v14, v13, vcc
	global_load_dwordx2 v[12:13], v[12:13], off
	s_mov_b64 s[22:23], 0
	s_waitcnt vmcnt(0)
	v_mul_f64 v[12:13], v[4:5], v[12:13]
	s_branch .LBB210_11
.LBB210_10:                             ;   in Loop: Header=BB210_11 Depth=2
	s_or_b64 exec, exec, s[24:25]
	v_add_co_u32_e32 v10, vcc, 64, v10
	v_addc_co_u32_e32 v11, vcc, 0, v11, vcc
	v_cmp_ge_i64_e32 vcc, v[10:11], v[8:9]
	s_or_b64 s[22:23], vcc, s[22:23]
	s_andn2_b64 exec, exec, s[22:23]
	s_cbranch_execz .LBB210_7
.LBB210_11:                             ;   Parent Loop BB210_8 Depth=1
                                        ; =>  This Loop Header: Depth=2
                                        ;       Child Loop BB210_13 Depth 3
	v_lshlrev_b64 v[14:15], 2, v[10:11]
	v_mov_b32_e32 v22, s15
	v_add_co_u32_e32 v14, vcc, s14, v14
	v_addc_co_u32_e32 v15, vcc, v22, v15, vcc
	global_load_dword v22, v[14:15], off
	v_lshlrev_b64 v[14:15], 3, v[10:11]
	v_mov_b32_e32 v23, s7
	v_add_co_u32_e32 v14, vcc, s6, v14
	v_addc_co_u32_e32 v15, vcc, v23, v15, vcc
	global_load_dwordx2 v[14:15], v[14:15], off
	s_mov_b64 s[24:25], 0
	s_waitcnt vmcnt(1)
	v_subrev_u32_e32 v22, s37, v22
	v_mul_lo_u32 v23, v22, s9
	v_and_b32_e32 v23, 0x1fff, v23
	s_waitcnt vmcnt(0)
	v_mul_f64 v[14:15], v[12:13], v[14:15]
	s_branch .LBB210_13
.LBB210_12:                             ;   in Loop: Header=BB210_13 Depth=3
	s_or_b64 exec, exec, s[26:27]
	s_xor_b64 s[26:27], s[28:29], -1
	s_and_b64 s[26:27], exec, s[26:27]
	s_or_b64 s[24:25], s[26:27], s[24:25]
	s_andn2_b64 exec, exec, s[24:25]
	s_cbranch_execz .LBB210_10
.LBB210_13:                             ;   Parent Loop BB210_8 Depth=1
                                        ;     Parent Loop BB210_11 Depth=2
                                        ; =>    This Inner Loop Header: Depth=3
	v_lshl_add_u32 v24, v23, 2, 0
	ds_read_b32 v25, v24
                                        ; implicit-def: $sgpr28_sgpr29
	s_waitcnt lgkmcnt(0)
	v_cmp_ne_u32_e32 vcc, v25, v22
	s_and_saveexec_b64 s[26:27], vcc
	s_xor_b64 s[26:27], exec, s[26:27]
	s_cbranch_execz .LBB210_21
; %bb.14:                               ;   in Loop: Header=BB210_13 Depth=3
	v_cmp_ne_u32_e32 vcc, s33, v25
                                        ; implicit-def: $sgpr28_sgpr29
	s_and_saveexec_b64 s[30:31], vcc
	s_xor_b64 s[30:31], exec, s[30:31]
; %bb.15:                               ;   in Loop: Header=BB210_13 Depth=3
	v_add_u32_e32 v23, 1, v23
	v_and_b32_e32 v23, 0x1fff, v23
	s_mov_b64 s[28:29], -1
                                        ; implicit-def: $vgpr24
; %bb.16:                               ;   in Loop: Header=BB210_13 Depth=3
	s_andn2_saveexec_b64 s[30:31], s[30:31]
	s_cbranch_execz .LBB210_20
; %bb.17:                               ;   in Loop: Header=BB210_13 Depth=3
	v_mov_b32_e32 v25, s33
	ds_cmpst_rtn_b32 v25, v24, v25, v22
	s_mov_b64 s[40:41], -1
	s_waitcnt lgkmcnt(0)
	v_cmp_eq_u32_e32 vcc, s33, v25
	s_and_saveexec_b64 s[42:43], vcc
	s_cbranch_execz .LBB210_19
; %bb.18:                               ;   in Loop: Header=BB210_13 Depth=3
	v_lshl_add_u32 v24, v23, 2, v24
	ds_add_f64 v24, v[14:15] offset:32768
	s_xor_b64 s[40:41], exec, -1
.LBB210_19:                             ;   in Loop: Header=BB210_13 Depth=3
	s_or_b64 exec, exec, s[42:43]
	s_andn2_b64 s[28:29], s[28:29], exec
	s_and_b64 s[40:41], s[40:41], exec
	s_or_b64 s[28:29], s[28:29], s[40:41]
.LBB210_20:                             ;   in Loop: Header=BB210_13 Depth=3
	s_or_b64 exec, exec, s[30:31]
	s_and_b64 s[28:29], s[28:29], exec
                                        ; implicit-def: $vgpr24
.LBB210_21:                             ;   in Loop: Header=BB210_13 Depth=3
	s_andn2_saveexec_b64 s[26:27], s[26:27]
	s_cbranch_execz .LBB210_12
; %bb.22:                               ;   in Loop: Header=BB210_13 Depth=3
	v_lshl_add_u32 v24, v23, 2, v24
	ds_add_f64 v24, v[14:15] offset:32768
	s_andn2_b64 s[28:29], s[28:29], exec
	s_branch .LBB210_12
.LBB210_23:
	s_or_b64 exec, exec, s[2:3]
.LBB210_24:
	s_load_dwordx2 s[36:37], s[4:5], 0x80
	s_load_dwordx4 s[40:43], s[4:5], 0x70
	s_andn2_b64 vcc, exec, s[16:17]
	s_cbranch_vccnz .LBB210_41
; %bb.25:
	s_load_dwordx2 s[0:1], s[4:5], 0x58
	s_waitcnt lgkmcnt(0)
	s_ashr_i32 s35, s34, 31
	s_lshl_b64 s[2:3], s[34:35], 3
	s_waitcnt vmcnt(0)
	v_subrev_co_u32_e32 v4, vcc, s39, v0
	s_add_u32 s0, s0, s2
	s_addc_u32 s1, s1, s3
	s_load_dwordx4 s[0:3], s[0:1], 0x0
	v_subb_co_u32_e64 v5, s[6:7], 0, 0, vcc
	s_waitcnt lgkmcnt(0)
	s_sub_u32 s6, s2, s39
	v_mov_b32_e32 v6, s1
	v_add_co_u32_e32 v4, vcc, s0, v4
	s_subb_u32 s7, s3, 0
	v_addc_co_u32_e32 v5, vcc, v6, v5, vcc
	v_cmp_gt_i64_e32 vcc, s[6:7], v[4:5]
	s_and_saveexec_b64 s[8:9], vcc
	s_cbranch_execz .LBB210_40
; %bb.26:
	s_load_dwordx4 s[0:3], s[4:5], 0x60
	s_mov_b64 s[4:5], 0
	s_waitcnt lgkmcnt(0)
	v_mov_b32_e32 v8, s1
	v_mov_b32_e32 v9, s3
	s_movk_i32 s1, 0x89
	s_branch .LBB210_28
.LBB210_27:                             ;   in Loop: Header=BB210_28 Depth=1
	s_or_b64 exec, exec, s[10:11]
	v_add_co_u32_e32 v4, vcc, 0x400, v4
	v_addc_co_u32_e32 v5, vcc, 0, v5, vcc
	v_cmp_le_i64_e32 vcc, s[6:7], v[4:5]
	s_or_b64 s[4:5], vcc, s[4:5]
	s_andn2_b64 exec, exec, s[4:5]
	s_cbranch_execz .LBB210_40
.LBB210_28:                             ; =>This Loop Header: Depth=1
                                        ;     Child Loop BB210_30 Depth 2
	v_lshlrev_b64 v[6:7], 2, v[4:5]
	v_add_co_u32_e32 v6, vcc, s0, v6
	v_addc_co_u32_e32 v7, vcc, v8, v7, vcc
	global_load_dword v10, v[6:7], off
	v_lshlrev_b64 v[6:7], 3, v[4:5]
	v_add_co_u32_e32 v6, vcc, s2, v6
	v_addc_co_u32_e32 v7, vcc, v9, v7, vcc
	global_load_dwordx2 v[6:7], v[6:7], off
	s_mov_b64 s[10:11], 0
	s_waitcnt vmcnt(1)
	v_subrev_u32_e32 v10, s39, v10
	v_mul_lo_u32 v11, v10, s1
	v_and_b32_e32 v11, 0x1fff, v11
	s_waitcnt vmcnt(0)
	v_mul_f64 v[6:7], v[2:3], v[6:7]
	s_branch .LBB210_30
.LBB210_29:                             ;   in Loop: Header=BB210_30 Depth=2
	s_or_b64 exec, exec, s[12:13]
	s_xor_b64 s[12:13], s[14:15], -1
	s_and_b64 s[12:13], exec, s[12:13]
	s_or_b64 s[10:11], s[12:13], s[10:11]
	s_andn2_b64 exec, exec, s[10:11]
	s_cbranch_execz .LBB210_27
.LBB210_30:                             ;   Parent Loop BB210_28 Depth=1
                                        ; =>  This Inner Loop Header: Depth=2
	v_lshl_add_u32 v12, v11, 2, 0
	ds_read_b32 v13, v12
                                        ; implicit-def: $sgpr14_sgpr15
	s_waitcnt lgkmcnt(0)
	v_cmp_ne_u32_e32 vcc, v13, v10
	s_and_saveexec_b64 s[12:13], vcc
	s_xor_b64 s[12:13], exec, s[12:13]
	s_cbranch_execz .LBB210_38
; %bb.31:                               ;   in Loop: Header=BB210_30 Depth=2
	v_cmp_ne_u32_e32 vcc, s33, v13
                                        ; implicit-def: $sgpr14_sgpr15
	s_and_saveexec_b64 s[16:17], vcc
	s_xor_b64 s[16:17], exec, s[16:17]
; %bb.32:                               ;   in Loop: Header=BB210_30 Depth=2
	v_add_u32_e32 v11, 1, v11
	v_and_b32_e32 v11, 0x1fff, v11
	s_mov_b64 s[14:15], -1
                                        ; implicit-def: $vgpr12
; %bb.33:                               ;   in Loop: Header=BB210_30 Depth=2
	s_andn2_saveexec_b64 s[16:17], s[16:17]
	s_cbranch_execz .LBB210_37
; %bb.34:                               ;   in Loop: Header=BB210_30 Depth=2
	v_mov_b32_e32 v13, s33
	ds_cmpst_rtn_b32 v13, v12, v13, v10
	s_mov_b64 s[18:19], -1
	s_waitcnt lgkmcnt(0)
	v_cmp_eq_u32_e32 vcc, s33, v13
	s_and_saveexec_b64 s[20:21], vcc
	s_cbranch_execz .LBB210_36
; %bb.35:                               ;   in Loop: Header=BB210_30 Depth=2
	v_lshl_add_u32 v12, v11, 2, v12
	ds_add_f64 v12, v[6:7] offset:32768
	s_xor_b64 s[18:19], exec, -1
.LBB210_36:                             ;   in Loop: Header=BB210_30 Depth=2
	s_or_b64 exec, exec, s[20:21]
	s_andn2_b64 s[14:15], s[14:15], exec
	s_and_b64 s[18:19], s[18:19], exec
	s_or_b64 s[14:15], s[14:15], s[18:19]
.LBB210_37:                             ;   in Loop: Header=BB210_30 Depth=2
	s_or_b64 exec, exec, s[16:17]
	s_and_b64 s[14:15], s[14:15], exec
                                        ; implicit-def: $vgpr12
.LBB210_38:                             ;   in Loop: Header=BB210_30 Depth=2
	s_andn2_saveexec_b64 s[12:13], s[12:13]
	s_cbranch_execz .LBB210_29
; %bb.39:                               ;   in Loop: Header=BB210_30 Depth=2
	v_lshl_add_u32 v12, v11, 2, v12
	ds_add_f64 v12, v[6:7] offset:32768
	s_andn2_b64 s[14:15], s[14:15], exec
	s_branch .LBB210_29
.LBB210_40:
	s_or_b64 exec, exec, s[8:9]
.LBB210_41:
	s_waitcnt vmcnt(0)
	v_mbcnt_lo_u32_b32 v2, -1, 0
	v_mbcnt_hi_u32_b32 v2, -1, v2
	v_sub_u32_e32 v2, 63, v2
	s_add_i32 s35, 0, 0x18000
	s_movk_i32 s0, 0x3ff
	s_movk_i32 s2, 0x7f
	;; [unrolled: 1-line block ×15, first 2 shown]
	v_lshl_add_u32 v4, v0, 3, 0
	s_add_i32 s61, 0, 0x1803c
	v_mov_b32_e32 v6, 0
	v_lshrrev_b64 v[2:3], v2, -1
	v_lshl_add_u32 v7, v16, 2, s35
	v_cmp_eq_u32_e32 vcc, s0, v0
	v_cmp_lt_u32_e64 s[0:1], 63, v0
	v_cmp_lt_u32_e64 s[2:3], s2, v0
	;; [unrolled: 1-line block ×15, first 2 shown]
	v_add_u32_e32 v8, 0x8000, v4
	v_or_b32_e32 v9, 0xfffffc00, v0
	s_mov_b64 s[44:45], 0
	s_add_i32 s39, 0, 0x18004
	s_add_i32 s48, 0, 0x18008
	s_add_i32 s49, 0, 0x1800c
	s_add_i32 s50, 0, 0x18010
	s_add_i32 s51, 0, 0x18014
	s_add_i32 s52, 0, 0x18018
	s_add_i32 s53, 0, 0x1801c
	s_add_i32 s54, 0, 0x18020
	s_add_i32 s55, 0, 0x18024
	s_add_i32 s56, 0, 0x18028
	s_add_i32 s57, 0, 0x1802c
	s_add_i32 s58, 0, 0x18030
	s_add_i32 s59, 0, 0x18034
	s_add_i32 s60, 0, 0x18038
	v_mov_b32_e32 v10, s61
	s_movk_i32 s62, 0x1bff
	s_waitcnt lgkmcnt(0)
	s_barrier
	s_branch .LBB210_43
.LBB210_42:                             ;   in Loop: Header=BB210_43 Depth=1
	s_or_b64 exec, exec, s[30:31]
	s_waitcnt lgkmcnt(0)
	s_barrier
	ds_read_b32 v4, v10
	v_add_u32_e32 v9, 0x400, v9
	v_cmp_lt_u32_e64 s[30:31], s62, v9
	v_add_u32_e32 v8, 0x2000, v8
	s_or_b64 s[44:45], s[30:31], s[44:45]
	s_waitcnt lgkmcnt(0)
	v_add_u32_e32 v6, v4, v6
	v_add_u32_e32 v1, 0x1000, v1
	s_andn2_b64 exec, exec, s[44:45]
	s_cbranch_execz .LBB210_77
.LBB210_43:                             ; =>This Inner Loop Header: Depth=1
	ds_read_b32 v11, v1
	ds_read_b64 v[4:5], v8
	s_waitcnt lgkmcnt(0)
	s_barrier
	v_cmp_gt_i32_e64 s[30:31], s33, v11
	v_and_b32_e32 v13, s30, v2
	s_bcnt1_i32_b64 s46, s[30:31]
	v_and_b32_e32 v12, s31, v3
	v_bcnt_u32_b32 v13, v13, 0
	v_bcnt_u32_b32 v12, v12, v13
	v_mov_b32_e32 v13, s46
	ds_write_b32 v7, v13
	s_waitcnt lgkmcnt(0)
	s_barrier
	s_and_saveexec_b64 s[46:47], s[0:1]
	s_cbranch_execnz .LBB210_60
; %bb.44:                               ;   in Loop: Header=BB210_43 Depth=1
	s_or_b64 exec, exec, s[46:47]
	s_and_saveexec_b64 s[46:47], s[2:3]
	s_cbranch_execnz .LBB210_61
.LBB210_45:                             ;   in Loop: Header=BB210_43 Depth=1
	s_or_b64 exec, exec, s[46:47]
	s_and_saveexec_b64 s[46:47], s[4:5]
	s_cbranch_execnz .LBB210_62
.LBB210_46:                             ;   in Loop: Header=BB210_43 Depth=1
	s_or_b64 exec, exec, s[46:47]
	s_and_saveexec_b64 s[46:47], s[6:7]
	s_cbranch_execnz .LBB210_63
.LBB210_47:                             ;   in Loop: Header=BB210_43 Depth=1
	s_or_b64 exec, exec, s[46:47]
	s_and_saveexec_b64 s[46:47], s[8:9]
	s_cbranch_execnz .LBB210_64
.LBB210_48:                             ;   in Loop: Header=BB210_43 Depth=1
	s_or_b64 exec, exec, s[46:47]
	s_and_saveexec_b64 s[46:47], s[10:11]
	s_cbranch_execnz .LBB210_65
.LBB210_49:                             ;   in Loop: Header=BB210_43 Depth=1
	s_or_b64 exec, exec, s[46:47]
	s_and_saveexec_b64 s[46:47], s[12:13]
	s_cbranch_execnz .LBB210_66
.LBB210_50:                             ;   in Loop: Header=BB210_43 Depth=1
	s_or_b64 exec, exec, s[46:47]
	s_and_saveexec_b64 s[46:47], s[14:15]
	s_cbranch_execnz .LBB210_67
.LBB210_51:                             ;   in Loop: Header=BB210_43 Depth=1
	s_or_b64 exec, exec, s[46:47]
	s_and_saveexec_b64 s[46:47], s[16:17]
	s_cbranch_execnz .LBB210_68
.LBB210_52:                             ;   in Loop: Header=BB210_43 Depth=1
	s_or_b64 exec, exec, s[46:47]
	s_and_saveexec_b64 s[46:47], s[18:19]
	s_cbranch_execnz .LBB210_69
.LBB210_53:                             ;   in Loop: Header=BB210_43 Depth=1
	s_or_b64 exec, exec, s[46:47]
	s_and_saveexec_b64 s[46:47], s[20:21]
	s_cbranch_execnz .LBB210_70
.LBB210_54:                             ;   in Loop: Header=BB210_43 Depth=1
	s_or_b64 exec, exec, s[46:47]
	s_and_saveexec_b64 s[46:47], s[22:23]
	s_cbranch_execnz .LBB210_71
.LBB210_55:                             ;   in Loop: Header=BB210_43 Depth=1
	s_or_b64 exec, exec, s[46:47]
	s_and_saveexec_b64 s[46:47], s[24:25]
	s_cbranch_execnz .LBB210_72
.LBB210_56:                             ;   in Loop: Header=BB210_43 Depth=1
	s_or_b64 exec, exec, s[46:47]
	s_and_saveexec_b64 s[46:47], s[26:27]
	s_cbranch_execnz .LBB210_73
.LBB210_57:                             ;   in Loop: Header=BB210_43 Depth=1
	s_or_b64 exec, exec, s[46:47]
	s_and_saveexec_b64 s[46:47], s[28:29]
	s_cbranch_execnz .LBB210_74
.LBB210_58:                             ;   in Loop: Header=BB210_43 Depth=1
	s_or_b64 exec, exec, s[46:47]
	s_and_saveexec_b64 s[46:47], s[30:31]
	s_cbranch_execnz .LBB210_75
.LBB210_59:                             ;   in Loop: Header=BB210_43 Depth=1
	s_or_b64 exec, exec, s[46:47]
	s_and_saveexec_b64 s[30:31], vcc
	s_cbranch_execz .LBB210_42
	s_branch .LBB210_76
.LBB210_60:                             ;   in Loop: Header=BB210_43 Depth=1
	v_mov_b32_e32 v13, s35
	ds_read_b32 v13, v13
	s_waitcnt lgkmcnt(0)
	v_add_u32_e32 v12, v13, v12
	s_or_b64 exec, exec, s[46:47]
	s_and_saveexec_b64 s[46:47], s[2:3]
	s_cbranch_execz .LBB210_45
.LBB210_61:                             ;   in Loop: Header=BB210_43 Depth=1
	v_mov_b32_e32 v13, s39
	ds_read_b32 v13, v13
	s_waitcnt lgkmcnt(0)
	v_add_u32_e32 v12, v13, v12
	s_or_b64 exec, exec, s[46:47]
	s_and_saveexec_b64 s[46:47], s[4:5]
	s_cbranch_execz .LBB210_46
.LBB210_62:                             ;   in Loop: Header=BB210_43 Depth=1
	v_mov_b32_e32 v13, s48
	ds_read_b32 v13, v13
	s_waitcnt lgkmcnt(0)
	v_add_u32_e32 v12, v13, v12
	s_or_b64 exec, exec, s[46:47]
	s_and_saveexec_b64 s[46:47], s[6:7]
	s_cbranch_execz .LBB210_47
.LBB210_63:                             ;   in Loop: Header=BB210_43 Depth=1
	v_mov_b32_e32 v13, s49
	ds_read_b32 v13, v13
	s_waitcnt lgkmcnt(0)
	v_add_u32_e32 v12, v13, v12
	s_or_b64 exec, exec, s[46:47]
	s_and_saveexec_b64 s[46:47], s[8:9]
	s_cbranch_execz .LBB210_48
.LBB210_64:                             ;   in Loop: Header=BB210_43 Depth=1
	v_mov_b32_e32 v13, s50
	ds_read_b32 v13, v13
	s_waitcnt lgkmcnt(0)
	v_add_u32_e32 v12, v13, v12
	s_or_b64 exec, exec, s[46:47]
	s_and_saveexec_b64 s[46:47], s[10:11]
	s_cbranch_execz .LBB210_49
.LBB210_65:                             ;   in Loop: Header=BB210_43 Depth=1
	v_mov_b32_e32 v13, s51
	ds_read_b32 v13, v13
	s_waitcnt lgkmcnt(0)
	v_add_u32_e32 v12, v13, v12
	s_or_b64 exec, exec, s[46:47]
	s_and_saveexec_b64 s[46:47], s[12:13]
	s_cbranch_execz .LBB210_50
.LBB210_66:                             ;   in Loop: Header=BB210_43 Depth=1
	v_mov_b32_e32 v13, s52
	ds_read_b32 v13, v13
	s_waitcnt lgkmcnt(0)
	v_add_u32_e32 v12, v13, v12
	s_or_b64 exec, exec, s[46:47]
	s_and_saveexec_b64 s[46:47], s[14:15]
	s_cbranch_execz .LBB210_51
.LBB210_67:                             ;   in Loop: Header=BB210_43 Depth=1
	v_mov_b32_e32 v13, s53
	ds_read_b32 v13, v13
	s_waitcnt lgkmcnt(0)
	v_add_u32_e32 v12, v13, v12
	s_or_b64 exec, exec, s[46:47]
	s_and_saveexec_b64 s[46:47], s[16:17]
	s_cbranch_execz .LBB210_52
.LBB210_68:                             ;   in Loop: Header=BB210_43 Depth=1
	v_mov_b32_e32 v13, s54
	ds_read_b32 v13, v13
	s_waitcnt lgkmcnt(0)
	v_add_u32_e32 v12, v13, v12
	s_or_b64 exec, exec, s[46:47]
	s_and_saveexec_b64 s[46:47], s[18:19]
	s_cbranch_execz .LBB210_53
.LBB210_69:                             ;   in Loop: Header=BB210_43 Depth=1
	v_mov_b32_e32 v13, s55
	ds_read_b32 v13, v13
	s_waitcnt lgkmcnt(0)
	v_add_u32_e32 v12, v13, v12
	s_or_b64 exec, exec, s[46:47]
	s_and_saveexec_b64 s[46:47], s[20:21]
	s_cbranch_execz .LBB210_54
.LBB210_70:                             ;   in Loop: Header=BB210_43 Depth=1
	v_mov_b32_e32 v13, s56
	ds_read_b32 v13, v13
	s_waitcnt lgkmcnt(0)
	v_add_u32_e32 v12, v13, v12
	s_or_b64 exec, exec, s[46:47]
	s_and_saveexec_b64 s[46:47], s[22:23]
	s_cbranch_execz .LBB210_55
.LBB210_71:                             ;   in Loop: Header=BB210_43 Depth=1
	v_mov_b32_e32 v13, s57
	ds_read_b32 v13, v13
	s_waitcnt lgkmcnt(0)
	v_add_u32_e32 v12, v13, v12
	s_or_b64 exec, exec, s[46:47]
	s_and_saveexec_b64 s[46:47], s[24:25]
	s_cbranch_execz .LBB210_56
.LBB210_72:                             ;   in Loop: Header=BB210_43 Depth=1
	v_mov_b32_e32 v13, s58
	ds_read_b32 v13, v13
	s_waitcnt lgkmcnt(0)
	v_add_u32_e32 v12, v13, v12
	s_or_b64 exec, exec, s[46:47]
	s_and_saveexec_b64 s[46:47], s[26:27]
	s_cbranch_execz .LBB210_57
.LBB210_73:                             ;   in Loop: Header=BB210_43 Depth=1
	v_mov_b32_e32 v13, s59
	ds_read_b32 v13, v13
	s_waitcnt lgkmcnt(0)
	v_add_u32_e32 v12, v13, v12
	s_or_b64 exec, exec, s[46:47]
	s_and_saveexec_b64 s[46:47], s[28:29]
	s_cbranch_execz .LBB210_58
.LBB210_74:                             ;   in Loop: Header=BB210_43 Depth=1
	v_mov_b32_e32 v13, s60
	ds_read_b32 v13, v13
	s_waitcnt lgkmcnt(0)
	v_add_u32_e32 v12, v13, v12
	s_or_b64 exec, exec, s[46:47]
	s_and_saveexec_b64 s[46:47], s[30:31]
	s_cbranch_execz .LBB210_59
.LBB210_75:                             ;   in Loop: Header=BB210_43 Depth=1
	v_add3_u32 v13, v6, -1, v12
	v_lshl_add_u32 v14, v13, 2, 0
	v_lshl_add_u32 v13, v13, 3, 0
	ds_write_b32 v14, v11
	ds_write_b64 v13, v[4:5] offset:32768
	s_or_b64 exec, exec, s[46:47]
	s_and_saveexec_b64 s[30:31], vcc
	s_cbranch_execz .LBB210_42
.LBB210_76:                             ;   in Loop: Header=BB210_43 Depth=1
	v_mov_b32_e32 v4, s61
	ds_write_b32 v4, v12
	s_branch .LBB210_42
.LBB210_77:
	s_or_b64 exec, exec, s[44:45]
	s_ashr_i32 s35, s34, 31
	s_lshl_b64 s[0:1], s[34:35], 3
	s_add_u32 s0, s40, s0
	s_addc_u32 s1, s41, s1
	s_load_dwordx4 s[0:3], s[0:1], 0x0
	s_waitcnt lgkmcnt(0)
	s_sub_i32 s8, s2, s0
	v_cmp_gt_i32_e32 vcc, s8, v0
	s_and_saveexec_b64 s[4:5], vcc
	s_cbranch_execz .LBB210_87
; %bb.78:
	s_sub_u32 s4, s0, s38
	s_subb_u32 s5, s1, 0
	s_and_b32 s9, s8, 7
	s_sub_i32 s0, s0, s2
	s_cmp_lt_u32 s0, -7
	s_cselect_b64 s[0:1], -1, 0
	s_and_b32 s10, s8, -8
	s_cmp_lg_u32 s9, 0
	v_cndmask_b32_e64 v1, 0, 1, s[0:1]
	s_cselect_b64 s[2:3], -1, 0
	v_cmp_ne_u32_e64 s[0:1], 1, v1
	v_cndmask_b32_e64 v1, 0, 1, s[2:3]
	s_mov_b64 s[6:7], 0
	v_cmp_ne_u32_e64 s[2:3], 1, v1
	s_branch .LBB210_80
.LBB210_79:                             ;   in Loop: Header=BB210_80 Depth=1
	v_lshlrev_b64 v[6:7], 2, v[4:5]
	v_mov_b32_e32 v8, s43
	v_add_co_u32_e32 v6, vcc, s42, v6
	s_waitcnt lgkmcnt(1)
	v_add_u32_e32 v1, s38, v1
	v_addc_co_u32_e32 v7, vcc, v8, v7, vcc
	v_lshlrev_b64 v[4:5], 3, v[4:5]
	global_store_dword v[6:7], v1, off
	v_mov_b32_e32 v1, s37
	v_add_co_u32_e32 v4, vcc, s36, v4
	v_addc_co_u32_e32 v5, vcc, v1, v5, vcc
	v_add_u32_e32 v0, 0x400, v0
	v_cmp_le_i32_e32 vcc, s8, v0
	s_or_b64 s[6:7], vcc, s[6:7]
	s_waitcnt lgkmcnt(0)
	global_store_dwordx2 v[4:5], v[2:3], off
	s_andn2_b64 exec, exec, s[6:7]
	s_cbranch_execz .LBB210_87
.LBB210_80:                             ; =>This Loop Header: Depth=1
                                        ;     Child Loop BB210_82 Depth 2
                                        ;     Child Loop BB210_86 Depth 2
	v_lshlrev_b32_e32 v1, 2, v0
	v_add_u32_e32 v2, 0, v1
	v_add_u32_e32 v3, v2, v1
	ds_read_b32 v1, v2
	ds_read_b64 v[2:3], v3 offset:32768
	s_and_b64 vcc, exec, s[0:1]
	v_pk_mov_b32 v[4:5], s[4:5], s[4:5] op_sel:[0,1]
	s_mov_b32 s11, 0
	s_cbranch_vccnz .LBB210_84
; %bb.81:                               ;   in Loop: Header=BB210_80 Depth=1
	s_mov_b32 s12, 0
	v_pk_mov_b32 v[4:5], s[4:5], s[4:5] op_sel:[0,1]
.LBB210_82:                             ;   Parent Loop BB210_80 Depth=1
                                        ; =>  This Inner Loop Header: Depth=2
	v_mov_b32_e32 v12, s12
	ds_read2_b32 v[6:7], v12 offset1:1
	ds_read2_b32 v[8:9], v12 offset0:2 offset1:3
	ds_read2_b32 v[10:11], v12 offset0:4 offset1:5
	;; [unrolled: 1-line block ×3, first 2 shown]
	s_add_i32 s11, s11, 8
	s_waitcnt lgkmcnt(3)
	v_cmp_gt_i32_e32 vcc, v1, v6
	v_cndmask_b32_e64 v6, 0, 1, vcc
	v_cmp_gt_i32_e32 vcc, v1, v7
	v_cndmask_b32_e64 v7, 0, 1, vcc
	s_waitcnt lgkmcnt(2)
	v_cmp_gt_i32_e32 vcc, v1, v8
	v_cndmask_b32_e64 v8, 0, 1, vcc
	v_cmp_gt_i32_e32 vcc, v1, v9
	v_cndmask_b32_e64 v9, 0, 1, vcc
	;; [unrolled: 5-line block ×4, first 2 shown]
	v_add_co_u32_e32 v4, vcc, v4, v6
	v_addc_co_u32_e32 v5, vcc, 0, v5, vcc
	v_add_co_u32_e32 v4, vcc, v4, v7
	v_addc_co_u32_e32 v5, vcc, 0, v5, vcc
	v_add_co_u32_e32 v4, vcc, v4, v8
	v_addc_co_u32_e32 v5, vcc, 0, v5, vcc
	v_add_co_u32_e32 v4, vcc, v4, v9
	v_addc_co_u32_e32 v5, vcc, 0, v5, vcc
	v_add_co_u32_e32 v4, vcc, v4, v10
	v_addc_co_u32_e32 v5, vcc, 0, v5, vcc
	v_add_co_u32_e32 v4, vcc, v4, v11
	v_addc_co_u32_e32 v5, vcc, 0, v5, vcc
	v_add_co_u32_e32 v4, vcc, v4, v12
	v_addc_co_u32_e32 v5, vcc, 0, v5, vcc
	s_add_i32 s12, s12, 32
	v_add_co_u32_e32 v4, vcc, v4, v13
	s_cmp_eq_u32 s10, s11
	v_addc_co_u32_e32 v5, vcc, 0, v5, vcc
	s_cbranch_scc0 .LBB210_82
; %bb.83:                               ;   in Loop: Header=BB210_80 Depth=1
	s_mov_b32 s11, s10
.LBB210_84:                             ;   in Loop: Header=BB210_80 Depth=1
	s_and_b64 vcc, exec, s[2:3]
	s_cbranch_vccnz .LBB210_79
; %bb.85:                               ;   in Loop: Header=BB210_80 Depth=1
	s_lshl_b32 s11, s11, 2
	s_add_i32 s11, s11, 0
	s_mov_b32 s12, s9
.LBB210_86:                             ;   Parent Loop BB210_80 Depth=1
                                        ; =>  This Inner Loop Header: Depth=2
	v_mov_b32_e32 v6, s11
	ds_read_b32 v6, v6
	s_add_i32 s11, s11, 4
	s_add_i32 s12, s12, -1
	s_cmp_lg_u32 s12, 0
	s_waitcnt lgkmcnt(0)
	v_cmp_gt_i32_e32 vcc, v1, v6
	v_cndmask_b32_e64 v6, 0, 1, vcc
	v_add_co_u32_e32 v4, vcc, v4, v6
	v_addc_co_u32_e32 v5, vcc, 0, v5, vcc
	s_cbranch_scc1 .LBB210_86
	s_branch .LBB210_79
.LBB210_87:
	s_endpgm
	.section	.rodata,"a",@progbits
	.p2align	6, 0x0
	.amdhsa_kernel _ZN9rocsparseL26csrgemm_fill_block_per_rowILj1024ELj64ELj8192ELj137ELj64ElidEEvT5_PKS1_S3_NS_24const_host_device_scalarIT6_EEPKT4_S3_PKS5_S9_S3_SB_S6_S9_S3_SB_S9_PS1_PS5_21rocsparse_index_base_SE_SE_SE_bbb
		.amdhsa_group_segment_fixed_size 0
		.amdhsa_private_segment_fixed_size 0
		.amdhsa_kernarg_size 156
		.amdhsa_user_sgpr_count 6
		.amdhsa_user_sgpr_private_segment_buffer 1
		.amdhsa_user_sgpr_dispatch_ptr 0
		.amdhsa_user_sgpr_queue_ptr 0
		.amdhsa_user_sgpr_kernarg_segment_ptr 1
		.amdhsa_user_sgpr_dispatch_id 0
		.amdhsa_user_sgpr_flat_scratch_init 0
		.amdhsa_user_sgpr_kernarg_preload_length 0
		.amdhsa_user_sgpr_kernarg_preload_offset 0
		.amdhsa_user_sgpr_private_segment_size 0
		.amdhsa_uses_dynamic_stack 0
		.amdhsa_system_sgpr_private_segment_wavefront_offset 0
		.amdhsa_system_sgpr_workgroup_id_x 1
		.amdhsa_system_sgpr_workgroup_id_y 0
		.amdhsa_system_sgpr_workgroup_id_z 0
		.amdhsa_system_sgpr_workgroup_info 0
		.amdhsa_system_vgpr_workitem_id 0
		.amdhsa_next_free_vgpr 26
		.amdhsa_next_free_sgpr 63
		.amdhsa_accum_offset 28
		.amdhsa_reserve_vcc 1
		.amdhsa_reserve_flat_scratch 0
		.amdhsa_float_round_mode_32 0
		.amdhsa_float_round_mode_16_64 0
		.amdhsa_float_denorm_mode_32 3
		.amdhsa_float_denorm_mode_16_64 3
		.amdhsa_dx10_clamp 1
		.amdhsa_ieee_mode 1
		.amdhsa_fp16_overflow 0
		.amdhsa_tg_split 0
		.amdhsa_exception_fp_ieee_invalid_op 0
		.amdhsa_exception_fp_denorm_src 0
		.amdhsa_exception_fp_ieee_div_zero 0
		.amdhsa_exception_fp_ieee_overflow 0
		.amdhsa_exception_fp_ieee_underflow 0
		.amdhsa_exception_fp_ieee_inexact 0
		.amdhsa_exception_int_div_zero 0
	.end_amdhsa_kernel
	.section	.text._ZN9rocsparseL26csrgemm_fill_block_per_rowILj1024ELj64ELj8192ELj137ELj64ElidEEvT5_PKS1_S3_NS_24const_host_device_scalarIT6_EEPKT4_S3_PKS5_S9_S3_SB_S6_S9_S3_SB_S9_PS1_PS5_21rocsparse_index_base_SE_SE_SE_bbb,"axG",@progbits,_ZN9rocsparseL26csrgemm_fill_block_per_rowILj1024ELj64ELj8192ELj137ELj64ElidEEvT5_PKS1_S3_NS_24const_host_device_scalarIT6_EEPKT4_S3_PKS5_S9_S3_SB_S6_S9_S3_SB_S9_PS1_PS5_21rocsparse_index_base_SE_SE_SE_bbb,comdat
.Lfunc_end210:
	.size	_ZN9rocsparseL26csrgemm_fill_block_per_rowILj1024ELj64ELj8192ELj137ELj64ElidEEvT5_PKS1_S3_NS_24const_host_device_scalarIT6_EEPKT4_S3_PKS5_S9_S3_SB_S6_S9_S3_SB_S9_PS1_PS5_21rocsparse_index_base_SE_SE_SE_bbb, .Lfunc_end210-_ZN9rocsparseL26csrgemm_fill_block_per_rowILj1024ELj64ELj8192ELj137ELj64ElidEEvT5_PKS1_S3_NS_24const_host_device_scalarIT6_EEPKT4_S3_PKS5_S9_S3_SB_S6_S9_S3_SB_S9_PS1_PS5_21rocsparse_index_base_SE_SE_SE_bbb
                                        ; -- End function
	.section	.AMDGPU.csdata,"",@progbits
; Kernel info:
; codeLenInByte = 3404
; NumSgprs: 67
; NumVgprs: 26
; NumAgprs: 0
; TotalNumVgprs: 26
; ScratchSize: 0
; MemoryBound: 0
; FloatMode: 240
; IeeeMode: 1
; LDSByteSize: 0 bytes/workgroup (compile time only)
; SGPRBlocks: 8
; VGPRBlocks: 3
; NumSGPRsForWavesPerEU: 67
; NumVGPRsForWavesPerEU: 26
; AccumOffset: 28
; Occupancy: 8
; WaveLimiterHint : 1
; COMPUTE_PGM_RSRC2:SCRATCH_EN: 0
; COMPUTE_PGM_RSRC2:USER_SGPR: 6
; COMPUTE_PGM_RSRC2:TRAP_HANDLER: 0
; COMPUTE_PGM_RSRC2:TGID_X_EN: 1
; COMPUTE_PGM_RSRC2:TGID_Y_EN: 0
; COMPUTE_PGM_RSRC2:TGID_Z_EN: 0
; COMPUTE_PGM_RSRC2:TIDIG_COMP_CNT: 0
; COMPUTE_PGM_RSRC3_GFX90A:ACCUM_OFFSET: 6
; COMPUTE_PGM_RSRC3_GFX90A:TG_SPLIT: 0
	.section	.text._ZN9rocsparseL26csrgemm_fill_block_per_rowILj1024ELj64ELj16384ELj137ELj32ElidEEvT5_PKS1_S3_NS_24const_host_device_scalarIT6_EEPKT4_S3_PKS5_S9_S3_SB_S6_S9_S3_SB_S9_PS1_PS5_21rocsparse_index_base_SE_SE_SE_bbb,"axG",@progbits,_ZN9rocsparseL26csrgemm_fill_block_per_rowILj1024ELj64ELj16384ELj137ELj32ElidEEvT5_PKS1_S3_NS_24const_host_device_scalarIT6_EEPKT4_S3_PKS5_S9_S3_SB_S6_S9_S3_SB_S9_PS1_PS5_21rocsparse_index_base_SE_SE_SE_bbb,comdat
	.globl	_ZN9rocsparseL26csrgemm_fill_block_per_rowILj1024ELj64ELj16384ELj137ELj32ElidEEvT5_PKS1_S3_NS_24const_host_device_scalarIT6_EEPKT4_S3_PKS5_S9_S3_SB_S6_S9_S3_SB_S9_PS1_PS5_21rocsparse_index_base_SE_SE_SE_bbb ; -- Begin function _ZN9rocsparseL26csrgemm_fill_block_per_rowILj1024ELj64ELj16384ELj137ELj32ElidEEvT5_PKS1_S3_NS_24const_host_device_scalarIT6_EEPKT4_S3_PKS5_S9_S3_SB_S6_S9_S3_SB_S9_PS1_PS5_21rocsparse_index_base_SE_SE_SE_bbb
	.p2align	8
	.type	_ZN9rocsparseL26csrgemm_fill_block_per_rowILj1024ELj64ELj16384ELj137ELj32ElidEEvT5_PKS1_S3_NS_24const_host_device_scalarIT6_EEPKT4_S3_PKS5_S9_S3_SB_S6_S9_S3_SB_S9_PS1_PS5_21rocsparse_index_base_SE_SE_SE_bbb,@function
_ZN9rocsparseL26csrgemm_fill_block_per_rowILj1024ELj64ELj16384ELj137ELj32ElidEEvT5_PKS1_S3_NS_24const_host_device_scalarIT6_EEPKT4_S3_PKS5_S9_S3_SB_S6_S9_S3_SB_S9_PS1_PS5_21rocsparse_index_base_SE_SE_SE_bbb: ; @_ZN9rocsparseL26csrgemm_fill_block_per_rowILj1024ELj64ELj16384ELj137ELj32ElidEEvT5_PKS1_S3_NS_24const_host_device_scalarIT6_EEPKT4_S3_PKS5_S9_S3_SB_S6_S9_S3_SB_S9_PS1_PS5_21rocsparse_index_base_SE_SE_SE_bbb
; %bb.0:
	s_load_dword s7, s[4:5], 0x98
	s_load_dwordx4 s[68:71], s[4:5], 0x88
	s_load_dwordx2 s[0:1], s[4:5], 0x18
	s_load_dwordx2 s[24:25], s[4:5], 0x50
	s_waitcnt lgkmcnt(0)
	s_and_b32 s2, 1, s7
	s_bitcmp1_b32 s7, 16
	s_cselect_b64 s[26:27], -1, 0
	s_cmp_eq_u32 s2, 1
	s_cselect_b64 s[22:23], -1, 0
	s_and_b64 s[2:3], s[22:23], exec
	s_cselect_b32 s3, s1, 0
	s_cselect_b32 s2, s0, 0
	s_xor_b64 s[8:9], s[22:23], -1
	s_or_b64 s[8:9], s[8:9], s[26:27]
	s_and_b64 vcc, exec, s[8:9]
	v_pk_mov_b32 v[4:5], s[2:3], s[2:3] op_sel:[0,1]
	s_cbranch_vccnz .LBB211_2
; %bb.1:
	v_pk_mov_b32 v[2:3], s[0:1], s[0:1] op_sel:[0,1]
	flat_load_dwordx2 v[4:5], v[2:3]
.LBB211_2:
	s_load_dwordx4 s[0:3], s[4:5], 0x78
                                        ; implicit-def: $vgpr27 : SGPR spill to VGPR lane
	s_load_dwordx8 s[8:15], s[4:5], 0x58
	s_bitcmp1_b32 s7, 8
	s_cselect_b64 s[20:21], -1, 0
	s_and_b64 s[28:29], s[20:21], exec
	s_waitcnt lgkmcnt(0)
	v_writelane_b32 v27, s0, 0
	v_writelane_b32 v27, s1, 1
	;; [unrolled: 1-line block ×12, first 2 shown]
	s_load_dwordx4 s[0:3], s[4:5], 0x40
	s_load_dwordx4 s[16:19], s[4:5], 0x8
	s_load_dwordx8 s[8:15], s[4:5], 0x20
	s_cselect_b32 s29, s25, 0
	s_cselect_b32 s28, s24, 0
	s_xor_b64 s[30:31], s[20:21], -1
	s_or_b64 s[26:27], s[30:31], s[26:27]
	s_and_b64 vcc, exec, s[26:27]
	v_pk_mov_b32 v[2:3], s[28:29], s[28:29] op_sel:[0,1]
	s_cbranch_vccnz .LBB211_4
; %bb.3:
	v_pk_mov_b32 v[2:3], s[24:25], s[24:25] op_sel:[0,1]
	flat_load_dwordx2 v[2:3], v[2:3]
.LBB211_4:
	s_load_dword s33, s[4:5], 0x0
	v_lshl_add_u32 v7, v0, 3, 0
	v_or_b32_e32 v1, 0xfffffc00, v0
	v_mov_b32_e32 v6, 0
	v_add_u32_e32 v16, 0x10000, v7
	v_lshl_add_u32 v17, v0, 2, 0
	s_mov_b64 s[4:5], 0
	s_waitcnt lgkmcnt(0)
	v_mov_b32_e32 v8, s33
	v_mov_b32_e32 v7, v6
	s_movk_i32 s7, 0x3bff
	v_mov_b32_e32 v9, v17
	v_mov_b32_e32 v10, v16
	;; [unrolled: 1-line block ×3, first 2 shown]
.LBB211_5:                              ; =>This Inner Loop Header: Depth=1
	v_add_u32_e32 v11, 0x400, v11
	v_cmp_lt_u32_e32 vcc, s7, v11
	ds_write_b32 v9, v8
	ds_write_b64 v10, v[6:7]
	v_add_u32_e32 v10, 0x2000, v10
	s_or_b64 s[4:5], vcc, s[4:5]
	v_add_u32_e32 v9, 0x1000, v9
	s_andn2_b64 exec, exec, s[4:5]
	s_cbranch_execnz .LBB211_5
; %bb.6:
	s_or_b64 exec, exec, s[4:5]
	s_waitcnt lgkmcnt(0)
	s_barrier
	s_load_dword s4, s[16:17], 0x0
	s_mov_b32 s5, 0
	s_waitcnt lgkmcnt(0)
	s_add_i32 s4, s4, s6
	s_lshl_b64 s[4:5], s[4:5], 2
	s_add_u32 s4, s18, s4
	s_addc_u32 s5, s19, s5
	s_load_dword s4, s[4:5], 0x0
	s_and_b64 vcc, exec, s[22:23]
	s_waitcnt lgkmcnt(0)
	v_writelane_b32 v27, s4, 12
	v_writelane_b32 v27, s5, 13
	s_cbranch_vccz .LBB211_26
; %bb.7:
	v_readlane_b32 s4, v27, 12
	v_readlane_b32 s5, v27, 13
	s_mov_b32 s6, s4
	s_ashr_i32 s7, s4, 31
	v_writelane_b32 v27, s4, 12
	v_writelane_b32 v27, s5, 13
	s_lshl_b64 s[4:5], s[6:7], 3
	s_add_u32 s4, s8, s4
	s_addc_u32 s5, s9, s5
	s_load_dwordx4 s[16:19], s[4:5], 0x0
	v_lshrrev_b32_e32 v6, 6, v0
	v_subrev_co_u32_e32 v6, vcc, s68, v6
	v_subb_co_u32_e64 v7, s[6:7], 0, 0, vcc
	s_waitcnt lgkmcnt(0)
	s_sub_u32 s4, s18, s68
	v_mov_b32_e32 v8, s17
	v_add_co_u32_e32 v6, vcc, s16, v6
	s_subb_u32 s5, s19, 0
	v_addc_co_u32_e32 v7, vcc, v8, v7, vcc
	v_cmp_gt_i64_e32 vcc, s[4:5], v[6:7]
	s_and_saveexec_b64 s[6:7], vcc
	s_cbranch_execz .LBB211_25
; %bb.8:
	v_and_b32_e32 v8, 63, v0
	v_subrev_co_u32_e32 v18, vcc, s69, v8
	s_mov_b32 s16, 0
	v_subb_co_u32_e64 v19, s[8:9], 0, 0, vcc
	s_mov_b32 s36, s69
	s_mov_b64 s[8:9], 0
	v_mov_b32_e32 v20, s11
	v_mov_b32_e32 v21, s15
	;; [unrolled: 1-line block ×3, first 2 shown]
	s_movk_i32 s11, 0x89
	s_branch .LBB211_10
.LBB211_9:                              ;   in Loop: Header=BB211_10 Depth=1
	s_or_b64 exec, exec, s[16:17]
	v_add_co_u32_e32 v6, vcc, 16, v6
	v_addc_co_u32_e32 v7, vcc, 0, v7, vcc
	v_cmp_le_i64_e32 vcc, s[4:5], v[6:7]
	s_or_b64 s[8:9], vcc, s[8:9]
	s_andn2_b64 exec, exec, s[8:9]
	s_cbranch_execz .LBB211_25
.LBB211_10:                             ; =>This Loop Header: Depth=1
                                        ;     Child Loop BB211_13 Depth 2
                                        ;       Child Loop BB211_15 Depth 3
	v_lshlrev_b64 v[8:9], 2, v[6:7]
	v_add_co_u32_e32 v8, vcc, s10, v8
	v_addc_co_u32_e32 v9, vcc, v20, v9, vcc
	global_load_dword v8, v[8:9], off
	s_waitcnt vmcnt(0)
	v_subrev_u32_e32 v8, s68, v8
	v_ashrrev_i32_e32 v9, 31, v8
	v_lshlrev_b64 v[8:9], 3, v[8:9]
	v_add_co_u32_e32 v8, vcc, s14, v8
	v_addc_co_u32_e32 v9, vcc, v21, v9, vcc
	global_load_dwordx4 v[10:13], v[8:9], off
	s_waitcnt vmcnt(0)
	v_subrev_co_u32_e32 v8, vcc, s36, v12
	v_subb_co_u32_e32 v9, vcc, v13, v22, vcc
	v_add_co_u32_e32 v10, vcc, v10, v18
	v_addc_co_u32_e32 v11, vcc, v11, v19, vcc
	v_cmp_lt_i64_e32 vcc, v[10:11], v[8:9]
	s_and_saveexec_b64 s[16:17], vcc
	s_cbranch_execz .LBB211_9
; %bb.11:                               ;   in Loop: Header=BB211_10 Depth=1
	v_lshlrev_b64 v[12:13], 3, v[6:7]
	v_mov_b32_e32 v14, s13
	v_add_co_u32_e32 v12, vcc, s12, v12
	v_addc_co_u32_e32 v13, vcc, v14, v13, vcc
	global_load_dwordx2 v[12:13], v[12:13], off
	s_mov_b64 s[18:19], 0
	s_waitcnt vmcnt(0)
	v_mul_f64 v[12:13], v[4:5], v[12:13]
	s_branch .LBB211_13
.LBB211_12:                             ;   in Loop: Header=BB211_13 Depth=2
	s_or_b64 exec, exec, s[22:23]
	v_add_co_u32_e32 v10, vcc, 64, v10
	v_addc_co_u32_e32 v11, vcc, 0, v11, vcc
	v_cmp_ge_i64_e32 vcc, v[10:11], v[8:9]
	s_or_b64 s[18:19], vcc, s[18:19]
	s_andn2_b64 exec, exec, s[18:19]
	s_cbranch_execz .LBB211_9
.LBB211_13:                             ;   Parent Loop BB211_10 Depth=1
                                        ; =>  This Loop Header: Depth=2
                                        ;       Child Loop BB211_15 Depth 3
	v_lshlrev_b64 v[14:15], 2, v[10:11]
	v_mov_b32_e32 v23, s1
	v_add_co_u32_e32 v14, vcc, s0, v14
	v_addc_co_u32_e32 v15, vcc, v23, v15, vcc
	global_load_dword v23, v[14:15], off
	v_lshlrev_b64 v[14:15], 3, v[10:11]
	v_mov_b32_e32 v24, s3
	v_add_co_u32_e32 v14, vcc, s2, v14
	v_addc_co_u32_e32 v15, vcc, v24, v15, vcc
	global_load_dwordx2 v[14:15], v[14:15], off
	s_mov_b64 s[22:23], 0
	s_waitcnt vmcnt(1)
	v_subrev_u32_e32 v23, s69, v23
	v_mul_lo_u32 v24, v23, s11
	v_and_b32_e32 v24, 0x3fff, v24
	s_waitcnt vmcnt(0)
	v_mul_f64 v[14:15], v[12:13], v[14:15]
	s_branch .LBB211_15
.LBB211_14:                             ;   in Loop: Header=BB211_15 Depth=3
	s_or_b64 exec, exec, s[24:25]
	s_xor_b64 s[24:25], s[26:27], -1
	s_and_b64 s[24:25], exec, s[24:25]
	s_or_b64 s[22:23], s[24:25], s[22:23]
	s_andn2_b64 exec, exec, s[22:23]
	s_cbranch_execz .LBB211_12
.LBB211_15:                             ;   Parent Loop BB211_10 Depth=1
                                        ;     Parent Loop BB211_13 Depth=2
                                        ; =>    This Inner Loop Header: Depth=3
	v_lshl_add_u32 v25, v24, 2, 0
	ds_read_b32 v26, v25
                                        ; implicit-def: $sgpr26_sgpr27
	s_waitcnt lgkmcnt(0)
	v_cmp_ne_u32_e32 vcc, v26, v23
	s_and_saveexec_b64 s[24:25], vcc
	s_xor_b64 s[24:25], exec, s[24:25]
	s_cbranch_execz .LBB211_23
; %bb.16:                               ;   in Loop: Header=BB211_15 Depth=3
	v_cmp_ne_u32_e32 vcc, s33, v26
                                        ; implicit-def: $sgpr26_sgpr27
	s_and_saveexec_b64 s[28:29], vcc
	s_xor_b64 s[28:29], exec, s[28:29]
; %bb.17:                               ;   in Loop: Header=BB211_15 Depth=3
	v_add_u32_e32 v24, 1, v24
	v_and_b32_e32 v24, 0x3fff, v24
	s_mov_b64 s[26:27], -1
                                        ; implicit-def: $vgpr25
; %bb.18:                               ;   in Loop: Header=BB211_15 Depth=3
	s_andn2_saveexec_b64 s[28:29], s[28:29]
	s_cbranch_execz .LBB211_22
; %bb.19:                               ;   in Loop: Header=BB211_15 Depth=3
	v_mov_b32_e32 v26, s33
	ds_cmpst_rtn_b32 v25, v25, v26, v23
	s_mov_b64 s[30:31], -1
	s_waitcnt lgkmcnt(0)
	v_cmp_eq_u32_e32 vcc, s33, v25
	s_and_saveexec_b64 s[34:35], vcc
	s_cbranch_execz .LBB211_21
; %bb.20:                               ;   in Loop: Header=BB211_15 Depth=3
	v_lshl_add_u32 v25, v24, 3, 0
	v_add_u32_e32 v25, 0x10000, v25
	ds_add_f64 v25, v[14:15]
	s_xor_b64 s[30:31], exec, -1
.LBB211_21:                             ;   in Loop: Header=BB211_15 Depth=3
	s_or_b64 exec, exec, s[34:35]
	s_andn2_b64 s[26:27], s[26:27], exec
	s_and_b64 s[30:31], s[30:31], exec
	s_or_b64 s[26:27], s[26:27], s[30:31]
.LBB211_22:                             ;   in Loop: Header=BB211_15 Depth=3
	s_or_b64 exec, exec, s[28:29]
	s_and_b64 s[26:27], s[26:27], exec
.LBB211_23:                             ;   in Loop: Header=BB211_15 Depth=3
	s_andn2_saveexec_b64 s[24:25], s[24:25]
	s_cbranch_execz .LBB211_14
; %bb.24:                               ;   in Loop: Header=BB211_15 Depth=3
	v_lshl_add_u32 v25, v24, 3, 0
	v_add_u32_e32 v25, 0x10000, v25
	ds_add_f64 v25, v[14:15]
	s_andn2_b64 s[26:27], s[26:27], exec
	s_branch .LBB211_14
.LBB211_25:
	s_or_b64 exec, exec, s[6:7]
.LBB211_26:
	s_andn2_b64 vcc, exec, s[20:21]
	s_cbranch_vccnz .LBB211_43
; %bb.27:
	v_readlane_b32 s0, v27, 12
	v_readlane_b32 s1, v27, 13
	s_mov_b32 s2, s0
	s_ashr_i32 s3, s0, 31
	v_writelane_b32 v27, s0, 12
	v_writelane_b32 v27, s1, 13
	s_lshl_b64 s[0:1], s[2:3], 3
	v_readlane_b32 s4, v27, 4
	v_readlane_b32 s5, v27, 5
	s_add_u32 s0, s4, s0
	v_readlane_b32 s6, v27, 6
	v_readlane_b32 s7, v27, 7
	s_addc_u32 s1, s5, s1
	s_load_dwordx4 s[4:7], s[0:1], 0x0
	s_waitcnt vmcnt(0)
	v_subrev_co_u32_e32 v4, vcc, s71, v0
	v_subb_co_u32_e64 v5, s[0:1], 0, 0, vcc
	s_waitcnt lgkmcnt(0)
	s_sub_u32 s0, s6, s71
	v_mov_b32_e32 v6, s5
	v_add_co_u32_e32 v4, vcc, s4, v4
	s_subb_u32 s1, s7, 0
	v_addc_co_u32_e32 v5, vcc, v6, v5, vcc
	v_cmp_gt_i64_e32 vcc, s[0:1], v[4:5]
	v_readlane_b32 s8, v27, 8
	v_readlane_b32 s9, v27, 9
	;; [unrolled: 1-line block ×4, first 2 shown]
	s_and_saveexec_b64 s[2:3], vcc
	s_cbranch_execz .LBB211_42
; %bb.28:
	v_readlane_b32 s8, v27, 4
	v_readlane_b32 s9, v27, 5
	;; [unrolled: 1-line block ×8, first 2 shown]
	s_mov_b64 s[6:7], s[10:11]
	s_mov_b64 s[8:9], s[12:13]
	;; [unrolled: 1-line block ×3, first 2 shown]
	v_mov_b32_e32 v8, s7
	v_mov_b32_e32 v9, s9
	s_movk_i32 s18, 0x89
	s_mov_b64 s[10:11], s[14:15]
	s_branch .LBB211_30
.LBB211_29:                             ;   in Loop: Header=BB211_30 Depth=1
	s_or_b64 exec, exec, s[6:7]
	v_add_co_u32_e32 v4, vcc, 0x400, v4
	v_addc_co_u32_e32 v5, vcc, 0, v5, vcc
	v_cmp_le_i64_e32 vcc, s[0:1], v[4:5]
	s_or_b64 s[4:5], vcc, s[4:5]
	s_andn2_b64 exec, exec, s[4:5]
	s_cbranch_execz .LBB211_42
.LBB211_30:                             ; =>This Loop Header: Depth=1
                                        ;     Child Loop BB211_32 Depth 2
	v_readlane_b32 s8, v27, 4
	v_readlane_b32 s10, v27, 6
	v_lshlrev_b64 v[6:7], 2, v[4:5]
	s_mov_b32 s6, s10
	v_add_co_u32_e32 v6, vcc, s6, v6
	v_readlane_b32 s12, v27, 8
	v_addc_co_u32_e32 v7, vcc, v8, v7, vcc
	s_mov_b32 s8, s12
	global_load_dword v10, v[6:7], off
	v_lshlrev_b64 v[6:7], 3, v[4:5]
	v_add_co_u32_e32 v6, vcc, s8, v6
	v_addc_co_u32_e32 v7, vcc, v9, v7, vcc
	global_load_dwordx2 v[6:7], v[6:7], off
	s_mov_b64 s[6:7], 0
	v_readlane_b32 s9, v27, 5
	v_readlane_b32 s11, v27, 7
	;; [unrolled: 1-line block ×5, first 2 shown]
	s_waitcnt vmcnt(1)
	v_subrev_u32_e32 v10, s71, v10
	v_mul_lo_u32 v11, v10, s18
	v_and_b32_e32 v11, 0x3fff, v11
	s_waitcnt vmcnt(0)
	v_mul_f64 v[6:7], v[2:3], v[6:7]
	s_branch .LBB211_32
.LBB211_31:                             ;   in Loop: Header=BB211_32 Depth=2
	s_or_b64 exec, exec, s[8:9]
	s_xor_b64 s[8:9], s[10:11], -1
	s_and_b64 s[8:9], exec, s[8:9]
	s_or_b64 s[6:7], s[8:9], s[6:7]
	s_andn2_b64 exec, exec, s[6:7]
	s_cbranch_execz .LBB211_29
.LBB211_32:                             ;   Parent Loop BB211_30 Depth=1
                                        ; =>  This Inner Loop Header: Depth=2
	v_lshl_add_u32 v12, v11, 2, 0
	ds_read_b32 v13, v12
                                        ; implicit-def: $sgpr10_sgpr11
	s_waitcnt lgkmcnt(0)
	v_cmp_ne_u32_e32 vcc, v13, v10
	s_and_saveexec_b64 s[8:9], vcc
	s_xor_b64 s[8:9], exec, s[8:9]
	s_cbranch_execz .LBB211_40
; %bb.33:                               ;   in Loop: Header=BB211_32 Depth=2
	v_cmp_ne_u32_e32 vcc, s33, v13
                                        ; implicit-def: $sgpr10_sgpr11
	s_and_saveexec_b64 s[12:13], vcc
	s_xor_b64 s[12:13], exec, s[12:13]
; %bb.34:                               ;   in Loop: Header=BB211_32 Depth=2
	v_add_u32_e32 v11, 1, v11
	v_and_b32_e32 v11, 0x3fff, v11
	s_mov_b64 s[10:11], -1
                                        ; implicit-def: $vgpr12
; %bb.35:                               ;   in Loop: Header=BB211_32 Depth=2
	s_andn2_saveexec_b64 s[12:13], s[12:13]
	s_cbranch_execz .LBB211_39
; %bb.36:                               ;   in Loop: Header=BB211_32 Depth=2
	v_mov_b32_e32 v13, s33
	ds_cmpst_rtn_b32 v12, v12, v13, v10
	s_mov_b64 s[14:15], -1
	s_waitcnt lgkmcnt(0)
	v_cmp_eq_u32_e32 vcc, s33, v12
	s_and_saveexec_b64 s[16:17], vcc
	s_cbranch_execz .LBB211_38
; %bb.37:                               ;   in Loop: Header=BB211_32 Depth=2
	v_lshl_add_u32 v12, v11, 3, 0
	v_add_u32_e32 v12, 0x10000, v12
	ds_add_f64 v12, v[6:7]
	s_xor_b64 s[14:15], exec, -1
.LBB211_38:                             ;   in Loop: Header=BB211_32 Depth=2
	s_or_b64 exec, exec, s[16:17]
	s_andn2_b64 s[10:11], s[10:11], exec
	s_and_b64 s[14:15], s[14:15], exec
	s_or_b64 s[10:11], s[10:11], s[14:15]
.LBB211_39:                             ;   in Loop: Header=BB211_32 Depth=2
	s_or_b64 exec, exec, s[12:13]
	s_and_b64 s[10:11], s[10:11], exec
.LBB211_40:                             ;   in Loop: Header=BB211_32 Depth=2
	s_andn2_saveexec_b64 s[8:9], s[8:9]
	s_cbranch_execz .LBB211_31
; %bb.41:                               ;   in Loop: Header=BB211_32 Depth=2
	v_lshl_add_u32 v12, v11, 3, 0
	v_add_u32_e32 v12, 0x10000, v12
	ds_add_f64 v12, v[6:7]
	s_andn2_b64 s[10:11], s[10:11], exec
	s_branch .LBB211_31
.LBB211_42:
	s_or_b64 exec, exec, s[2:3]
.LBB211_43:
	s_add_i32 s0, 0, 0x30000
	v_writelane_b32 v27, s0, 14
	s_add_i32 s60, 0, 0x30004
	v_writelane_b32 v27, s60, 15
	;; [unrolled: 2-line block ×5, first 2 shown]
	s_add_i32 s60, 0, 0x30014
	s_waitcnt vmcnt(0)
	v_lshrrev_b32_e32 v4, 3, v0
	v_writelane_b32 v27, s60, 19
	s_add_i32 s60, 0, 0x30018
	v_mbcnt_lo_u32_b32 v2, -1, 0
	v_and_b32_e32 v4, 0x7c, v4
	v_writelane_b32 v27, s60, 20
	s_add_i32 s60, 0, 0x3001c
	v_mbcnt_hi_u32_b32 v2, -1, v2
	v_add_u32_e32 v7, s0, v4
	s_movk_i32 s0, 0x3ff
	v_writelane_b32 v27, s60, 21
	s_add_i32 s60, 0, 0x30020
	v_sub_u32_e32 v2, 63, v2
	v_cmp_eq_u32_e32 vcc, s0, v0
	s_movk_i32 s0, 0x5f
	s_movk_i32 s2, 0x7f
	;; [unrolled: 1-line block ×29, first 2 shown]
	v_writelane_b32 v27, s60, 22
	s_add_i32 s60, 0, 0x30024
	v_mov_b32_e32 v6, 0
	v_lshrrev_b64 v[2:3], v2, -1
	v_cmp_lt_u32_e64 s[0:1], s0, v0
	v_cmp_lt_u32_e64 s[2:3], s2, v0
	;; [unrolled: 1-line block ×29, first 2 shown]
	v_writelane_b32 v27, s60, 23
	s_add_i32 s88, 0, 0x30028
	s_add_i32 s89, 0, 0x3002c
	;; [unrolled: 1-line block ×22, first 2 shown]
	s_movk_i32 s85, 0x3bff
	v_cmp_lt_u32_e64 s[60:61], 31, v0
	v_cmp_lt_u32_e64 s[62:63], 63, v0
	s_mov_b64 s[68:69], 0
	s_waitcnt lgkmcnt(0)
	s_barrier
	s_branch .LBB211_45
.LBB211_44:                             ;   in Loop: Header=BB211_45 Depth=1
	s_or_b64 exec, exec, s[64:65]
	v_mov_b32_e32 v4, s84
	s_waitcnt lgkmcnt(0)
	s_barrier
	ds_read_b32 v4, v4
	v_add_u32_e32 v1, 0x400, v1
	v_cmp_lt_u32_e64 s[64:65], s85, v1
	v_add_u32_e32 v16, 0x2000, v16
	s_or_b64 s[68:69], s[64:65], s[68:69]
	s_waitcnt lgkmcnt(0)
	v_add_u32_e32 v6, v4, v6
	v_add_u32_e32 v17, 0x1000, v17
	s_andn2_b64 exec, exec, s[68:69]
	s_cbranch_execz .LBB211_111
.LBB211_45:                             ; =>This Inner Loop Header: Depth=1
	ds_read_b32 v8, v17
	ds_read_b64 v[4:5], v16
	s_waitcnt lgkmcnt(0)
	s_barrier
	v_cmp_gt_i32_e64 s[64:65], s33, v8
	v_and_b32_e32 v10, s64, v2
	s_bcnt1_i32_b64 s78, s[64:65]
	v_and_b32_e32 v9, s65, v3
	v_bcnt_u32_b32 v10, v10, 0
	v_bcnt_u32_b32 v9, v9, v10
	v_mov_b32_e32 v10, s78
	ds_write_b32 v7, v10
	s_waitcnt lgkmcnt(0)
	s_barrier
	s_and_saveexec_b64 s[78:79], s[60:61]
	s_cbranch_execnz .LBB211_78
; %bb.46:                               ;   in Loop: Header=BB211_45 Depth=1
	s_or_b64 exec, exec, s[78:79]
	s_and_saveexec_b64 s[78:79], s[62:63]
	s_cbranch_execnz .LBB211_79
.LBB211_47:                             ;   in Loop: Header=BB211_45 Depth=1
	s_or_b64 exec, exec, s[78:79]
	s_and_saveexec_b64 s[78:79], s[0:1]
	s_cbranch_execnz .LBB211_80
.LBB211_48:                             ;   in Loop: Header=BB211_45 Depth=1
	s_or_b64 exec, exec, s[78:79]
	s_and_saveexec_b64 s[78:79], s[2:3]
	s_cbranch_execnz .LBB211_81
.LBB211_49:                             ;   in Loop: Header=BB211_45 Depth=1
	s_or_b64 exec, exec, s[78:79]
	s_and_saveexec_b64 s[78:79], s[4:5]
	s_cbranch_execnz .LBB211_82
.LBB211_50:                             ;   in Loop: Header=BB211_45 Depth=1
	s_or_b64 exec, exec, s[78:79]
	s_and_saveexec_b64 s[78:79], s[6:7]
	s_cbranch_execnz .LBB211_83
.LBB211_51:                             ;   in Loop: Header=BB211_45 Depth=1
	s_or_b64 exec, exec, s[78:79]
	s_and_saveexec_b64 s[78:79], s[8:9]
	s_cbranch_execnz .LBB211_84
.LBB211_52:                             ;   in Loop: Header=BB211_45 Depth=1
	s_or_b64 exec, exec, s[78:79]
	s_and_saveexec_b64 s[78:79], s[10:11]
	s_cbranch_execnz .LBB211_85
.LBB211_53:                             ;   in Loop: Header=BB211_45 Depth=1
	s_or_b64 exec, exec, s[78:79]
	s_and_saveexec_b64 s[78:79], s[12:13]
	s_cbranch_execnz .LBB211_86
.LBB211_54:                             ;   in Loop: Header=BB211_45 Depth=1
	s_or_b64 exec, exec, s[78:79]
	s_and_saveexec_b64 s[78:79], s[14:15]
	s_cbranch_execnz .LBB211_87
.LBB211_55:                             ;   in Loop: Header=BB211_45 Depth=1
	s_or_b64 exec, exec, s[78:79]
	s_and_saveexec_b64 s[78:79], s[16:17]
	s_cbranch_execnz .LBB211_88
.LBB211_56:                             ;   in Loop: Header=BB211_45 Depth=1
	s_or_b64 exec, exec, s[78:79]
	s_and_saveexec_b64 s[78:79], s[18:19]
	s_cbranch_execnz .LBB211_89
.LBB211_57:                             ;   in Loop: Header=BB211_45 Depth=1
	s_or_b64 exec, exec, s[78:79]
	s_and_saveexec_b64 s[78:79], s[20:21]
	s_cbranch_execnz .LBB211_90
.LBB211_58:                             ;   in Loop: Header=BB211_45 Depth=1
	s_or_b64 exec, exec, s[78:79]
	s_and_saveexec_b64 s[78:79], s[22:23]
	s_cbranch_execnz .LBB211_91
.LBB211_59:                             ;   in Loop: Header=BB211_45 Depth=1
	s_or_b64 exec, exec, s[78:79]
	s_and_saveexec_b64 s[78:79], s[24:25]
	s_cbranch_execnz .LBB211_92
.LBB211_60:                             ;   in Loop: Header=BB211_45 Depth=1
	s_or_b64 exec, exec, s[78:79]
	s_and_saveexec_b64 s[78:79], s[26:27]
	s_cbranch_execnz .LBB211_93
.LBB211_61:                             ;   in Loop: Header=BB211_45 Depth=1
	s_or_b64 exec, exec, s[78:79]
	s_and_saveexec_b64 s[78:79], s[28:29]
	s_cbranch_execnz .LBB211_94
.LBB211_62:                             ;   in Loop: Header=BB211_45 Depth=1
	s_or_b64 exec, exec, s[78:79]
	s_and_saveexec_b64 s[78:79], s[30:31]
	s_cbranch_execnz .LBB211_95
.LBB211_63:                             ;   in Loop: Header=BB211_45 Depth=1
	s_or_b64 exec, exec, s[78:79]
	s_and_saveexec_b64 s[78:79], s[34:35]
	s_cbranch_execnz .LBB211_96
.LBB211_64:                             ;   in Loop: Header=BB211_45 Depth=1
	s_or_b64 exec, exec, s[78:79]
	s_and_saveexec_b64 s[78:79], s[36:37]
	s_cbranch_execnz .LBB211_97
.LBB211_65:                             ;   in Loop: Header=BB211_45 Depth=1
	s_or_b64 exec, exec, s[78:79]
	s_and_saveexec_b64 s[78:79], s[38:39]
	s_cbranch_execnz .LBB211_98
.LBB211_66:                             ;   in Loop: Header=BB211_45 Depth=1
	s_or_b64 exec, exec, s[78:79]
	s_and_saveexec_b64 s[78:79], s[40:41]
	s_cbranch_execnz .LBB211_99
.LBB211_67:                             ;   in Loop: Header=BB211_45 Depth=1
	s_or_b64 exec, exec, s[78:79]
	s_and_saveexec_b64 s[78:79], s[42:43]
	s_cbranch_execnz .LBB211_100
.LBB211_68:                             ;   in Loop: Header=BB211_45 Depth=1
	s_or_b64 exec, exec, s[78:79]
	s_and_saveexec_b64 s[78:79], s[44:45]
	s_cbranch_execnz .LBB211_101
.LBB211_69:                             ;   in Loop: Header=BB211_45 Depth=1
	s_or_b64 exec, exec, s[78:79]
	s_and_saveexec_b64 s[78:79], s[46:47]
	s_cbranch_execnz .LBB211_102
.LBB211_70:                             ;   in Loop: Header=BB211_45 Depth=1
	s_or_b64 exec, exec, s[78:79]
	s_and_saveexec_b64 s[78:79], s[48:49]
	s_cbranch_execnz .LBB211_103
.LBB211_71:                             ;   in Loop: Header=BB211_45 Depth=1
	s_or_b64 exec, exec, s[78:79]
	s_and_saveexec_b64 s[78:79], s[50:51]
	s_cbranch_execnz .LBB211_104
.LBB211_72:                             ;   in Loop: Header=BB211_45 Depth=1
	s_or_b64 exec, exec, s[78:79]
	s_and_saveexec_b64 s[78:79], s[52:53]
	s_cbranch_execnz .LBB211_105
.LBB211_73:                             ;   in Loop: Header=BB211_45 Depth=1
	s_or_b64 exec, exec, s[78:79]
	s_and_saveexec_b64 s[78:79], s[54:55]
	s_cbranch_execnz .LBB211_106
.LBB211_74:                             ;   in Loop: Header=BB211_45 Depth=1
	s_or_b64 exec, exec, s[78:79]
	s_and_saveexec_b64 s[78:79], s[56:57]
	s_cbranch_execnz .LBB211_107
.LBB211_75:                             ;   in Loop: Header=BB211_45 Depth=1
	s_or_b64 exec, exec, s[78:79]
	s_and_saveexec_b64 s[78:79], s[58:59]
	s_cbranch_execnz .LBB211_108
.LBB211_76:                             ;   in Loop: Header=BB211_45 Depth=1
	s_or_b64 exec, exec, s[78:79]
	s_and_saveexec_b64 s[78:79], s[64:65]
	s_cbranch_execnz .LBB211_109
.LBB211_77:                             ;   in Loop: Header=BB211_45 Depth=1
	s_or_b64 exec, exec, s[78:79]
	s_and_saveexec_b64 s[64:65], vcc
	s_cbranch_execz .LBB211_44
	s_branch .LBB211_110
.LBB211_78:                             ;   in Loop: Header=BB211_45 Depth=1
	v_readlane_b32 s86, v27, 14
	v_mov_b32_e32 v10, s86
	ds_read_b32 v10, v10
	s_waitcnt lgkmcnt(0)
	v_add_u32_e32 v9, v10, v9
	s_or_b64 exec, exec, s[78:79]
	s_and_saveexec_b64 s[78:79], s[62:63]
	s_cbranch_execz .LBB211_47
.LBB211_79:                             ;   in Loop: Header=BB211_45 Depth=1
	v_readlane_b32 s86, v27, 15
	v_mov_b32_e32 v10, s86
	ds_read_b32 v10, v10
	s_waitcnt lgkmcnt(0)
	v_add_u32_e32 v9, v10, v9
	s_or_b64 exec, exec, s[78:79]
	s_and_saveexec_b64 s[78:79], s[0:1]
	s_cbranch_execz .LBB211_48
.LBB211_80:                             ;   in Loop: Header=BB211_45 Depth=1
	v_readlane_b32 s86, v27, 16
	v_mov_b32_e32 v10, s86
	ds_read_b32 v10, v10
	s_waitcnt lgkmcnt(0)
	v_add_u32_e32 v9, v10, v9
	s_or_b64 exec, exec, s[78:79]
	s_and_saveexec_b64 s[78:79], s[2:3]
	s_cbranch_execz .LBB211_49
.LBB211_81:                             ;   in Loop: Header=BB211_45 Depth=1
	v_readlane_b32 s86, v27, 17
	v_mov_b32_e32 v10, s86
	ds_read_b32 v10, v10
	s_waitcnt lgkmcnt(0)
	v_add_u32_e32 v9, v10, v9
	s_or_b64 exec, exec, s[78:79]
	s_and_saveexec_b64 s[78:79], s[4:5]
	s_cbranch_execz .LBB211_50
.LBB211_82:                             ;   in Loop: Header=BB211_45 Depth=1
	v_readlane_b32 s86, v27, 18
	v_mov_b32_e32 v10, s86
	ds_read_b32 v10, v10
	s_waitcnt lgkmcnt(0)
	v_add_u32_e32 v9, v10, v9
	s_or_b64 exec, exec, s[78:79]
	s_and_saveexec_b64 s[78:79], s[6:7]
	s_cbranch_execz .LBB211_51
.LBB211_83:                             ;   in Loop: Header=BB211_45 Depth=1
	v_readlane_b32 s86, v27, 19
	v_mov_b32_e32 v10, s86
	ds_read_b32 v10, v10
	s_waitcnt lgkmcnt(0)
	v_add_u32_e32 v9, v10, v9
	s_or_b64 exec, exec, s[78:79]
	s_and_saveexec_b64 s[78:79], s[8:9]
	s_cbranch_execz .LBB211_52
.LBB211_84:                             ;   in Loop: Header=BB211_45 Depth=1
	v_readlane_b32 s86, v27, 20
	v_mov_b32_e32 v10, s86
	ds_read_b32 v10, v10
	s_waitcnt lgkmcnt(0)
	v_add_u32_e32 v9, v10, v9
	s_or_b64 exec, exec, s[78:79]
	s_and_saveexec_b64 s[78:79], s[10:11]
	s_cbranch_execz .LBB211_53
.LBB211_85:                             ;   in Loop: Header=BB211_45 Depth=1
	v_readlane_b32 s86, v27, 21
	v_mov_b32_e32 v10, s86
	ds_read_b32 v10, v10
	s_waitcnt lgkmcnt(0)
	v_add_u32_e32 v9, v10, v9
	s_or_b64 exec, exec, s[78:79]
	s_and_saveexec_b64 s[78:79], s[12:13]
	s_cbranch_execz .LBB211_54
.LBB211_86:                             ;   in Loop: Header=BB211_45 Depth=1
	v_readlane_b32 s86, v27, 22
	v_mov_b32_e32 v10, s86
	ds_read_b32 v10, v10
	s_waitcnt lgkmcnt(0)
	v_add_u32_e32 v9, v10, v9
	s_or_b64 exec, exec, s[78:79]
	s_and_saveexec_b64 s[78:79], s[14:15]
	s_cbranch_execz .LBB211_55
.LBB211_87:                             ;   in Loop: Header=BB211_45 Depth=1
	v_readlane_b32 s86, v27, 23
	v_mov_b32_e32 v10, s86
	ds_read_b32 v10, v10
	s_waitcnt lgkmcnt(0)
	v_add_u32_e32 v9, v10, v9
	s_or_b64 exec, exec, s[78:79]
	s_and_saveexec_b64 s[78:79], s[16:17]
	s_cbranch_execz .LBB211_56
.LBB211_88:                             ;   in Loop: Header=BB211_45 Depth=1
	v_mov_b32_e32 v10, s88
	ds_read_b32 v10, v10
	s_waitcnt lgkmcnt(0)
	v_add_u32_e32 v9, v10, v9
	s_or_b64 exec, exec, s[78:79]
	s_and_saveexec_b64 s[78:79], s[18:19]
	s_cbranch_execz .LBB211_57
.LBB211_89:                             ;   in Loop: Header=BB211_45 Depth=1
	v_mov_b32_e32 v10, s89
	ds_read_b32 v10, v10
	s_waitcnt lgkmcnt(0)
	v_add_u32_e32 v9, v10, v9
	s_or_b64 exec, exec, s[78:79]
	s_and_saveexec_b64 s[78:79], s[20:21]
	s_cbranch_execz .LBB211_58
.LBB211_90:                             ;   in Loop: Header=BB211_45 Depth=1
	v_mov_b32_e32 v10, s90
	ds_read_b32 v10, v10
	s_waitcnt lgkmcnt(0)
	v_add_u32_e32 v9, v10, v9
	s_or_b64 exec, exec, s[78:79]
	s_and_saveexec_b64 s[78:79], s[22:23]
	s_cbranch_execz .LBB211_59
.LBB211_91:                             ;   in Loop: Header=BB211_45 Depth=1
	v_mov_b32_e32 v10, s91
	ds_read_b32 v10, v10
	s_waitcnt lgkmcnt(0)
	v_add_u32_e32 v9, v10, v9
	s_or_b64 exec, exec, s[78:79]
	s_and_saveexec_b64 s[78:79], s[24:25]
	s_cbranch_execz .LBB211_60
.LBB211_92:                             ;   in Loop: Header=BB211_45 Depth=1
	v_mov_b32_e32 v10, s92
	ds_read_b32 v10, v10
	s_waitcnt lgkmcnt(0)
	v_add_u32_e32 v9, v10, v9
	s_or_b64 exec, exec, s[78:79]
	s_and_saveexec_b64 s[78:79], s[26:27]
	s_cbranch_execz .LBB211_61
.LBB211_93:                             ;   in Loop: Header=BB211_45 Depth=1
	v_mov_b32_e32 v10, s93
	ds_read_b32 v10, v10
	s_waitcnt lgkmcnt(0)
	v_add_u32_e32 v9, v10, v9
	s_or_b64 exec, exec, s[78:79]
	s_and_saveexec_b64 s[78:79], s[28:29]
	s_cbranch_execz .LBB211_62
.LBB211_94:                             ;   in Loop: Header=BB211_45 Depth=1
	v_mov_b32_e32 v10, s94
	ds_read_b32 v10, v10
	s_waitcnt lgkmcnt(0)
	v_add_u32_e32 v9, v10, v9
	s_or_b64 exec, exec, s[78:79]
	s_and_saveexec_b64 s[78:79], s[30:31]
	s_cbranch_execz .LBB211_63
.LBB211_95:                             ;   in Loop: Header=BB211_45 Depth=1
	v_mov_b32_e32 v10, s95
	ds_read_b32 v10, v10
	s_waitcnt lgkmcnt(0)
	v_add_u32_e32 v9, v10, v9
	s_or_b64 exec, exec, s[78:79]
	s_and_saveexec_b64 s[78:79], s[34:35]
	s_cbranch_execz .LBB211_64
.LBB211_96:                             ;   in Loop: Header=BB211_45 Depth=1
	v_mov_b32_e32 v10, s76
	ds_read_b32 v10, v10
	s_waitcnt lgkmcnt(0)
	v_add_u32_e32 v9, v10, v9
	s_or_b64 exec, exec, s[78:79]
	s_and_saveexec_b64 s[78:79], s[36:37]
	s_cbranch_execz .LBB211_65
.LBB211_97:                             ;   in Loop: Header=BB211_45 Depth=1
	v_mov_b32_e32 v10, s66
	ds_read_b32 v10, v10
	s_waitcnt lgkmcnt(0)
	v_add_u32_e32 v9, v10, v9
	s_or_b64 exec, exec, s[78:79]
	s_and_saveexec_b64 s[78:79], s[38:39]
	s_cbranch_execz .LBB211_66
.LBB211_98:                             ;   in Loop: Header=BB211_45 Depth=1
	v_mov_b32_e32 v10, s67
	ds_read_b32 v10, v10
	s_waitcnt lgkmcnt(0)
	v_add_u32_e32 v9, v10, v9
	s_or_b64 exec, exec, s[78:79]
	s_and_saveexec_b64 s[78:79], s[40:41]
	s_cbranch_execz .LBB211_67
.LBB211_99:                             ;   in Loop: Header=BB211_45 Depth=1
	v_mov_b32_e32 v10, s72
	ds_read_b32 v10, v10
	s_waitcnt lgkmcnt(0)
	v_add_u32_e32 v9, v10, v9
	s_or_b64 exec, exec, s[78:79]
	s_and_saveexec_b64 s[78:79], s[42:43]
	s_cbranch_execz .LBB211_68
.LBB211_100:                            ;   in Loop: Header=BB211_45 Depth=1
	v_mov_b32_e32 v10, s73
	ds_read_b32 v10, v10
	s_waitcnt lgkmcnt(0)
	v_add_u32_e32 v9, v10, v9
	s_or_b64 exec, exec, s[78:79]
	s_and_saveexec_b64 s[78:79], s[44:45]
	s_cbranch_execz .LBB211_69
.LBB211_101:                            ;   in Loop: Header=BB211_45 Depth=1
	v_mov_b32_e32 v10, s74
	ds_read_b32 v10, v10
	s_waitcnt lgkmcnt(0)
	v_add_u32_e32 v9, v10, v9
	s_or_b64 exec, exec, s[78:79]
	s_and_saveexec_b64 s[78:79], s[46:47]
	s_cbranch_execz .LBB211_70
.LBB211_102:                            ;   in Loop: Header=BB211_45 Depth=1
	v_mov_b32_e32 v10, s75
	ds_read_b32 v10, v10
	s_waitcnt lgkmcnt(0)
	v_add_u32_e32 v9, v10, v9
	s_or_b64 exec, exec, s[78:79]
	s_and_saveexec_b64 s[78:79], s[48:49]
	s_cbranch_execz .LBB211_71
.LBB211_103:                            ;   in Loop: Header=BB211_45 Depth=1
	v_mov_b32_e32 v10, s71
	ds_read_b32 v10, v10
	s_waitcnt lgkmcnt(0)
	v_add_u32_e32 v9, v10, v9
	s_or_b64 exec, exec, s[78:79]
	s_and_saveexec_b64 s[78:79], s[50:51]
	s_cbranch_execz .LBB211_72
.LBB211_104:                            ;   in Loop: Header=BB211_45 Depth=1
	v_mov_b32_e32 v10, s77
	ds_read_b32 v10, v10
	s_waitcnt lgkmcnt(0)
	v_add_u32_e32 v9, v10, v9
	s_or_b64 exec, exec, s[78:79]
	s_and_saveexec_b64 s[78:79], s[52:53]
	s_cbranch_execz .LBB211_73
.LBB211_105:                            ;   in Loop: Header=BB211_45 Depth=1
	v_mov_b32_e32 v10, s80
	ds_read_b32 v10, v10
	s_waitcnt lgkmcnt(0)
	v_add_u32_e32 v9, v10, v9
	s_or_b64 exec, exec, s[78:79]
	s_and_saveexec_b64 s[78:79], s[54:55]
	s_cbranch_execz .LBB211_74
.LBB211_106:                            ;   in Loop: Header=BB211_45 Depth=1
	v_mov_b32_e32 v10, s81
	ds_read_b32 v10, v10
	s_waitcnt lgkmcnt(0)
	v_add_u32_e32 v9, v10, v9
	s_or_b64 exec, exec, s[78:79]
	s_and_saveexec_b64 s[78:79], s[56:57]
	s_cbranch_execz .LBB211_75
.LBB211_107:                            ;   in Loop: Header=BB211_45 Depth=1
	v_mov_b32_e32 v10, s82
	ds_read_b32 v10, v10
	s_waitcnt lgkmcnt(0)
	v_add_u32_e32 v9, v10, v9
	s_or_b64 exec, exec, s[78:79]
	s_and_saveexec_b64 s[78:79], s[58:59]
	s_cbranch_execz .LBB211_76
.LBB211_108:                            ;   in Loop: Header=BB211_45 Depth=1
	v_mov_b32_e32 v10, s83
	ds_read_b32 v10, v10
	s_waitcnt lgkmcnt(0)
	v_add_u32_e32 v9, v10, v9
	s_or_b64 exec, exec, s[78:79]
	s_and_saveexec_b64 s[78:79], s[64:65]
	s_cbranch_execz .LBB211_77
.LBB211_109:                            ;   in Loop: Header=BB211_45 Depth=1
	v_add3_u32 v10, v6, -1, v9
	v_lshl_add_u32 v11, v10, 2, 0
	v_lshl_add_u32 v10, v10, 3, 0
	v_add_u32_e32 v10, 0x10000, v10
	ds_write_b32 v11, v8
	ds_write_b64 v10, v[4:5]
	s_or_b64 exec, exec, s[78:79]
	s_and_saveexec_b64 s[64:65], vcc
	s_cbranch_execz .LBB211_44
.LBB211_110:                            ;   in Loop: Header=BB211_45 Depth=1
	v_mov_b32_e32 v4, s84
	ds_write_b32 v4, v9
	s_branch .LBB211_44
.LBB211_111:
	s_or_b64 exec, exec, s[68:69]
	v_readlane_b32 s0, v27, 12
	v_readlane_b32 s1, v27, 13
	;; [unrolled: 1-line block ×3, first 2 shown]
	s_ashr_i32 s1, s0, 31
	v_readlane_b32 s6, v27, 6
	v_readlane_b32 s7, v27, 7
	v_readlane_b32 s10, v27, 10
	v_readlane_b32 s11, v27, 11
	s_lshl_b64 s[0:1], s[0:1], 3
	s_mov_b64 s[6:7], s[10:11]
	s_add_u32 s0, s6, s0
	s_addc_u32 s1, s7, s1
	s_load_dwordx4 s[0:3], s[0:1], 0x0
	v_readlane_b32 s8, v27, 8
	v_readlane_b32 s5, v27, 5
	;; [unrolled: 1-line block ×3, first 2 shown]
	s_waitcnt lgkmcnt(0)
	s_sub_i32 s8, s2, s0
	v_cmp_gt_i32_e32 vcc, s8, v0
	s_and_saveexec_b64 s[4:5], vcc
	s_cbranch_execz .LBB211_121
; %bb.112:
	s_sub_u32 s4, s0, s70
	s_subb_u32 s5, s1, 0
	s_and_b32 s9, s8, 7
	s_sub_i32 s0, s0, s2
	s_cmp_lt_u32 s0, -7
	s_cselect_b64 s[0:1], -1, 0
	s_and_b32 s10, s8, -8
	s_cmp_lg_u32 s9, 0
	v_cndmask_b32_e64 v1, 0, 1, s[0:1]
	s_cselect_b64 s[2:3], -1, 0
	v_cmp_ne_u32_e64 s[0:1], 1, v1
	v_cndmask_b32_e64 v1, 0, 1, s[2:3]
	s_mov_b64 s[6:7], 0
	v_cmp_ne_u32_e64 s[2:3], 1, v1
	s_branch .LBB211_114
.LBB211_113:                            ;   in Loop: Header=BB211_114 Depth=1
	v_readlane_b32 s12, v27, 0
	v_lshlrev_b64 v[6:7], 2, v[4:5]
	v_readlane_b32 s13, v27, 1
	v_mov_b32_e32 v8, s13
	v_add_co_u32_e32 v6, vcc, s12, v6
	s_waitcnt lgkmcnt(1)
	v_add_u32_e32 v1, s70, v1
	v_readlane_b32 s14, v27, 2
	v_readlane_b32 s15, v27, 3
	v_addc_co_u32_e32 v7, vcc, v8, v7, vcc
	v_lshlrev_b64 v[4:5], 3, v[4:5]
	global_store_dword v[6:7], v1, off
	v_mov_b32_e32 v1, s15
	v_add_co_u32_e32 v4, vcc, s14, v4
	v_addc_co_u32_e32 v5, vcc, v1, v5, vcc
	v_add_u32_e32 v0, 0x400, v0
	v_cmp_le_i32_e32 vcc, s8, v0
	s_or_b64 s[6:7], vcc, s[6:7]
	s_waitcnt lgkmcnt(0)
	global_store_dwordx2 v[4:5], v[2:3], off
	s_andn2_b64 exec, exec, s[6:7]
	s_cbranch_execz .LBB211_121
.LBB211_114:                            ; =>This Loop Header: Depth=1
                                        ;     Child Loop BB211_116 Depth 2
                                        ;     Child Loop BB211_120 Depth 2
	v_lshl_add_u32 v2, v0, 3, 0
	v_lshl_add_u32 v1, v0, 2, 0
	v_add_u32_e32 v2, 0x10000, v2
	ds_read_b32 v1, v1
	ds_read_b64 v[2:3], v2
	s_and_b64 vcc, exec, s[0:1]
	v_pk_mov_b32 v[4:5], s[4:5], s[4:5] op_sel:[0,1]
	s_mov_b32 s11, 0
	s_cbranch_vccnz .LBB211_118
; %bb.115:                              ;   in Loop: Header=BB211_114 Depth=1
	s_mov_b32 s12, 0
	v_pk_mov_b32 v[4:5], s[4:5], s[4:5] op_sel:[0,1]
.LBB211_116:                            ;   Parent Loop BB211_114 Depth=1
                                        ; =>  This Inner Loop Header: Depth=2
	v_mov_b32_e32 v12, s12
	ds_read2_b32 v[6:7], v12 offset1:1
	ds_read2_b32 v[8:9], v12 offset0:2 offset1:3
	ds_read2_b32 v[10:11], v12 offset0:4 offset1:5
	;; [unrolled: 1-line block ×3, first 2 shown]
	s_add_i32 s11, s11, 8
	s_waitcnt lgkmcnt(3)
	v_cmp_gt_i32_e32 vcc, v1, v6
	v_cndmask_b32_e64 v6, 0, 1, vcc
	v_cmp_gt_i32_e32 vcc, v1, v7
	v_cndmask_b32_e64 v7, 0, 1, vcc
	s_waitcnt lgkmcnt(2)
	v_cmp_gt_i32_e32 vcc, v1, v8
	v_cndmask_b32_e64 v8, 0, 1, vcc
	v_cmp_gt_i32_e32 vcc, v1, v9
	v_cndmask_b32_e64 v9, 0, 1, vcc
	;; [unrolled: 5-line block ×4, first 2 shown]
	v_add_co_u32_e32 v4, vcc, v4, v6
	v_addc_co_u32_e32 v5, vcc, 0, v5, vcc
	v_add_co_u32_e32 v4, vcc, v4, v7
	v_addc_co_u32_e32 v5, vcc, 0, v5, vcc
	;; [unrolled: 2-line block ×7, first 2 shown]
	s_add_i32 s12, s12, 32
	v_add_co_u32_e32 v4, vcc, v4, v13
	s_cmp_eq_u32 s10, s11
	v_addc_co_u32_e32 v5, vcc, 0, v5, vcc
	s_cbranch_scc0 .LBB211_116
; %bb.117:                              ;   in Loop: Header=BB211_114 Depth=1
	s_mov_b32 s11, s10
.LBB211_118:                            ;   in Loop: Header=BB211_114 Depth=1
	s_and_b64 vcc, exec, s[2:3]
	s_cbranch_vccnz .LBB211_113
; %bb.119:                              ;   in Loop: Header=BB211_114 Depth=1
	s_lshl_b32 s11, s11, 2
	s_add_i32 s11, s11, 0
	s_mov_b32 s12, s9
.LBB211_120:                            ;   Parent Loop BB211_114 Depth=1
                                        ; =>  This Inner Loop Header: Depth=2
	v_mov_b32_e32 v6, s11
	ds_read_b32 v6, v6
	s_add_i32 s11, s11, 4
	s_add_i32 s12, s12, -1
	s_cmp_lg_u32 s12, 0
	s_waitcnt lgkmcnt(0)
	v_cmp_gt_i32_e32 vcc, v1, v6
	v_cndmask_b32_e64 v6, 0, 1, vcc
	v_add_co_u32_e32 v4, vcc, v4, v6
	v_addc_co_u32_e32 v5, vcc, 0, v5, vcc
	s_cbranch_scc1 .LBB211_120
	s_branch .LBB211_113
.LBB211_121:
	s_endpgm
	.section	.rodata,"a",@progbits
	.p2align	6, 0x0
	.amdhsa_kernel _ZN9rocsparseL26csrgemm_fill_block_per_rowILj1024ELj64ELj16384ELj137ELj32ElidEEvT5_PKS1_S3_NS_24const_host_device_scalarIT6_EEPKT4_S3_PKS5_S9_S3_SB_S6_S9_S3_SB_S9_PS1_PS5_21rocsparse_index_base_SE_SE_SE_bbb
		.amdhsa_group_segment_fixed_size 0
		.amdhsa_private_segment_fixed_size 0
		.amdhsa_kernarg_size 156
		.amdhsa_user_sgpr_count 6
		.amdhsa_user_sgpr_private_segment_buffer 1
		.amdhsa_user_sgpr_dispatch_ptr 0
		.amdhsa_user_sgpr_queue_ptr 0
		.amdhsa_user_sgpr_kernarg_segment_ptr 1
		.amdhsa_user_sgpr_dispatch_id 0
		.amdhsa_user_sgpr_flat_scratch_init 0
		.amdhsa_user_sgpr_kernarg_preload_length 0
		.amdhsa_user_sgpr_kernarg_preload_offset 0
		.amdhsa_user_sgpr_private_segment_size 0
		.amdhsa_uses_dynamic_stack 0
		.amdhsa_system_sgpr_private_segment_wavefront_offset 0
		.amdhsa_system_sgpr_workgroup_id_x 1
		.amdhsa_system_sgpr_workgroup_id_y 0
		.amdhsa_system_sgpr_workgroup_id_z 0
		.amdhsa_system_sgpr_workgroup_info 0
		.amdhsa_system_vgpr_workitem_id 0
		.amdhsa_next_free_vgpr 28
		.amdhsa_next_free_sgpr 96
		.amdhsa_accum_offset 28
		.amdhsa_reserve_vcc 1
		.amdhsa_reserve_flat_scratch 0
		.amdhsa_float_round_mode_32 0
		.amdhsa_float_round_mode_16_64 0
		.amdhsa_float_denorm_mode_32 3
		.amdhsa_float_denorm_mode_16_64 3
		.amdhsa_dx10_clamp 1
		.amdhsa_ieee_mode 1
		.amdhsa_fp16_overflow 0
		.amdhsa_tg_split 0
		.amdhsa_exception_fp_ieee_invalid_op 0
		.amdhsa_exception_fp_denorm_src 0
		.amdhsa_exception_fp_ieee_div_zero 0
		.amdhsa_exception_fp_ieee_overflow 0
		.amdhsa_exception_fp_ieee_underflow 0
		.amdhsa_exception_fp_ieee_inexact 0
		.amdhsa_exception_int_div_zero 0
	.end_amdhsa_kernel
	.section	.text._ZN9rocsparseL26csrgemm_fill_block_per_rowILj1024ELj64ELj16384ELj137ELj32ElidEEvT5_PKS1_S3_NS_24const_host_device_scalarIT6_EEPKT4_S3_PKS5_S9_S3_SB_S6_S9_S3_SB_S9_PS1_PS5_21rocsparse_index_base_SE_SE_SE_bbb,"axG",@progbits,_ZN9rocsparseL26csrgemm_fill_block_per_rowILj1024ELj64ELj16384ELj137ELj32ElidEEvT5_PKS1_S3_NS_24const_host_device_scalarIT6_EEPKT4_S3_PKS5_S9_S3_SB_S6_S9_S3_SB_S9_PS1_PS5_21rocsparse_index_base_SE_SE_SE_bbb,comdat
.Lfunc_end211:
	.size	_ZN9rocsparseL26csrgemm_fill_block_per_rowILj1024ELj64ELj16384ELj137ELj32ElidEEvT5_PKS1_S3_NS_24const_host_device_scalarIT6_EEPKT4_S3_PKS5_S9_S3_SB_S6_S9_S3_SB_S9_PS1_PS5_21rocsparse_index_base_SE_SE_SE_bbb, .Lfunc_end211-_ZN9rocsparseL26csrgemm_fill_block_per_rowILj1024ELj64ELj16384ELj137ELj32ElidEEvT5_PKS1_S3_NS_24const_host_device_scalarIT6_EEPKT4_S3_PKS5_S9_S3_SB_S6_S9_S3_SB_S9_PS1_PS5_21rocsparse_index_base_SE_SE_SE_bbb
                                        ; -- End function
	.section	.AMDGPU.csdata,"",@progbits
; Kernel info:
; codeLenInByte = 5096
; NumSgprs: 100
; NumVgprs: 28
; NumAgprs: 0
; TotalNumVgprs: 28
; ScratchSize: 0
; MemoryBound: 0
; FloatMode: 240
; IeeeMode: 1
; LDSByteSize: 0 bytes/workgroup (compile time only)
; SGPRBlocks: 12
; VGPRBlocks: 3
; NumSGPRsForWavesPerEU: 100
; NumVGPRsForWavesPerEU: 28
; AccumOffset: 28
; Occupancy: 8
; WaveLimiterHint : 1
; COMPUTE_PGM_RSRC2:SCRATCH_EN: 0
; COMPUTE_PGM_RSRC2:USER_SGPR: 6
; COMPUTE_PGM_RSRC2:TRAP_HANDLER: 0
; COMPUTE_PGM_RSRC2:TGID_X_EN: 1
; COMPUTE_PGM_RSRC2:TGID_Y_EN: 0
; COMPUTE_PGM_RSRC2:TGID_Z_EN: 0
; COMPUTE_PGM_RSRC2:TIDIG_COMP_CNT: 0
; COMPUTE_PGM_RSRC3_GFX90A:ACCUM_OFFSET: 6
; COMPUTE_PGM_RSRC3_GFX90A:TG_SPLIT: 0
	.section	.text._ZN9rocsparseL26csrgemm_fill_block_per_rowILj1024ELj64ELj16384ELj137ELj64ElidEEvT5_PKS1_S3_NS_24const_host_device_scalarIT6_EEPKT4_S3_PKS5_S9_S3_SB_S6_S9_S3_SB_S9_PS1_PS5_21rocsparse_index_base_SE_SE_SE_bbb,"axG",@progbits,_ZN9rocsparseL26csrgemm_fill_block_per_rowILj1024ELj64ELj16384ELj137ELj64ElidEEvT5_PKS1_S3_NS_24const_host_device_scalarIT6_EEPKT4_S3_PKS5_S9_S3_SB_S6_S9_S3_SB_S9_PS1_PS5_21rocsparse_index_base_SE_SE_SE_bbb,comdat
	.globl	_ZN9rocsparseL26csrgemm_fill_block_per_rowILj1024ELj64ELj16384ELj137ELj64ElidEEvT5_PKS1_S3_NS_24const_host_device_scalarIT6_EEPKT4_S3_PKS5_S9_S3_SB_S6_S9_S3_SB_S9_PS1_PS5_21rocsparse_index_base_SE_SE_SE_bbb ; -- Begin function _ZN9rocsparseL26csrgemm_fill_block_per_rowILj1024ELj64ELj16384ELj137ELj64ElidEEvT5_PKS1_S3_NS_24const_host_device_scalarIT6_EEPKT4_S3_PKS5_S9_S3_SB_S6_S9_S3_SB_S9_PS1_PS5_21rocsparse_index_base_SE_SE_SE_bbb
	.p2align	8
	.type	_ZN9rocsparseL26csrgemm_fill_block_per_rowILj1024ELj64ELj16384ELj137ELj64ElidEEvT5_PKS1_S3_NS_24const_host_device_scalarIT6_EEPKT4_S3_PKS5_S9_S3_SB_S6_S9_S3_SB_S9_PS1_PS5_21rocsparse_index_base_SE_SE_SE_bbb,@function
_ZN9rocsparseL26csrgemm_fill_block_per_rowILj1024ELj64ELj16384ELj137ELj64ElidEEvT5_PKS1_S3_NS_24const_host_device_scalarIT6_EEPKT4_S3_PKS5_S9_S3_SB_S6_S9_S3_SB_S9_PS1_PS5_21rocsparse_index_base_SE_SE_SE_bbb: ; @_ZN9rocsparseL26csrgemm_fill_block_per_rowILj1024ELj64ELj16384ELj137ELj64ElidEEvT5_PKS1_S3_NS_24const_host_device_scalarIT6_EEPKT4_S3_PKS5_S9_S3_SB_S6_S9_S3_SB_S9_PS1_PS5_21rocsparse_index_base_SE_SE_SE_bbb
; %bb.0:
	s_load_dword s7, s[4:5], 0x98
	s_load_dwordx4 s[44:47], s[4:5], 0x88
	s_load_dwordx2 s[0:1], s[4:5], 0x18
	s_load_dwordx2 s[24:25], s[4:5], 0x50
	s_waitcnt lgkmcnt(0)
	s_and_b32 s2, 1, s7
	s_bitcmp1_b32 s7, 16
	s_cselect_b64 s[26:27], -1, 0
	s_cmp_eq_u32 s2, 1
	s_cselect_b64 s[22:23], -1, 0
	s_and_b64 s[2:3], s[22:23], exec
	s_cselect_b32 s3, s1, 0
	s_cselect_b32 s2, s0, 0
	s_xor_b64 s[8:9], s[22:23], -1
	s_or_b64 s[8:9], s[8:9], s[26:27]
	s_and_b64 vcc, exec, s[8:9]
	v_pk_mov_b32 v[4:5], s[2:3], s[2:3] op_sel:[0,1]
	s_cbranch_vccnz .LBB212_2
; %bb.1:
	v_pk_mov_b32 v[2:3], s[0:1], s[0:1] op_sel:[0,1]
	flat_load_dwordx2 v[4:5], v[2:3]
.LBB212_2:
	s_load_dwordx4 s[48:51], s[4:5], 0x78
	s_load_dwordx8 s[36:43], s[4:5], 0x58
	s_load_dwordx4 s[0:3], s[4:5], 0x40
	s_load_dwordx4 s[16:19], s[4:5], 0x8
	s_load_dwordx8 s[8:15], s[4:5], 0x20
	s_bitcmp1_b32 s7, 8
	s_cselect_b64 s[20:21], -1, 0
	s_and_b64 s[28:29], s[20:21], exec
	s_cselect_b32 s29, s25, 0
	s_cselect_b32 s28, s24, 0
	s_xor_b64 s[30:31], s[20:21], -1
	s_or_b64 s[26:27], s[30:31], s[26:27]
	s_and_b64 vcc, exec, s[26:27]
	v_pk_mov_b32 v[2:3], s[28:29], s[28:29] op_sel:[0,1]
	s_cbranch_vccnz .LBB212_4
; %bb.3:
	v_pk_mov_b32 v[2:3], s[24:25], s[24:25] op_sel:[0,1]
	flat_load_dwordx2 v[2:3], v[2:3]
.LBB212_4:
	s_load_dword s33, s[4:5], 0x0
	v_lshl_add_u32 v7, v0, 3, 0
	v_or_b32_e32 v1, 0xfffffc00, v0
	v_mov_b32_e32 v6, 0
	v_add_u32_e32 v16, 0x10000, v7
	v_lshl_add_u32 v17, v0, 2, 0
	s_mov_b64 s[4:5], 0
	s_waitcnt lgkmcnt(0)
	v_mov_b32_e32 v8, s33
	v_mov_b32_e32 v7, v6
	s_movk_i32 s7, 0x3bff
	v_mov_b32_e32 v9, v17
	v_mov_b32_e32 v10, v16
	;; [unrolled: 1-line block ×3, first 2 shown]
.LBB212_5:                              ; =>This Inner Loop Header: Depth=1
	v_add_u32_e32 v11, 0x400, v11
	v_cmp_lt_u32_e32 vcc, s7, v11
	ds_write_b32 v9, v8
	ds_write_b64 v10, v[6:7]
	v_add_u32_e32 v10, 0x2000, v10
	s_or_b64 s[4:5], vcc, s[4:5]
	v_add_u32_e32 v9, 0x1000, v9
	s_andn2_b64 exec, exec, s[4:5]
	s_cbranch_execnz .LBB212_5
; %bb.6:
	s_or_b64 exec, exec, s[4:5]
	s_waitcnt lgkmcnt(0)
	s_barrier
	s_load_dword s4, s[16:17], 0x0
	s_mov_b32 s5, 0
	v_lshrrev_b32_e32 v18, 6, v0
	s_waitcnt lgkmcnt(0)
	s_add_i32 s4, s4, s6
	s_lshl_b64 s[4:5], s[4:5], 2
	s_add_u32 s4, s18, s4
	s_addc_u32 s5, s19, s5
	s_load_dword s34, s[4:5], 0x0
	s_and_b64 vcc, exec, s[22:23]
	s_cbranch_vccz .LBB212_26
; %bb.7:
	s_waitcnt lgkmcnt(0)
	s_ashr_i32 s35, s34, 31
	s_lshl_b64 s[4:5], s[34:35], 3
	s_add_u32 s4, s8, s4
	s_addc_u32 s5, s9, s5
	s_load_dwordx4 s[16:19], s[4:5], 0x0
	v_subrev_co_u32_e32 v6, vcc, s44, v18
	v_subb_co_u32_e64 v7, s[4:5], 0, 0, vcc
	s_waitcnt lgkmcnt(0)
	s_sub_u32 s4, s18, s44
	v_mov_b32_e32 v8, s17
	v_add_co_u32_e32 v6, vcc, s16, v6
	s_subb_u32 s5, s19, 0
	v_addc_co_u32_e32 v7, vcc, v8, v7, vcc
	v_cmp_gt_i64_e32 vcc, s[4:5], v[6:7]
	s_and_saveexec_b64 s[6:7], vcc
	s_cbranch_execz .LBB212_25
; %bb.8:
	v_and_b32_e32 v8, 63, v0
	v_subrev_co_u32_e32 v19, vcc, s45, v8
	s_mov_b32 s16, 0
	v_subb_co_u32_e64 v20, s[8:9], 0, 0, vcc
	s_mov_b32 s35, s45
	s_mov_b64 s[8:9], 0
	v_mov_b32_e32 v21, s11
	v_mov_b32_e32 v22, s15
	v_mov_b32_e32 v23, s16
	s_movk_i32 s11, 0x89
	s_branch .LBB212_10
.LBB212_9:                              ;   in Loop: Header=BB212_10 Depth=1
	s_or_b64 exec, exec, s[16:17]
	v_add_co_u32_e32 v6, vcc, 16, v6
	v_addc_co_u32_e32 v7, vcc, 0, v7, vcc
	v_cmp_le_i64_e32 vcc, s[4:5], v[6:7]
	s_or_b64 s[8:9], vcc, s[8:9]
	s_andn2_b64 exec, exec, s[8:9]
	s_cbranch_execz .LBB212_25
.LBB212_10:                             ; =>This Loop Header: Depth=1
                                        ;     Child Loop BB212_13 Depth 2
                                        ;       Child Loop BB212_15 Depth 3
	v_lshlrev_b64 v[8:9], 2, v[6:7]
	v_add_co_u32_e32 v8, vcc, s10, v8
	v_addc_co_u32_e32 v9, vcc, v21, v9, vcc
	global_load_dword v8, v[8:9], off
	s_waitcnt vmcnt(0)
	v_subrev_u32_e32 v8, s44, v8
	v_ashrrev_i32_e32 v9, 31, v8
	v_lshlrev_b64 v[8:9], 3, v[8:9]
	v_add_co_u32_e32 v8, vcc, s14, v8
	v_addc_co_u32_e32 v9, vcc, v22, v9, vcc
	global_load_dwordx4 v[10:13], v[8:9], off
	s_waitcnt vmcnt(0)
	v_subrev_co_u32_e32 v8, vcc, s35, v12
	v_subb_co_u32_e32 v9, vcc, v13, v23, vcc
	v_add_co_u32_e32 v10, vcc, v10, v19
	v_addc_co_u32_e32 v11, vcc, v11, v20, vcc
	v_cmp_lt_i64_e32 vcc, v[10:11], v[8:9]
	s_and_saveexec_b64 s[16:17], vcc
	s_cbranch_execz .LBB212_9
; %bb.11:                               ;   in Loop: Header=BB212_10 Depth=1
	v_lshlrev_b64 v[12:13], 3, v[6:7]
	v_mov_b32_e32 v14, s13
	v_add_co_u32_e32 v12, vcc, s12, v12
	v_addc_co_u32_e32 v13, vcc, v14, v13, vcc
	global_load_dwordx2 v[12:13], v[12:13], off
	s_mov_b64 s[18:19], 0
	s_waitcnt vmcnt(0)
	v_mul_f64 v[12:13], v[4:5], v[12:13]
	s_branch .LBB212_13
.LBB212_12:                             ;   in Loop: Header=BB212_13 Depth=2
	s_or_b64 exec, exec, s[22:23]
	v_add_co_u32_e32 v10, vcc, 64, v10
	v_addc_co_u32_e32 v11, vcc, 0, v11, vcc
	v_cmp_ge_i64_e32 vcc, v[10:11], v[8:9]
	s_or_b64 s[18:19], vcc, s[18:19]
	s_andn2_b64 exec, exec, s[18:19]
	s_cbranch_execz .LBB212_9
.LBB212_13:                             ;   Parent Loop BB212_10 Depth=1
                                        ; =>  This Loop Header: Depth=2
                                        ;       Child Loop BB212_15 Depth 3
	v_lshlrev_b64 v[14:15], 2, v[10:11]
	v_mov_b32_e32 v24, s1
	v_add_co_u32_e32 v14, vcc, s0, v14
	v_addc_co_u32_e32 v15, vcc, v24, v15, vcc
	global_load_dword v24, v[14:15], off
	v_lshlrev_b64 v[14:15], 3, v[10:11]
	v_mov_b32_e32 v25, s3
	v_add_co_u32_e32 v14, vcc, s2, v14
	v_addc_co_u32_e32 v15, vcc, v25, v15, vcc
	global_load_dwordx2 v[14:15], v[14:15], off
	s_mov_b64 s[22:23], 0
	s_waitcnt vmcnt(1)
	v_subrev_u32_e32 v24, s45, v24
	v_mul_lo_u32 v25, v24, s11
	v_and_b32_e32 v25, 0x3fff, v25
	s_waitcnt vmcnt(0)
	v_mul_f64 v[14:15], v[12:13], v[14:15]
	s_branch .LBB212_15
.LBB212_14:                             ;   in Loop: Header=BB212_15 Depth=3
	s_or_b64 exec, exec, s[24:25]
	s_xor_b64 s[24:25], s[26:27], -1
	s_and_b64 s[24:25], exec, s[24:25]
	s_or_b64 s[22:23], s[24:25], s[22:23]
	s_andn2_b64 exec, exec, s[22:23]
	s_cbranch_execz .LBB212_12
.LBB212_15:                             ;   Parent Loop BB212_10 Depth=1
                                        ;     Parent Loop BB212_13 Depth=2
                                        ; =>    This Inner Loop Header: Depth=3
	v_lshl_add_u32 v26, v25, 2, 0
	ds_read_b32 v27, v26
                                        ; implicit-def: $sgpr26_sgpr27
	s_waitcnt lgkmcnt(0)
	v_cmp_ne_u32_e32 vcc, v27, v24
	s_and_saveexec_b64 s[24:25], vcc
	s_xor_b64 s[24:25], exec, s[24:25]
	s_cbranch_execz .LBB212_23
; %bb.16:                               ;   in Loop: Header=BB212_15 Depth=3
	v_cmp_ne_u32_e32 vcc, s33, v27
                                        ; implicit-def: $sgpr26_sgpr27
	s_and_saveexec_b64 s[28:29], vcc
	s_xor_b64 s[28:29], exec, s[28:29]
; %bb.17:                               ;   in Loop: Header=BB212_15 Depth=3
	v_add_u32_e32 v25, 1, v25
	v_and_b32_e32 v25, 0x3fff, v25
	s_mov_b64 s[26:27], -1
                                        ; implicit-def: $vgpr26
; %bb.18:                               ;   in Loop: Header=BB212_15 Depth=3
	s_andn2_saveexec_b64 s[28:29], s[28:29]
	s_cbranch_execz .LBB212_22
; %bb.19:                               ;   in Loop: Header=BB212_15 Depth=3
	v_mov_b32_e32 v27, s33
	ds_cmpst_rtn_b32 v26, v26, v27, v24
	s_mov_b64 s[30:31], -1
	s_waitcnt lgkmcnt(0)
	v_cmp_eq_u32_e32 vcc, s33, v26
	s_and_saveexec_b64 s[52:53], vcc
	s_cbranch_execz .LBB212_21
; %bb.20:                               ;   in Loop: Header=BB212_15 Depth=3
	v_lshl_add_u32 v26, v25, 3, 0
	v_add_u32_e32 v26, 0x10000, v26
	ds_add_f64 v26, v[14:15]
	s_xor_b64 s[30:31], exec, -1
.LBB212_21:                             ;   in Loop: Header=BB212_15 Depth=3
	s_or_b64 exec, exec, s[52:53]
	s_andn2_b64 s[26:27], s[26:27], exec
	s_and_b64 s[30:31], s[30:31], exec
	s_or_b64 s[26:27], s[26:27], s[30:31]
.LBB212_22:                             ;   in Loop: Header=BB212_15 Depth=3
	s_or_b64 exec, exec, s[28:29]
	s_and_b64 s[26:27], s[26:27], exec
.LBB212_23:                             ;   in Loop: Header=BB212_15 Depth=3
	s_andn2_saveexec_b64 s[24:25], s[24:25]
	s_cbranch_execz .LBB212_14
; %bb.24:                               ;   in Loop: Header=BB212_15 Depth=3
	v_lshl_add_u32 v26, v25, 3, 0
	v_add_u32_e32 v26, 0x10000, v26
	ds_add_f64 v26, v[14:15]
	s_andn2_b64 s[26:27], s[26:27], exec
	s_branch .LBB212_14
.LBB212_25:
	s_or_b64 exec, exec, s[6:7]
.LBB212_26:
	s_andn2_b64 vcc, exec, s[20:21]
	s_cbranch_vccnz .LBB212_43
; %bb.27:
	s_waitcnt lgkmcnt(0)
	s_ashr_i32 s35, s34, 31
	s_lshl_b64 s[0:1], s[34:35], 3
	s_add_u32 s0, s36, s0
	s_addc_u32 s1, s37, s1
	s_load_dwordx4 s[4:7], s[0:1], 0x0
	s_waitcnt vmcnt(0)
	v_subrev_co_u32_e32 v4, vcc, s47, v0
	v_subb_co_u32_e64 v5, s[0:1], 0, 0, vcc
	s_waitcnt lgkmcnt(0)
	s_sub_u32 s0, s6, s47
	v_mov_b32_e32 v6, s5
	v_add_co_u32_e32 v4, vcc, s4, v4
	s_subb_u32 s1, s7, 0
	v_addc_co_u32_e32 v5, vcc, v6, v5, vcc
	v_cmp_gt_i64_e32 vcc, s[0:1], v[4:5]
	s_and_saveexec_b64 s[2:3], vcc
	s_cbranch_execz .LBB212_42
; %bb.28:
	s_mov_b64 s[4:5], 0
	v_mov_b32_e32 v8, s39
	v_mov_b32_e32 v9, s41
	s_movk_i32 s18, 0x89
	s_branch .LBB212_30
.LBB212_29:                             ;   in Loop: Header=BB212_30 Depth=1
	s_or_b64 exec, exec, s[6:7]
	v_add_co_u32_e32 v4, vcc, 0x400, v4
	v_addc_co_u32_e32 v5, vcc, 0, v5, vcc
	v_cmp_le_i64_e32 vcc, s[0:1], v[4:5]
	s_or_b64 s[4:5], vcc, s[4:5]
	s_andn2_b64 exec, exec, s[4:5]
	s_cbranch_execz .LBB212_42
.LBB212_30:                             ; =>This Loop Header: Depth=1
                                        ;     Child Loop BB212_32 Depth 2
	v_lshlrev_b64 v[6:7], 2, v[4:5]
	v_add_co_u32_e32 v6, vcc, s38, v6
	v_addc_co_u32_e32 v7, vcc, v8, v7, vcc
	global_load_dword v10, v[6:7], off
	v_lshlrev_b64 v[6:7], 3, v[4:5]
	v_add_co_u32_e32 v6, vcc, s40, v6
	v_addc_co_u32_e32 v7, vcc, v9, v7, vcc
	global_load_dwordx2 v[6:7], v[6:7], off
	s_mov_b64 s[6:7], 0
	s_waitcnt vmcnt(1)
	v_subrev_u32_e32 v10, s47, v10
	v_mul_lo_u32 v11, v10, s18
	v_and_b32_e32 v11, 0x3fff, v11
	s_waitcnt vmcnt(0)
	v_mul_f64 v[6:7], v[2:3], v[6:7]
	s_branch .LBB212_32
.LBB212_31:                             ;   in Loop: Header=BB212_32 Depth=2
	s_or_b64 exec, exec, s[8:9]
	s_xor_b64 s[8:9], s[10:11], -1
	s_and_b64 s[8:9], exec, s[8:9]
	s_or_b64 s[6:7], s[8:9], s[6:7]
	s_andn2_b64 exec, exec, s[6:7]
	s_cbranch_execz .LBB212_29
.LBB212_32:                             ;   Parent Loop BB212_30 Depth=1
                                        ; =>  This Inner Loop Header: Depth=2
	v_lshl_add_u32 v12, v11, 2, 0
	ds_read_b32 v13, v12
                                        ; implicit-def: $sgpr10_sgpr11
	s_waitcnt lgkmcnt(0)
	v_cmp_ne_u32_e32 vcc, v13, v10
	s_and_saveexec_b64 s[8:9], vcc
	s_xor_b64 s[8:9], exec, s[8:9]
	s_cbranch_execz .LBB212_40
; %bb.33:                               ;   in Loop: Header=BB212_32 Depth=2
	v_cmp_ne_u32_e32 vcc, s33, v13
                                        ; implicit-def: $sgpr10_sgpr11
	s_and_saveexec_b64 s[12:13], vcc
	s_xor_b64 s[12:13], exec, s[12:13]
; %bb.34:                               ;   in Loop: Header=BB212_32 Depth=2
	v_add_u32_e32 v11, 1, v11
	v_and_b32_e32 v11, 0x3fff, v11
	s_mov_b64 s[10:11], -1
                                        ; implicit-def: $vgpr12
; %bb.35:                               ;   in Loop: Header=BB212_32 Depth=2
	s_andn2_saveexec_b64 s[12:13], s[12:13]
	s_cbranch_execz .LBB212_39
; %bb.36:                               ;   in Loop: Header=BB212_32 Depth=2
	v_mov_b32_e32 v13, s33
	ds_cmpst_rtn_b32 v12, v12, v13, v10
	s_mov_b64 s[14:15], -1
	s_waitcnt lgkmcnt(0)
	v_cmp_eq_u32_e32 vcc, s33, v12
	s_and_saveexec_b64 s[16:17], vcc
	s_cbranch_execz .LBB212_38
; %bb.37:                               ;   in Loop: Header=BB212_32 Depth=2
	v_lshl_add_u32 v12, v11, 3, 0
	v_add_u32_e32 v12, 0x10000, v12
	ds_add_f64 v12, v[6:7]
	s_xor_b64 s[14:15], exec, -1
.LBB212_38:                             ;   in Loop: Header=BB212_32 Depth=2
	s_or_b64 exec, exec, s[16:17]
	s_andn2_b64 s[10:11], s[10:11], exec
	s_and_b64 s[14:15], s[14:15], exec
	s_or_b64 s[10:11], s[10:11], s[14:15]
.LBB212_39:                             ;   in Loop: Header=BB212_32 Depth=2
	s_or_b64 exec, exec, s[12:13]
	s_and_b64 s[10:11], s[10:11], exec
.LBB212_40:                             ;   in Loop: Header=BB212_32 Depth=2
	s_andn2_saveexec_b64 s[8:9], s[8:9]
	s_cbranch_execz .LBB212_31
; %bb.41:                               ;   in Loop: Header=BB212_32 Depth=2
	v_lshl_add_u32 v12, v11, 3, 0
	v_add_u32_e32 v12, 0x10000, v12
	ds_add_f64 v12, v[6:7]
	s_andn2_b64 s[10:11], s[10:11], exec
	s_branch .LBB212_31
.LBB212_42:
	s_or_b64 exec, exec, s[2:3]
.LBB212_43:
	s_waitcnt vmcnt(0)
	v_mbcnt_lo_u32_b32 v2, -1, 0
	v_mbcnt_hi_u32_b32 v2, -1, v2
	v_sub_u32_e32 v2, 63, v2
	s_add_i32 s35, 0, 0x30000
	s_movk_i32 s0, 0x3ff
	s_movk_i32 s2, 0x7f
	;; [unrolled: 1-line block ×15, first 2 shown]
	s_add_i32 s61, 0, 0x3003c
	v_mov_b32_e32 v6, 0
	v_lshrrev_b64 v[2:3], v2, -1
	v_lshl_add_u32 v7, v18, 2, s35
	v_cmp_eq_u32_e32 vcc, s0, v0
	v_cmp_lt_u32_e64 s[0:1], 63, v0
	v_cmp_lt_u32_e64 s[2:3], s2, v0
	;; [unrolled: 1-line block ×15, first 2 shown]
	s_mov_b64 s[36:37], 0
	s_add_i32 s40, 0, 0x30004
	s_add_i32 s41, 0, 0x30008
	;; [unrolled: 1-line block ×14, first 2 shown]
	v_mov_b32_e32 v8, s61
	s_movk_i32 s62, 0x3bff
	s_waitcnt lgkmcnt(0)
	s_barrier
	s_branch .LBB212_45
.LBB212_44:                             ;   in Loop: Header=BB212_45 Depth=1
	s_or_b64 exec, exec, s[30:31]
	s_waitcnt lgkmcnt(0)
	s_barrier
	ds_read_b32 v4, v8
	v_add_u32_e32 v1, 0x400, v1
	v_cmp_lt_u32_e64 s[30:31], s62, v1
	v_add_u32_e32 v16, 0x2000, v16
	s_or_b64 s[36:37], s[30:31], s[36:37]
	s_waitcnt lgkmcnt(0)
	v_add_u32_e32 v6, v4, v6
	v_add_u32_e32 v17, 0x1000, v17
	s_andn2_b64 exec, exec, s[36:37]
	s_cbranch_execz .LBB212_79
.LBB212_45:                             ; =>This Inner Loop Header: Depth=1
	ds_read_b32 v9, v17
	ds_read_b64 v[4:5], v16
	s_waitcnt lgkmcnt(0)
	s_barrier
	v_cmp_gt_i32_e64 s[30:31], s33, v9
	v_and_b32_e32 v11, s30, v2
	s_bcnt1_i32_b64 s38, s[30:31]
	v_and_b32_e32 v10, s31, v3
	v_bcnt_u32_b32 v11, v11, 0
	v_bcnt_u32_b32 v10, v10, v11
	v_mov_b32_e32 v11, s38
	ds_write_b32 v7, v11
	s_waitcnt lgkmcnt(0)
	s_barrier
	s_and_saveexec_b64 s[38:39], s[0:1]
	s_cbranch_execnz .LBB212_62
; %bb.46:                               ;   in Loop: Header=BB212_45 Depth=1
	s_or_b64 exec, exec, s[38:39]
	s_and_saveexec_b64 s[38:39], s[2:3]
	s_cbranch_execnz .LBB212_63
.LBB212_47:                             ;   in Loop: Header=BB212_45 Depth=1
	s_or_b64 exec, exec, s[38:39]
	s_and_saveexec_b64 s[38:39], s[4:5]
	s_cbranch_execnz .LBB212_64
.LBB212_48:                             ;   in Loop: Header=BB212_45 Depth=1
	s_or_b64 exec, exec, s[38:39]
	s_and_saveexec_b64 s[38:39], s[6:7]
	s_cbranch_execnz .LBB212_65
.LBB212_49:                             ;   in Loop: Header=BB212_45 Depth=1
	s_or_b64 exec, exec, s[38:39]
	s_and_saveexec_b64 s[38:39], s[8:9]
	s_cbranch_execnz .LBB212_66
.LBB212_50:                             ;   in Loop: Header=BB212_45 Depth=1
	s_or_b64 exec, exec, s[38:39]
	s_and_saveexec_b64 s[38:39], s[10:11]
	s_cbranch_execnz .LBB212_67
.LBB212_51:                             ;   in Loop: Header=BB212_45 Depth=1
	s_or_b64 exec, exec, s[38:39]
	s_and_saveexec_b64 s[38:39], s[12:13]
	s_cbranch_execnz .LBB212_68
.LBB212_52:                             ;   in Loop: Header=BB212_45 Depth=1
	s_or_b64 exec, exec, s[38:39]
	s_and_saveexec_b64 s[38:39], s[14:15]
	s_cbranch_execnz .LBB212_69
.LBB212_53:                             ;   in Loop: Header=BB212_45 Depth=1
	s_or_b64 exec, exec, s[38:39]
	s_and_saveexec_b64 s[38:39], s[16:17]
	s_cbranch_execnz .LBB212_70
.LBB212_54:                             ;   in Loop: Header=BB212_45 Depth=1
	s_or_b64 exec, exec, s[38:39]
	s_and_saveexec_b64 s[38:39], s[18:19]
	s_cbranch_execnz .LBB212_71
.LBB212_55:                             ;   in Loop: Header=BB212_45 Depth=1
	s_or_b64 exec, exec, s[38:39]
	s_and_saveexec_b64 s[38:39], s[20:21]
	s_cbranch_execnz .LBB212_72
.LBB212_56:                             ;   in Loop: Header=BB212_45 Depth=1
	s_or_b64 exec, exec, s[38:39]
	s_and_saveexec_b64 s[38:39], s[22:23]
	s_cbranch_execnz .LBB212_73
.LBB212_57:                             ;   in Loop: Header=BB212_45 Depth=1
	s_or_b64 exec, exec, s[38:39]
	s_and_saveexec_b64 s[38:39], s[24:25]
	s_cbranch_execnz .LBB212_74
.LBB212_58:                             ;   in Loop: Header=BB212_45 Depth=1
	s_or_b64 exec, exec, s[38:39]
	s_and_saveexec_b64 s[38:39], s[26:27]
	s_cbranch_execnz .LBB212_75
.LBB212_59:                             ;   in Loop: Header=BB212_45 Depth=1
	s_or_b64 exec, exec, s[38:39]
	s_and_saveexec_b64 s[38:39], s[28:29]
	s_cbranch_execnz .LBB212_76
.LBB212_60:                             ;   in Loop: Header=BB212_45 Depth=1
	s_or_b64 exec, exec, s[38:39]
	s_and_saveexec_b64 s[38:39], s[30:31]
	s_cbranch_execnz .LBB212_77
.LBB212_61:                             ;   in Loop: Header=BB212_45 Depth=1
	s_or_b64 exec, exec, s[38:39]
	s_and_saveexec_b64 s[30:31], vcc
	s_cbranch_execz .LBB212_44
	s_branch .LBB212_78
.LBB212_62:                             ;   in Loop: Header=BB212_45 Depth=1
	v_mov_b32_e32 v11, s35
	ds_read_b32 v11, v11
	s_waitcnt lgkmcnt(0)
	v_add_u32_e32 v10, v11, v10
	s_or_b64 exec, exec, s[38:39]
	s_and_saveexec_b64 s[38:39], s[2:3]
	s_cbranch_execz .LBB212_47
.LBB212_63:                             ;   in Loop: Header=BB212_45 Depth=1
	v_mov_b32_e32 v11, s40
	ds_read_b32 v11, v11
	s_waitcnt lgkmcnt(0)
	v_add_u32_e32 v10, v11, v10
	s_or_b64 exec, exec, s[38:39]
	s_and_saveexec_b64 s[38:39], s[4:5]
	s_cbranch_execz .LBB212_48
.LBB212_64:                             ;   in Loop: Header=BB212_45 Depth=1
	v_mov_b32_e32 v11, s41
	ds_read_b32 v11, v11
	s_waitcnt lgkmcnt(0)
	v_add_u32_e32 v10, v11, v10
	s_or_b64 exec, exec, s[38:39]
	s_and_saveexec_b64 s[38:39], s[6:7]
	s_cbranch_execz .LBB212_49
.LBB212_65:                             ;   in Loop: Header=BB212_45 Depth=1
	v_mov_b32_e32 v11, s44
	ds_read_b32 v11, v11
	s_waitcnt lgkmcnt(0)
	v_add_u32_e32 v10, v11, v10
	s_or_b64 exec, exec, s[38:39]
	s_and_saveexec_b64 s[38:39], s[8:9]
	s_cbranch_execz .LBB212_50
.LBB212_66:                             ;   in Loop: Header=BB212_45 Depth=1
	v_mov_b32_e32 v11, s45
	ds_read_b32 v11, v11
	s_waitcnt lgkmcnt(0)
	v_add_u32_e32 v10, v11, v10
	s_or_b64 exec, exec, s[38:39]
	s_and_saveexec_b64 s[38:39], s[10:11]
	s_cbranch_execz .LBB212_51
.LBB212_67:                             ;   in Loop: Header=BB212_45 Depth=1
	v_mov_b32_e32 v11, s47
	ds_read_b32 v11, v11
	s_waitcnt lgkmcnt(0)
	v_add_u32_e32 v10, v11, v10
	s_or_b64 exec, exec, s[38:39]
	s_and_saveexec_b64 s[38:39], s[12:13]
	s_cbranch_execz .LBB212_52
.LBB212_68:                             ;   in Loop: Header=BB212_45 Depth=1
	v_mov_b32_e32 v11, s52
	ds_read_b32 v11, v11
	s_waitcnt lgkmcnt(0)
	v_add_u32_e32 v10, v11, v10
	s_or_b64 exec, exec, s[38:39]
	s_and_saveexec_b64 s[38:39], s[14:15]
	s_cbranch_execz .LBB212_53
.LBB212_69:                             ;   in Loop: Header=BB212_45 Depth=1
	v_mov_b32_e32 v11, s53
	ds_read_b32 v11, v11
	s_waitcnt lgkmcnt(0)
	v_add_u32_e32 v10, v11, v10
	s_or_b64 exec, exec, s[38:39]
	s_and_saveexec_b64 s[38:39], s[16:17]
	s_cbranch_execz .LBB212_54
.LBB212_70:                             ;   in Loop: Header=BB212_45 Depth=1
	v_mov_b32_e32 v11, s54
	ds_read_b32 v11, v11
	s_waitcnt lgkmcnt(0)
	v_add_u32_e32 v10, v11, v10
	s_or_b64 exec, exec, s[38:39]
	s_and_saveexec_b64 s[38:39], s[18:19]
	s_cbranch_execz .LBB212_55
.LBB212_71:                             ;   in Loop: Header=BB212_45 Depth=1
	v_mov_b32_e32 v11, s55
	ds_read_b32 v11, v11
	s_waitcnt lgkmcnt(0)
	v_add_u32_e32 v10, v11, v10
	s_or_b64 exec, exec, s[38:39]
	s_and_saveexec_b64 s[38:39], s[20:21]
	s_cbranch_execz .LBB212_56
.LBB212_72:                             ;   in Loop: Header=BB212_45 Depth=1
	v_mov_b32_e32 v11, s56
	ds_read_b32 v11, v11
	s_waitcnt lgkmcnt(0)
	v_add_u32_e32 v10, v11, v10
	s_or_b64 exec, exec, s[38:39]
	s_and_saveexec_b64 s[38:39], s[22:23]
	s_cbranch_execz .LBB212_57
.LBB212_73:                             ;   in Loop: Header=BB212_45 Depth=1
	v_mov_b32_e32 v11, s57
	ds_read_b32 v11, v11
	s_waitcnt lgkmcnt(0)
	v_add_u32_e32 v10, v11, v10
	s_or_b64 exec, exec, s[38:39]
	s_and_saveexec_b64 s[38:39], s[24:25]
	s_cbranch_execz .LBB212_58
.LBB212_74:                             ;   in Loop: Header=BB212_45 Depth=1
	v_mov_b32_e32 v11, s58
	ds_read_b32 v11, v11
	s_waitcnt lgkmcnt(0)
	v_add_u32_e32 v10, v11, v10
	s_or_b64 exec, exec, s[38:39]
	s_and_saveexec_b64 s[38:39], s[26:27]
	s_cbranch_execz .LBB212_59
.LBB212_75:                             ;   in Loop: Header=BB212_45 Depth=1
	v_mov_b32_e32 v11, s59
	ds_read_b32 v11, v11
	s_waitcnt lgkmcnt(0)
	v_add_u32_e32 v10, v11, v10
	s_or_b64 exec, exec, s[38:39]
	s_and_saveexec_b64 s[38:39], s[28:29]
	s_cbranch_execz .LBB212_60
.LBB212_76:                             ;   in Loop: Header=BB212_45 Depth=1
	v_mov_b32_e32 v11, s60
	ds_read_b32 v11, v11
	s_waitcnt lgkmcnt(0)
	v_add_u32_e32 v10, v11, v10
	s_or_b64 exec, exec, s[38:39]
	s_and_saveexec_b64 s[38:39], s[30:31]
	s_cbranch_execz .LBB212_61
.LBB212_77:                             ;   in Loop: Header=BB212_45 Depth=1
	v_add3_u32 v11, v6, -1, v10
	v_lshl_add_u32 v12, v11, 2, 0
	v_lshl_add_u32 v11, v11, 3, 0
	v_add_u32_e32 v11, 0x10000, v11
	ds_write_b32 v12, v9
	ds_write_b64 v11, v[4:5]
	s_or_b64 exec, exec, s[38:39]
	s_and_saveexec_b64 s[30:31], vcc
	s_cbranch_execz .LBB212_44
.LBB212_78:                             ;   in Loop: Header=BB212_45 Depth=1
	v_mov_b32_e32 v4, s61
	ds_write_b32 v4, v10
	s_branch .LBB212_44
.LBB212_79:
	s_or_b64 exec, exec, s[36:37]
	s_ashr_i32 s35, s34, 31
	s_lshl_b64 s[0:1], s[34:35], 3
	s_add_u32 s0, s42, s0
	s_addc_u32 s1, s43, s1
	s_load_dwordx4 s[0:3], s[0:1], 0x0
	s_waitcnt lgkmcnt(0)
	s_sub_i32 s8, s2, s0
	v_cmp_gt_i32_e32 vcc, s8, v0
	s_and_saveexec_b64 s[4:5], vcc
	s_cbranch_execz .LBB212_89
; %bb.80:
	s_sub_u32 s4, s0, s46
	s_subb_u32 s5, s1, 0
	s_and_b32 s9, s8, 7
	s_sub_i32 s0, s0, s2
	s_cmp_lt_u32 s0, -7
	s_cselect_b64 s[0:1], -1, 0
	s_and_b32 s10, s8, -8
	s_cmp_lg_u32 s9, 0
	v_cndmask_b32_e64 v1, 0, 1, s[0:1]
	s_cselect_b64 s[2:3], -1, 0
	v_cmp_ne_u32_e64 s[0:1], 1, v1
	v_cndmask_b32_e64 v1, 0, 1, s[2:3]
	s_mov_b64 s[6:7], 0
	v_cmp_ne_u32_e64 s[2:3], 1, v1
	s_branch .LBB212_82
.LBB212_81:                             ;   in Loop: Header=BB212_82 Depth=1
	v_lshlrev_b64 v[6:7], 2, v[4:5]
	v_mov_b32_e32 v8, s49
	v_add_co_u32_e32 v6, vcc, s48, v6
	s_waitcnt lgkmcnt(1)
	v_add_u32_e32 v1, s46, v1
	v_addc_co_u32_e32 v7, vcc, v8, v7, vcc
	v_lshlrev_b64 v[4:5], 3, v[4:5]
	global_store_dword v[6:7], v1, off
	v_mov_b32_e32 v1, s51
	v_add_co_u32_e32 v4, vcc, s50, v4
	v_addc_co_u32_e32 v5, vcc, v1, v5, vcc
	v_add_u32_e32 v0, 0x400, v0
	v_cmp_le_i32_e32 vcc, s8, v0
	s_or_b64 s[6:7], vcc, s[6:7]
	s_waitcnt lgkmcnt(0)
	global_store_dwordx2 v[4:5], v[2:3], off
	s_andn2_b64 exec, exec, s[6:7]
	s_cbranch_execz .LBB212_89
.LBB212_82:                             ; =>This Loop Header: Depth=1
                                        ;     Child Loop BB212_84 Depth 2
                                        ;     Child Loop BB212_88 Depth 2
	v_lshl_add_u32 v2, v0, 3, 0
	v_lshl_add_u32 v1, v0, 2, 0
	v_add_u32_e32 v2, 0x10000, v2
	ds_read_b32 v1, v1
	ds_read_b64 v[2:3], v2
	s_and_b64 vcc, exec, s[0:1]
	v_pk_mov_b32 v[4:5], s[4:5], s[4:5] op_sel:[0,1]
	s_mov_b32 s11, 0
	s_cbranch_vccnz .LBB212_86
; %bb.83:                               ;   in Loop: Header=BB212_82 Depth=1
	s_mov_b32 s12, 0
	v_pk_mov_b32 v[4:5], s[4:5], s[4:5] op_sel:[0,1]
.LBB212_84:                             ;   Parent Loop BB212_82 Depth=1
                                        ; =>  This Inner Loop Header: Depth=2
	v_mov_b32_e32 v12, s12
	ds_read2_b32 v[6:7], v12 offset1:1
	ds_read2_b32 v[8:9], v12 offset0:2 offset1:3
	ds_read2_b32 v[10:11], v12 offset0:4 offset1:5
	;; [unrolled: 1-line block ×3, first 2 shown]
	s_add_i32 s11, s11, 8
	s_waitcnt lgkmcnt(3)
	v_cmp_gt_i32_e32 vcc, v1, v6
	v_cndmask_b32_e64 v6, 0, 1, vcc
	v_cmp_gt_i32_e32 vcc, v1, v7
	v_cndmask_b32_e64 v7, 0, 1, vcc
	s_waitcnt lgkmcnt(2)
	v_cmp_gt_i32_e32 vcc, v1, v8
	v_cndmask_b32_e64 v8, 0, 1, vcc
	v_cmp_gt_i32_e32 vcc, v1, v9
	v_cndmask_b32_e64 v9, 0, 1, vcc
	;; [unrolled: 5-line block ×4, first 2 shown]
	v_add_co_u32_e32 v4, vcc, v4, v6
	v_addc_co_u32_e32 v5, vcc, 0, v5, vcc
	v_add_co_u32_e32 v4, vcc, v4, v7
	v_addc_co_u32_e32 v5, vcc, 0, v5, vcc
	;; [unrolled: 2-line block ×7, first 2 shown]
	s_add_i32 s12, s12, 32
	v_add_co_u32_e32 v4, vcc, v4, v13
	s_cmp_eq_u32 s10, s11
	v_addc_co_u32_e32 v5, vcc, 0, v5, vcc
	s_cbranch_scc0 .LBB212_84
; %bb.85:                               ;   in Loop: Header=BB212_82 Depth=1
	s_mov_b32 s11, s10
.LBB212_86:                             ;   in Loop: Header=BB212_82 Depth=1
	s_and_b64 vcc, exec, s[2:3]
	s_cbranch_vccnz .LBB212_81
; %bb.87:                               ;   in Loop: Header=BB212_82 Depth=1
	s_lshl_b32 s11, s11, 2
	s_add_i32 s11, s11, 0
	s_mov_b32 s12, s9
.LBB212_88:                             ;   Parent Loop BB212_82 Depth=1
                                        ; =>  This Inner Loop Header: Depth=2
	v_mov_b32_e32 v6, s11
	ds_read_b32 v6, v6
	s_add_i32 s11, s11, 4
	s_add_i32 s12, s12, -1
	s_cmp_lg_u32 s12, 0
	s_waitcnt lgkmcnt(0)
	v_cmp_gt_i32_e32 vcc, v1, v6
	v_cndmask_b32_e64 v6, 0, 1, vcc
	v_add_co_u32_e32 v4, vcc, v4, v6
	v_addc_co_u32_e32 v5, vcc, 0, v5, vcc
	s_cbranch_scc1 .LBB212_88
	s_branch .LBB212_81
.LBB212_89:
	s_endpgm
	.section	.rodata,"a",@progbits
	.p2align	6, 0x0
	.amdhsa_kernel _ZN9rocsparseL26csrgemm_fill_block_per_rowILj1024ELj64ELj16384ELj137ELj64ElidEEvT5_PKS1_S3_NS_24const_host_device_scalarIT6_EEPKT4_S3_PKS5_S9_S3_SB_S6_S9_S3_SB_S9_PS1_PS5_21rocsparse_index_base_SE_SE_SE_bbb
		.amdhsa_group_segment_fixed_size 0
		.amdhsa_private_segment_fixed_size 0
		.amdhsa_kernarg_size 156
		.amdhsa_user_sgpr_count 6
		.amdhsa_user_sgpr_private_segment_buffer 1
		.amdhsa_user_sgpr_dispatch_ptr 0
		.amdhsa_user_sgpr_queue_ptr 0
		.amdhsa_user_sgpr_kernarg_segment_ptr 1
		.amdhsa_user_sgpr_dispatch_id 0
		.amdhsa_user_sgpr_flat_scratch_init 0
		.amdhsa_user_sgpr_kernarg_preload_length 0
		.amdhsa_user_sgpr_kernarg_preload_offset 0
		.amdhsa_user_sgpr_private_segment_size 0
		.amdhsa_uses_dynamic_stack 0
		.amdhsa_system_sgpr_private_segment_wavefront_offset 0
		.amdhsa_system_sgpr_workgroup_id_x 1
		.amdhsa_system_sgpr_workgroup_id_y 0
		.amdhsa_system_sgpr_workgroup_id_z 0
		.amdhsa_system_sgpr_workgroup_info 0
		.amdhsa_system_vgpr_workitem_id 0
		.amdhsa_next_free_vgpr 28
		.amdhsa_next_free_sgpr 63
		.amdhsa_accum_offset 28
		.amdhsa_reserve_vcc 1
		.amdhsa_reserve_flat_scratch 0
		.amdhsa_float_round_mode_32 0
		.amdhsa_float_round_mode_16_64 0
		.amdhsa_float_denorm_mode_32 3
		.amdhsa_float_denorm_mode_16_64 3
		.amdhsa_dx10_clamp 1
		.amdhsa_ieee_mode 1
		.amdhsa_fp16_overflow 0
		.amdhsa_tg_split 0
		.amdhsa_exception_fp_ieee_invalid_op 0
		.amdhsa_exception_fp_denorm_src 0
		.amdhsa_exception_fp_ieee_div_zero 0
		.amdhsa_exception_fp_ieee_overflow 0
		.amdhsa_exception_fp_ieee_underflow 0
		.amdhsa_exception_fp_ieee_inexact 0
		.amdhsa_exception_int_div_zero 0
	.end_amdhsa_kernel
	.section	.text._ZN9rocsparseL26csrgemm_fill_block_per_rowILj1024ELj64ELj16384ELj137ELj64ElidEEvT5_PKS1_S3_NS_24const_host_device_scalarIT6_EEPKT4_S3_PKS5_S9_S3_SB_S6_S9_S3_SB_S9_PS1_PS5_21rocsparse_index_base_SE_SE_SE_bbb,"axG",@progbits,_ZN9rocsparseL26csrgemm_fill_block_per_rowILj1024ELj64ELj16384ELj137ELj64ElidEEvT5_PKS1_S3_NS_24const_host_device_scalarIT6_EEPKT4_S3_PKS5_S9_S3_SB_S6_S9_S3_SB_S9_PS1_PS5_21rocsparse_index_base_SE_SE_SE_bbb,comdat
.Lfunc_end212:
	.size	_ZN9rocsparseL26csrgemm_fill_block_per_rowILj1024ELj64ELj16384ELj137ELj64ElidEEvT5_PKS1_S3_NS_24const_host_device_scalarIT6_EEPKT4_S3_PKS5_S9_S3_SB_S6_S9_S3_SB_S9_PS1_PS5_21rocsparse_index_base_SE_SE_SE_bbb, .Lfunc_end212-_ZN9rocsparseL26csrgemm_fill_block_per_rowILj1024ELj64ELj16384ELj137ELj64ElidEEvT5_PKS1_S3_NS_24const_host_device_scalarIT6_EEPKT4_S3_PKS5_S9_S3_SB_S6_S9_S3_SB_S9_PS1_PS5_21rocsparse_index_base_SE_SE_SE_bbb
                                        ; -- End function
	.section	.AMDGPU.csdata,"",@progbits
; Kernel info:
; codeLenInByte = 3396
; NumSgprs: 67
; NumVgprs: 28
; NumAgprs: 0
; TotalNumVgprs: 28
; ScratchSize: 0
; MemoryBound: 0
; FloatMode: 240
; IeeeMode: 1
; LDSByteSize: 0 bytes/workgroup (compile time only)
; SGPRBlocks: 8
; VGPRBlocks: 3
; NumSGPRsForWavesPerEU: 67
; NumVGPRsForWavesPerEU: 28
; AccumOffset: 28
; Occupancy: 8
; WaveLimiterHint : 1
; COMPUTE_PGM_RSRC2:SCRATCH_EN: 0
; COMPUTE_PGM_RSRC2:USER_SGPR: 6
; COMPUTE_PGM_RSRC2:TRAP_HANDLER: 0
; COMPUTE_PGM_RSRC2:TGID_X_EN: 1
; COMPUTE_PGM_RSRC2:TGID_Y_EN: 0
; COMPUTE_PGM_RSRC2:TGID_Z_EN: 0
; COMPUTE_PGM_RSRC2:TIDIG_COMP_CNT: 0
; COMPUTE_PGM_RSRC3_GFX90A:ACCUM_OFFSET: 6
; COMPUTE_PGM_RSRC3_GFX90A:TG_SPLIT: 0
	.section	.text._ZN9rocsparseL26csrgemm_fill_block_per_rowILj1024ELj64ELj32768ELj137ELj32ElidEEvT5_PKS1_S3_NS_24const_host_device_scalarIT6_EEPKT4_S3_PKS5_S9_S3_SB_S6_S9_S3_SB_S9_PS1_PS5_21rocsparse_index_base_SE_SE_SE_bbb,"axG",@progbits,_ZN9rocsparseL26csrgemm_fill_block_per_rowILj1024ELj64ELj32768ELj137ELj32ElidEEvT5_PKS1_S3_NS_24const_host_device_scalarIT6_EEPKT4_S3_PKS5_S9_S3_SB_S6_S9_S3_SB_S9_PS1_PS5_21rocsparse_index_base_SE_SE_SE_bbb,comdat
	.globl	_ZN9rocsparseL26csrgemm_fill_block_per_rowILj1024ELj64ELj32768ELj137ELj32ElidEEvT5_PKS1_S3_NS_24const_host_device_scalarIT6_EEPKT4_S3_PKS5_S9_S3_SB_S6_S9_S3_SB_S9_PS1_PS5_21rocsparse_index_base_SE_SE_SE_bbb ; -- Begin function _ZN9rocsparseL26csrgemm_fill_block_per_rowILj1024ELj64ELj32768ELj137ELj32ElidEEvT5_PKS1_S3_NS_24const_host_device_scalarIT6_EEPKT4_S3_PKS5_S9_S3_SB_S6_S9_S3_SB_S9_PS1_PS5_21rocsparse_index_base_SE_SE_SE_bbb
	.p2align	8
	.type	_ZN9rocsparseL26csrgemm_fill_block_per_rowILj1024ELj64ELj32768ELj137ELj32ElidEEvT5_PKS1_S3_NS_24const_host_device_scalarIT6_EEPKT4_S3_PKS5_S9_S3_SB_S6_S9_S3_SB_S9_PS1_PS5_21rocsparse_index_base_SE_SE_SE_bbb,@function
_ZN9rocsparseL26csrgemm_fill_block_per_rowILj1024ELj64ELj32768ELj137ELj32ElidEEvT5_PKS1_S3_NS_24const_host_device_scalarIT6_EEPKT4_S3_PKS5_S9_S3_SB_S6_S9_S3_SB_S9_PS1_PS5_21rocsparse_index_base_SE_SE_SE_bbb: ; @_ZN9rocsparseL26csrgemm_fill_block_per_rowILj1024ELj64ELj32768ELj137ELj32ElidEEvT5_PKS1_S3_NS_24const_host_device_scalarIT6_EEPKT4_S3_PKS5_S9_S3_SB_S6_S9_S3_SB_S9_PS1_PS5_21rocsparse_index_base_SE_SE_SE_bbb
; %bb.0:
	s_load_dword s7, s[4:5], 0x98
	s_load_dwordx4 s[68:71], s[4:5], 0x88
	s_load_dwordx2 s[0:1], s[4:5], 0x18
	s_load_dwordx2 s[24:25], s[4:5], 0x50
	s_waitcnt lgkmcnt(0)
	s_and_b32 s2, 1, s7
	s_bitcmp1_b32 s7, 16
	s_cselect_b64 s[26:27], -1, 0
	s_cmp_eq_u32 s2, 1
	s_cselect_b64 s[22:23], -1, 0
	s_and_b64 s[2:3], s[22:23], exec
	s_cselect_b32 s3, s1, 0
	s_cselect_b32 s2, s0, 0
	s_xor_b64 s[8:9], s[22:23], -1
	s_or_b64 s[8:9], s[8:9], s[26:27]
	s_and_b64 vcc, exec, s[8:9]
	v_pk_mov_b32 v[4:5], s[2:3], s[2:3] op_sel:[0,1]
	s_cbranch_vccnz .LBB213_2
; %bb.1:
	v_pk_mov_b32 v[2:3], s[0:1], s[0:1] op_sel:[0,1]
	flat_load_dwordx2 v[4:5], v[2:3]
.LBB213_2:
	s_load_dwordx4 s[0:3], s[4:5], 0x78
                                        ; implicit-def: $vgpr27 : SGPR spill to VGPR lane
	s_load_dwordx8 s[8:15], s[4:5], 0x58
	s_bitcmp1_b32 s7, 8
	s_cselect_b64 s[20:21], -1, 0
	s_and_b64 s[28:29], s[20:21], exec
	s_waitcnt lgkmcnt(0)
	v_writelane_b32 v27, s0, 0
	v_writelane_b32 v27, s1, 1
	;; [unrolled: 1-line block ×12, first 2 shown]
	s_load_dwordx4 s[0:3], s[4:5], 0x40
	s_load_dwordx4 s[16:19], s[4:5], 0x8
	s_load_dwordx8 s[8:15], s[4:5], 0x20
	s_cselect_b32 s29, s25, 0
	s_cselect_b32 s28, s24, 0
	s_xor_b64 s[30:31], s[20:21], -1
	s_or_b64 s[26:27], s[30:31], s[26:27]
	s_and_b64 vcc, exec, s[26:27]
	v_pk_mov_b32 v[2:3], s[28:29], s[28:29] op_sel:[0,1]
	s_cbranch_vccnz .LBB213_4
; %bb.3:
	v_pk_mov_b32 v[2:3], s[24:25], s[24:25] op_sel:[0,1]
	flat_load_dwordx2 v[2:3], v[2:3]
.LBB213_4:
	s_load_dword s33, s[4:5], 0x0
	v_lshl_add_u32 v7, v0, 3, 0
	v_or_b32_e32 v1, 0xfffffc00, v0
	v_mov_b32_e32 v6, 0
	v_add_u32_e32 v16, 0x20000, v7
	v_lshl_add_u32 v17, v0, 2, 0
	s_mov_b64 s[4:5], 0
	s_waitcnt lgkmcnt(0)
	v_mov_b32_e32 v8, s33
	v_mov_b32_e32 v7, v6
	s_movk_i32 s7, 0x7bff
	v_mov_b32_e32 v9, v17
	v_mov_b32_e32 v10, v16
	;; [unrolled: 1-line block ×3, first 2 shown]
.LBB213_5:                              ; =>This Inner Loop Header: Depth=1
	v_add_u32_e32 v11, 0x400, v11
	v_cmp_lt_u32_e32 vcc, s7, v11
	ds_write_b32 v9, v8
	ds_write_b64 v10, v[6:7]
	v_add_u32_e32 v10, 0x2000, v10
	s_or_b64 s[4:5], vcc, s[4:5]
	v_add_u32_e32 v9, 0x1000, v9
	s_andn2_b64 exec, exec, s[4:5]
	s_cbranch_execnz .LBB213_5
; %bb.6:
	s_or_b64 exec, exec, s[4:5]
	s_waitcnt lgkmcnt(0)
	s_barrier
	s_load_dword s4, s[16:17], 0x0
	s_mov_b32 s5, 0
	s_waitcnt lgkmcnt(0)
	s_add_i32 s4, s4, s6
	s_lshl_b64 s[4:5], s[4:5], 2
	s_add_u32 s4, s18, s4
	s_addc_u32 s5, s19, s5
	s_load_dword s4, s[4:5], 0x0
	s_and_b64 vcc, exec, s[22:23]
	s_waitcnt lgkmcnt(0)
	v_writelane_b32 v27, s4, 12
	v_writelane_b32 v27, s5, 13
	s_cbranch_vccz .LBB213_26
; %bb.7:
	v_readlane_b32 s4, v27, 12
	v_readlane_b32 s5, v27, 13
	s_mov_b32 s6, s4
	s_ashr_i32 s7, s4, 31
	v_writelane_b32 v27, s4, 12
	v_writelane_b32 v27, s5, 13
	s_lshl_b64 s[4:5], s[6:7], 3
	s_add_u32 s4, s8, s4
	s_addc_u32 s5, s9, s5
	s_load_dwordx4 s[16:19], s[4:5], 0x0
	v_lshrrev_b32_e32 v6, 6, v0
	v_subrev_co_u32_e32 v6, vcc, s68, v6
	v_subb_co_u32_e64 v7, s[6:7], 0, 0, vcc
	s_waitcnt lgkmcnt(0)
	s_sub_u32 s4, s18, s68
	v_mov_b32_e32 v8, s17
	v_add_co_u32_e32 v6, vcc, s16, v6
	s_subb_u32 s5, s19, 0
	v_addc_co_u32_e32 v7, vcc, v8, v7, vcc
	v_cmp_gt_i64_e32 vcc, s[4:5], v[6:7]
	s_and_saveexec_b64 s[6:7], vcc
	s_cbranch_execz .LBB213_25
; %bb.8:
	v_and_b32_e32 v8, 63, v0
	v_subrev_co_u32_e32 v18, vcc, s69, v8
	s_mov_b32 s16, 0
	v_subb_co_u32_e64 v19, s[8:9], 0, 0, vcc
	s_mov_b32 s36, s69
	s_mov_b64 s[8:9], 0
	v_mov_b32_e32 v20, s11
	v_mov_b32_e32 v21, s15
	;; [unrolled: 1-line block ×3, first 2 shown]
	s_movk_i32 s11, 0x89
	s_branch .LBB213_10
.LBB213_9:                              ;   in Loop: Header=BB213_10 Depth=1
	s_or_b64 exec, exec, s[16:17]
	v_add_co_u32_e32 v6, vcc, 16, v6
	v_addc_co_u32_e32 v7, vcc, 0, v7, vcc
	v_cmp_le_i64_e32 vcc, s[4:5], v[6:7]
	s_or_b64 s[8:9], vcc, s[8:9]
	s_andn2_b64 exec, exec, s[8:9]
	s_cbranch_execz .LBB213_25
.LBB213_10:                             ; =>This Loop Header: Depth=1
                                        ;     Child Loop BB213_13 Depth 2
                                        ;       Child Loop BB213_15 Depth 3
	v_lshlrev_b64 v[8:9], 2, v[6:7]
	v_add_co_u32_e32 v8, vcc, s10, v8
	v_addc_co_u32_e32 v9, vcc, v20, v9, vcc
	global_load_dword v8, v[8:9], off
	s_waitcnt vmcnt(0)
	v_subrev_u32_e32 v8, s68, v8
	v_ashrrev_i32_e32 v9, 31, v8
	v_lshlrev_b64 v[8:9], 3, v[8:9]
	v_add_co_u32_e32 v8, vcc, s14, v8
	v_addc_co_u32_e32 v9, vcc, v21, v9, vcc
	global_load_dwordx4 v[10:13], v[8:9], off
	s_waitcnt vmcnt(0)
	v_subrev_co_u32_e32 v8, vcc, s36, v12
	v_subb_co_u32_e32 v9, vcc, v13, v22, vcc
	v_add_co_u32_e32 v10, vcc, v10, v18
	v_addc_co_u32_e32 v11, vcc, v11, v19, vcc
	v_cmp_lt_i64_e32 vcc, v[10:11], v[8:9]
	s_and_saveexec_b64 s[16:17], vcc
	s_cbranch_execz .LBB213_9
; %bb.11:                               ;   in Loop: Header=BB213_10 Depth=1
	v_lshlrev_b64 v[12:13], 3, v[6:7]
	v_mov_b32_e32 v14, s13
	v_add_co_u32_e32 v12, vcc, s12, v12
	v_addc_co_u32_e32 v13, vcc, v14, v13, vcc
	global_load_dwordx2 v[12:13], v[12:13], off
	s_mov_b64 s[18:19], 0
	s_waitcnt vmcnt(0)
	v_mul_f64 v[12:13], v[4:5], v[12:13]
	s_branch .LBB213_13
.LBB213_12:                             ;   in Loop: Header=BB213_13 Depth=2
	s_or_b64 exec, exec, s[22:23]
	v_add_co_u32_e32 v10, vcc, 64, v10
	v_addc_co_u32_e32 v11, vcc, 0, v11, vcc
	v_cmp_ge_i64_e32 vcc, v[10:11], v[8:9]
	s_or_b64 s[18:19], vcc, s[18:19]
	s_andn2_b64 exec, exec, s[18:19]
	s_cbranch_execz .LBB213_9
.LBB213_13:                             ;   Parent Loop BB213_10 Depth=1
                                        ; =>  This Loop Header: Depth=2
                                        ;       Child Loop BB213_15 Depth 3
	v_lshlrev_b64 v[14:15], 2, v[10:11]
	v_mov_b32_e32 v23, s1
	v_add_co_u32_e32 v14, vcc, s0, v14
	v_addc_co_u32_e32 v15, vcc, v23, v15, vcc
	global_load_dword v23, v[14:15], off
	v_lshlrev_b64 v[14:15], 3, v[10:11]
	v_mov_b32_e32 v24, s3
	v_add_co_u32_e32 v14, vcc, s2, v14
	v_addc_co_u32_e32 v15, vcc, v24, v15, vcc
	global_load_dwordx2 v[14:15], v[14:15], off
	s_mov_b64 s[22:23], 0
	s_waitcnt vmcnt(1)
	v_subrev_u32_e32 v23, s69, v23
	v_mul_lo_u32 v24, v23, s11
	v_and_b32_e32 v24, 0x7fff, v24
	s_waitcnt vmcnt(0)
	v_mul_f64 v[14:15], v[12:13], v[14:15]
	s_branch .LBB213_15
.LBB213_14:                             ;   in Loop: Header=BB213_15 Depth=3
	s_or_b64 exec, exec, s[24:25]
	s_xor_b64 s[24:25], s[26:27], -1
	s_and_b64 s[24:25], exec, s[24:25]
	s_or_b64 s[22:23], s[24:25], s[22:23]
	s_andn2_b64 exec, exec, s[22:23]
	s_cbranch_execz .LBB213_12
.LBB213_15:                             ;   Parent Loop BB213_10 Depth=1
                                        ;     Parent Loop BB213_13 Depth=2
                                        ; =>    This Inner Loop Header: Depth=3
	v_lshl_add_u32 v25, v24, 2, 0
	ds_read_b32 v26, v25
                                        ; implicit-def: $sgpr26_sgpr27
	s_waitcnt lgkmcnt(0)
	v_cmp_ne_u32_e32 vcc, v26, v23
	s_and_saveexec_b64 s[24:25], vcc
	s_xor_b64 s[24:25], exec, s[24:25]
	s_cbranch_execz .LBB213_23
; %bb.16:                               ;   in Loop: Header=BB213_15 Depth=3
	v_cmp_ne_u32_e32 vcc, s33, v26
                                        ; implicit-def: $sgpr26_sgpr27
	s_and_saveexec_b64 s[28:29], vcc
	s_xor_b64 s[28:29], exec, s[28:29]
; %bb.17:                               ;   in Loop: Header=BB213_15 Depth=3
	v_add_u32_e32 v24, 1, v24
	v_and_b32_e32 v24, 0x7fff, v24
	s_mov_b64 s[26:27], -1
                                        ; implicit-def: $vgpr25
; %bb.18:                               ;   in Loop: Header=BB213_15 Depth=3
	s_andn2_saveexec_b64 s[28:29], s[28:29]
	s_cbranch_execz .LBB213_22
; %bb.19:                               ;   in Loop: Header=BB213_15 Depth=3
	v_mov_b32_e32 v26, s33
	ds_cmpst_rtn_b32 v25, v25, v26, v23
	s_mov_b64 s[30:31], -1
	s_waitcnt lgkmcnt(0)
	v_cmp_eq_u32_e32 vcc, s33, v25
	s_and_saveexec_b64 s[34:35], vcc
	s_cbranch_execz .LBB213_21
; %bb.20:                               ;   in Loop: Header=BB213_15 Depth=3
	v_lshl_add_u32 v25, v24, 3, 0
	v_add_u32_e32 v25, 0x20000, v25
	ds_add_f64 v25, v[14:15]
	s_xor_b64 s[30:31], exec, -1
.LBB213_21:                             ;   in Loop: Header=BB213_15 Depth=3
	s_or_b64 exec, exec, s[34:35]
	s_andn2_b64 s[26:27], s[26:27], exec
	s_and_b64 s[30:31], s[30:31], exec
	s_or_b64 s[26:27], s[26:27], s[30:31]
.LBB213_22:                             ;   in Loop: Header=BB213_15 Depth=3
	s_or_b64 exec, exec, s[28:29]
	s_and_b64 s[26:27], s[26:27], exec
.LBB213_23:                             ;   in Loop: Header=BB213_15 Depth=3
	s_andn2_saveexec_b64 s[24:25], s[24:25]
	s_cbranch_execz .LBB213_14
; %bb.24:                               ;   in Loop: Header=BB213_15 Depth=3
	v_lshl_add_u32 v25, v24, 3, 0
	v_add_u32_e32 v25, 0x20000, v25
	ds_add_f64 v25, v[14:15]
	s_andn2_b64 s[26:27], s[26:27], exec
	s_branch .LBB213_14
.LBB213_25:
	s_or_b64 exec, exec, s[6:7]
.LBB213_26:
	s_andn2_b64 vcc, exec, s[20:21]
	s_cbranch_vccnz .LBB213_43
; %bb.27:
	v_readlane_b32 s0, v27, 12
	v_readlane_b32 s1, v27, 13
	s_mov_b32 s2, s0
	s_ashr_i32 s3, s0, 31
	v_writelane_b32 v27, s0, 12
	v_writelane_b32 v27, s1, 13
	s_lshl_b64 s[0:1], s[2:3], 3
	v_readlane_b32 s4, v27, 4
	v_readlane_b32 s5, v27, 5
	s_add_u32 s0, s4, s0
	v_readlane_b32 s6, v27, 6
	v_readlane_b32 s7, v27, 7
	s_addc_u32 s1, s5, s1
	s_load_dwordx4 s[4:7], s[0:1], 0x0
	s_waitcnt vmcnt(0)
	v_subrev_co_u32_e32 v4, vcc, s71, v0
	v_subb_co_u32_e64 v5, s[0:1], 0, 0, vcc
	s_waitcnt lgkmcnt(0)
	s_sub_u32 s0, s6, s71
	v_mov_b32_e32 v6, s5
	v_add_co_u32_e32 v4, vcc, s4, v4
	s_subb_u32 s1, s7, 0
	v_addc_co_u32_e32 v5, vcc, v6, v5, vcc
	v_cmp_gt_i64_e32 vcc, s[0:1], v[4:5]
	v_readlane_b32 s8, v27, 8
	v_readlane_b32 s9, v27, 9
	;; [unrolled: 1-line block ×4, first 2 shown]
	s_and_saveexec_b64 s[2:3], vcc
	s_cbranch_execz .LBB213_42
; %bb.28:
	v_readlane_b32 s8, v27, 4
	v_readlane_b32 s9, v27, 5
	;; [unrolled: 1-line block ×8, first 2 shown]
	s_mov_b64 s[6:7], s[10:11]
	s_mov_b64 s[8:9], s[12:13]
	;; [unrolled: 1-line block ×3, first 2 shown]
	v_mov_b32_e32 v8, s7
	v_mov_b32_e32 v9, s9
	s_movk_i32 s18, 0x89
	s_mov_b64 s[10:11], s[14:15]
	s_branch .LBB213_30
.LBB213_29:                             ;   in Loop: Header=BB213_30 Depth=1
	s_or_b64 exec, exec, s[6:7]
	v_add_co_u32_e32 v4, vcc, 0x400, v4
	v_addc_co_u32_e32 v5, vcc, 0, v5, vcc
	v_cmp_le_i64_e32 vcc, s[0:1], v[4:5]
	s_or_b64 s[4:5], vcc, s[4:5]
	s_andn2_b64 exec, exec, s[4:5]
	s_cbranch_execz .LBB213_42
.LBB213_30:                             ; =>This Loop Header: Depth=1
                                        ;     Child Loop BB213_32 Depth 2
	v_readlane_b32 s8, v27, 4
	v_readlane_b32 s10, v27, 6
	v_lshlrev_b64 v[6:7], 2, v[4:5]
	s_mov_b32 s6, s10
	v_add_co_u32_e32 v6, vcc, s6, v6
	v_readlane_b32 s12, v27, 8
	v_addc_co_u32_e32 v7, vcc, v8, v7, vcc
	s_mov_b32 s8, s12
	global_load_dword v10, v[6:7], off
	v_lshlrev_b64 v[6:7], 3, v[4:5]
	v_add_co_u32_e32 v6, vcc, s8, v6
	v_addc_co_u32_e32 v7, vcc, v9, v7, vcc
	global_load_dwordx2 v[6:7], v[6:7], off
	s_mov_b64 s[6:7], 0
	v_readlane_b32 s9, v27, 5
	v_readlane_b32 s11, v27, 7
	;; [unrolled: 1-line block ×5, first 2 shown]
	s_waitcnt vmcnt(1)
	v_subrev_u32_e32 v10, s71, v10
	v_mul_lo_u32 v11, v10, s18
	v_and_b32_e32 v11, 0x7fff, v11
	s_waitcnt vmcnt(0)
	v_mul_f64 v[6:7], v[2:3], v[6:7]
	s_branch .LBB213_32
.LBB213_31:                             ;   in Loop: Header=BB213_32 Depth=2
	s_or_b64 exec, exec, s[8:9]
	s_xor_b64 s[8:9], s[10:11], -1
	s_and_b64 s[8:9], exec, s[8:9]
	s_or_b64 s[6:7], s[8:9], s[6:7]
	s_andn2_b64 exec, exec, s[6:7]
	s_cbranch_execz .LBB213_29
.LBB213_32:                             ;   Parent Loop BB213_30 Depth=1
                                        ; =>  This Inner Loop Header: Depth=2
	v_lshl_add_u32 v12, v11, 2, 0
	ds_read_b32 v13, v12
                                        ; implicit-def: $sgpr10_sgpr11
	s_waitcnt lgkmcnt(0)
	v_cmp_ne_u32_e32 vcc, v13, v10
	s_and_saveexec_b64 s[8:9], vcc
	s_xor_b64 s[8:9], exec, s[8:9]
	s_cbranch_execz .LBB213_40
; %bb.33:                               ;   in Loop: Header=BB213_32 Depth=2
	v_cmp_ne_u32_e32 vcc, s33, v13
                                        ; implicit-def: $sgpr10_sgpr11
	s_and_saveexec_b64 s[12:13], vcc
	s_xor_b64 s[12:13], exec, s[12:13]
; %bb.34:                               ;   in Loop: Header=BB213_32 Depth=2
	v_add_u32_e32 v11, 1, v11
	v_and_b32_e32 v11, 0x7fff, v11
	s_mov_b64 s[10:11], -1
                                        ; implicit-def: $vgpr12
; %bb.35:                               ;   in Loop: Header=BB213_32 Depth=2
	s_andn2_saveexec_b64 s[12:13], s[12:13]
	s_cbranch_execz .LBB213_39
; %bb.36:                               ;   in Loop: Header=BB213_32 Depth=2
	v_mov_b32_e32 v13, s33
	ds_cmpst_rtn_b32 v12, v12, v13, v10
	s_mov_b64 s[14:15], -1
	s_waitcnt lgkmcnt(0)
	v_cmp_eq_u32_e32 vcc, s33, v12
	s_and_saveexec_b64 s[16:17], vcc
	s_cbranch_execz .LBB213_38
; %bb.37:                               ;   in Loop: Header=BB213_32 Depth=2
	v_lshl_add_u32 v12, v11, 3, 0
	v_add_u32_e32 v12, 0x20000, v12
	ds_add_f64 v12, v[6:7]
	s_xor_b64 s[14:15], exec, -1
.LBB213_38:                             ;   in Loop: Header=BB213_32 Depth=2
	s_or_b64 exec, exec, s[16:17]
	s_andn2_b64 s[10:11], s[10:11], exec
	s_and_b64 s[14:15], s[14:15], exec
	s_or_b64 s[10:11], s[10:11], s[14:15]
.LBB213_39:                             ;   in Loop: Header=BB213_32 Depth=2
	s_or_b64 exec, exec, s[12:13]
	s_and_b64 s[10:11], s[10:11], exec
.LBB213_40:                             ;   in Loop: Header=BB213_32 Depth=2
	s_andn2_saveexec_b64 s[8:9], s[8:9]
	s_cbranch_execz .LBB213_31
; %bb.41:                               ;   in Loop: Header=BB213_32 Depth=2
	v_lshl_add_u32 v12, v11, 3, 0
	v_add_u32_e32 v12, 0x20000, v12
	ds_add_f64 v12, v[6:7]
	s_andn2_b64 s[10:11], s[10:11], exec
	s_branch .LBB213_31
.LBB213_42:
	s_or_b64 exec, exec, s[2:3]
.LBB213_43:
	s_add_i32 s0, 0, 0x60000
	v_writelane_b32 v27, s0, 14
	s_add_i32 s60, 0, 0x60004
	v_writelane_b32 v27, s60, 15
	;; [unrolled: 2-line block ×5, first 2 shown]
	s_add_i32 s60, 0, 0x60014
	s_waitcnt vmcnt(0)
	v_lshrrev_b32_e32 v4, 3, v0
	v_writelane_b32 v27, s60, 19
	s_add_i32 s60, 0, 0x60018
	v_mbcnt_lo_u32_b32 v2, -1, 0
	v_and_b32_e32 v4, 0x7c, v4
	v_writelane_b32 v27, s60, 20
	s_add_i32 s60, 0, 0x6001c
	v_mbcnt_hi_u32_b32 v2, -1, v2
	v_add_u32_e32 v7, s0, v4
	s_movk_i32 s0, 0x3ff
	v_writelane_b32 v27, s60, 21
	s_add_i32 s60, 0, 0x60020
	v_sub_u32_e32 v2, 63, v2
	v_cmp_eq_u32_e32 vcc, s0, v0
	s_movk_i32 s0, 0x5f
	s_movk_i32 s2, 0x7f
	;; [unrolled: 1-line block ×29, first 2 shown]
	v_writelane_b32 v27, s60, 22
	s_add_i32 s60, 0, 0x60024
	v_mov_b32_e32 v6, 0
	v_lshrrev_b64 v[2:3], v2, -1
	v_cmp_lt_u32_e64 s[0:1], s0, v0
	v_cmp_lt_u32_e64 s[2:3], s2, v0
	;; [unrolled: 1-line block ×29, first 2 shown]
	v_writelane_b32 v27, s60, 23
	s_add_i32 s88, 0, 0x60028
	s_add_i32 s89, 0, 0x6002c
	;; [unrolled: 1-line block ×22, first 2 shown]
	s_movk_i32 s85, 0x7bff
	v_cmp_lt_u32_e64 s[60:61], 31, v0
	v_cmp_lt_u32_e64 s[62:63], 63, v0
	s_mov_b64 s[68:69], 0
	s_waitcnt lgkmcnt(0)
	s_barrier
	s_branch .LBB213_45
.LBB213_44:                             ;   in Loop: Header=BB213_45 Depth=1
	s_or_b64 exec, exec, s[64:65]
	v_mov_b32_e32 v4, s84
	s_waitcnt lgkmcnt(0)
	s_barrier
	ds_read_b32 v4, v4
	v_add_u32_e32 v1, 0x400, v1
	v_cmp_lt_u32_e64 s[64:65], s85, v1
	v_add_u32_e32 v16, 0x2000, v16
	s_or_b64 s[68:69], s[64:65], s[68:69]
	s_waitcnt lgkmcnt(0)
	v_add_u32_e32 v6, v4, v6
	v_add_u32_e32 v17, 0x1000, v17
	s_andn2_b64 exec, exec, s[68:69]
	s_cbranch_execz .LBB213_111
.LBB213_45:                             ; =>This Inner Loop Header: Depth=1
	ds_read_b32 v8, v17
	ds_read_b64 v[4:5], v16
	s_waitcnt lgkmcnt(0)
	s_barrier
	v_cmp_gt_i32_e64 s[64:65], s33, v8
	v_and_b32_e32 v10, s64, v2
	s_bcnt1_i32_b64 s78, s[64:65]
	v_and_b32_e32 v9, s65, v3
	v_bcnt_u32_b32 v10, v10, 0
	v_bcnt_u32_b32 v9, v9, v10
	v_mov_b32_e32 v10, s78
	ds_write_b32 v7, v10
	s_waitcnt lgkmcnt(0)
	s_barrier
	s_and_saveexec_b64 s[78:79], s[60:61]
	s_cbranch_execnz .LBB213_78
; %bb.46:                               ;   in Loop: Header=BB213_45 Depth=1
	s_or_b64 exec, exec, s[78:79]
	s_and_saveexec_b64 s[78:79], s[62:63]
	s_cbranch_execnz .LBB213_79
.LBB213_47:                             ;   in Loop: Header=BB213_45 Depth=1
	s_or_b64 exec, exec, s[78:79]
	s_and_saveexec_b64 s[78:79], s[0:1]
	s_cbranch_execnz .LBB213_80
.LBB213_48:                             ;   in Loop: Header=BB213_45 Depth=1
	s_or_b64 exec, exec, s[78:79]
	s_and_saveexec_b64 s[78:79], s[2:3]
	s_cbranch_execnz .LBB213_81
.LBB213_49:                             ;   in Loop: Header=BB213_45 Depth=1
	s_or_b64 exec, exec, s[78:79]
	s_and_saveexec_b64 s[78:79], s[4:5]
	s_cbranch_execnz .LBB213_82
.LBB213_50:                             ;   in Loop: Header=BB213_45 Depth=1
	s_or_b64 exec, exec, s[78:79]
	s_and_saveexec_b64 s[78:79], s[6:7]
	s_cbranch_execnz .LBB213_83
.LBB213_51:                             ;   in Loop: Header=BB213_45 Depth=1
	s_or_b64 exec, exec, s[78:79]
	s_and_saveexec_b64 s[78:79], s[8:9]
	s_cbranch_execnz .LBB213_84
.LBB213_52:                             ;   in Loop: Header=BB213_45 Depth=1
	s_or_b64 exec, exec, s[78:79]
	s_and_saveexec_b64 s[78:79], s[10:11]
	s_cbranch_execnz .LBB213_85
.LBB213_53:                             ;   in Loop: Header=BB213_45 Depth=1
	s_or_b64 exec, exec, s[78:79]
	s_and_saveexec_b64 s[78:79], s[12:13]
	s_cbranch_execnz .LBB213_86
.LBB213_54:                             ;   in Loop: Header=BB213_45 Depth=1
	s_or_b64 exec, exec, s[78:79]
	s_and_saveexec_b64 s[78:79], s[14:15]
	s_cbranch_execnz .LBB213_87
.LBB213_55:                             ;   in Loop: Header=BB213_45 Depth=1
	s_or_b64 exec, exec, s[78:79]
	s_and_saveexec_b64 s[78:79], s[16:17]
	s_cbranch_execnz .LBB213_88
.LBB213_56:                             ;   in Loop: Header=BB213_45 Depth=1
	s_or_b64 exec, exec, s[78:79]
	s_and_saveexec_b64 s[78:79], s[18:19]
	s_cbranch_execnz .LBB213_89
.LBB213_57:                             ;   in Loop: Header=BB213_45 Depth=1
	s_or_b64 exec, exec, s[78:79]
	s_and_saveexec_b64 s[78:79], s[20:21]
	s_cbranch_execnz .LBB213_90
.LBB213_58:                             ;   in Loop: Header=BB213_45 Depth=1
	s_or_b64 exec, exec, s[78:79]
	s_and_saveexec_b64 s[78:79], s[22:23]
	s_cbranch_execnz .LBB213_91
.LBB213_59:                             ;   in Loop: Header=BB213_45 Depth=1
	s_or_b64 exec, exec, s[78:79]
	s_and_saveexec_b64 s[78:79], s[24:25]
	s_cbranch_execnz .LBB213_92
.LBB213_60:                             ;   in Loop: Header=BB213_45 Depth=1
	s_or_b64 exec, exec, s[78:79]
	s_and_saveexec_b64 s[78:79], s[26:27]
	s_cbranch_execnz .LBB213_93
.LBB213_61:                             ;   in Loop: Header=BB213_45 Depth=1
	s_or_b64 exec, exec, s[78:79]
	s_and_saveexec_b64 s[78:79], s[28:29]
	s_cbranch_execnz .LBB213_94
.LBB213_62:                             ;   in Loop: Header=BB213_45 Depth=1
	s_or_b64 exec, exec, s[78:79]
	s_and_saveexec_b64 s[78:79], s[30:31]
	s_cbranch_execnz .LBB213_95
.LBB213_63:                             ;   in Loop: Header=BB213_45 Depth=1
	s_or_b64 exec, exec, s[78:79]
	s_and_saveexec_b64 s[78:79], s[34:35]
	s_cbranch_execnz .LBB213_96
.LBB213_64:                             ;   in Loop: Header=BB213_45 Depth=1
	s_or_b64 exec, exec, s[78:79]
	s_and_saveexec_b64 s[78:79], s[36:37]
	s_cbranch_execnz .LBB213_97
.LBB213_65:                             ;   in Loop: Header=BB213_45 Depth=1
	s_or_b64 exec, exec, s[78:79]
	s_and_saveexec_b64 s[78:79], s[38:39]
	s_cbranch_execnz .LBB213_98
.LBB213_66:                             ;   in Loop: Header=BB213_45 Depth=1
	s_or_b64 exec, exec, s[78:79]
	s_and_saveexec_b64 s[78:79], s[40:41]
	s_cbranch_execnz .LBB213_99
.LBB213_67:                             ;   in Loop: Header=BB213_45 Depth=1
	s_or_b64 exec, exec, s[78:79]
	s_and_saveexec_b64 s[78:79], s[42:43]
	s_cbranch_execnz .LBB213_100
.LBB213_68:                             ;   in Loop: Header=BB213_45 Depth=1
	s_or_b64 exec, exec, s[78:79]
	s_and_saveexec_b64 s[78:79], s[44:45]
	s_cbranch_execnz .LBB213_101
.LBB213_69:                             ;   in Loop: Header=BB213_45 Depth=1
	s_or_b64 exec, exec, s[78:79]
	s_and_saveexec_b64 s[78:79], s[46:47]
	s_cbranch_execnz .LBB213_102
.LBB213_70:                             ;   in Loop: Header=BB213_45 Depth=1
	s_or_b64 exec, exec, s[78:79]
	s_and_saveexec_b64 s[78:79], s[48:49]
	s_cbranch_execnz .LBB213_103
.LBB213_71:                             ;   in Loop: Header=BB213_45 Depth=1
	s_or_b64 exec, exec, s[78:79]
	s_and_saveexec_b64 s[78:79], s[50:51]
	s_cbranch_execnz .LBB213_104
.LBB213_72:                             ;   in Loop: Header=BB213_45 Depth=1
	s_or_b64 exec, exec, s[78:79]
	s_and_saveexec_b64 s[78:79], s[52:53]
	s_cbranch_execnz .LBB213_105
.LBB213_73:                             ;   in Loop: Header=BB213_45 Depth=1
	s_or_b64 exec, exec, s[78:79]
	s_and_saveexec_b64 s[78:79], s[54:55]
	s_cbranch_execnz .LBB213_106
.LBB213_74:                             ;   in Loop: Header=BB213_45 Depth=1
	s_or_b64 exec, exec, s[78:79]
	s_and_saveexec_b64 s[78:79], s[56:57]
	s_cbranch_execnz .LBB213_107
.LBB213_75:                             ;   in Loop: Header=BB213_45 Depth=1
	s_or_b64 exec, exec, s[78:79]
	s_and_saveexec_b64 s[78:79], s[58:59]
	s_cbranch_execnz .LBB213_108
.LBB213_76:                             ;   in Loop: Header=BB213_45 Depth=1
	s_or_b64 exec, exec, s[78:79]
	s_and_saveexec_b64 s[78:79], s[64:65]
	s_cbranch_execnz .LBB213_109
.LBB213_77:                             ;   in Loop: Header=BB213_45 Depth=1
	s_or_b64 exec, exec, s[78:79]
	s_and_saveexec_b64 s[64:65], vcc
	s_cbranch_execz .LBB213_44
	s_branch .LBB213_110
.LBB213_78:                             ;   in Loop: Header=BB213_45 Depth=1
	v_readlane_b32 s86, v27, 14
	v_mov_b32_e32 v10, s86
	ds_read_b32 v10, v10
	s_waitcnt lgkmcnt(0)
	v_add_u32_e32 v9, v10, v9
	s_or_b64 exec, exec, s[78:79]
	s_and_saveexec_b64 s[78:79], s[62:63]
	s_cbranch_execz .LBB213_47
.LBB213_79:                             ;   in Loop: Header=BB213_45 Depth=1
	v_readlane_b32 s86, v27, 15
	v_mov_b32_e32 v10, s86
	ds_read_b32 v10, v10
	s_waitcnt lgkmcnt(0)
	v_add_u32_e32 v9, v10, v9
	s_or_b64 exec, exec, s[78:79]
	s_and_saveexec_b64 s[78:79], s[0:1]
	s_cbranch_execz .LBB213_48
.LBB213_80:                             ;   in Loop: Header=BB213_45 Depth=1
	v_readlane_b32 s86, v27, 16
	v_mov_b32_e32 v10, s86
	ds_read_b32 v10, v10
	s_waitcnt lgkmcnt(0)
	v_add_u32_e32 v9, v10, v9
	s_or_b64 exec, exec, s[78:79]
	s_and_saveexec_b64 s[78:79], s[2:3]
	s_cbranch_execz .LBB213_49
.LBB213_81:                             ;   in Loop: Header=BB213_45 Depth=1
	v_readlane_b32 s86, v27, 17
	v_mov_b32_e32 v10, s86
	ds_read_b32 v10, v10
	s_waitcnt lgkmcnt(0)
	v_add_u32_e32 v9, v10, v9
	s_or_b64 exec, exec, s[78:79]
	s_and_saveexec_b64 s[78:79], s[4:5]
	s_cbranch_execz .LBB213_50
.LBB213_82:                             ;   in Loop: Header=BB213_45 Depth=1
	v_readlane_b32 s86, v27, 18
	v_mov_b32_e32 v10, s86
	ds_read_b32 v10, v10
	s_waitcnt lgkmcnt(0)
	v_add_u32_e32 v9, v10, v9
	s_or_b64 exec, exec, s[78:79]
	s_and_saveexec_b64 s[78:79], s[6:7]
	s_cbranch_execz .LBB213_51
.LBB213_83:                             ;   in Loop: Header=BB213_45 Depth=1
	v_readlane_b32 s86, v27, 19
	v_mov_b32_e32 v10, s86
	ds_read_b32 v10, v10
	s_waitcnt lgkmcnt(0)
	v_add_u32_e32 v9, v10, v9
	s_or_b64 exec, exec, s[78:79]
	s_and_saveexec_b64 s[78:79], s[8:9]
	s_cbranch_execz .LBB213_52
.LBB213_84:                             ;   in Loop: Header=BB213_45 Depth=1
	v_readlane_b32 s86, v27, 20
	v_mov_b32_e32 v10, s86
	ds_read_b32 v10, v10
	s_waitcnt lgkmcnt(0)
	v_add_u32_e32 v9, v10, v9
	s_or_b64 exec, exec, s[78:79]
	s_and_saveexec_b64 s[78:79], s[10:11]
	s_cbranch_execz .LBB213_53
.LBB213_85:                             ;   in Loop: Header=BB213_45 Depth=1
	v_readlane_b32 s86, v27, 21
	v_mov_b32_e32 v10, s86
	ds_read_b32 v10, v10
	s_waitcnt lgkmcnt(0)
	v_add_u32_e32 v9, v10, v9
	s_or_b64 exec, exec, s[78:79]
	s_and_saveexec_b64 s[78:79], s[12:13]
	s_cbranch_execz .LBB213_54
.LBB213_86:                             ;   in Loop: Header=BB213_45 Depth=1
	v_readlane_b32 s86, v27, 22
	v_mov_b32_e32 v10, s86
	ds_read_b32 v10, v10
	s_waitcnt lgkmcnt(0)
	v_add_u32_e32 v9, v10, v9
	s_or_b64 exec, exec, s[78:79]
	s_and_saveexec_b64 s[78:79], s[14:15]
	s_cbranch_execz .LBB213_55
.LBB213_87:                             ;   in Loop: Header=BB213_45 Depth=1
	v_readlane_b32 s86, v27, 23
	v_mov_b32_e32 v10, s86
	ds_read_b32 v10, v10
	s_waitcnt lgkmcnt(0)
	v_add_u32_e32 v9, v10, v9
	s_or_b64 exec, exec, s[78:79]
	s_and_saveexec_b64 s[78:79], s[16:17]
	s_cbranch_execz .LBB213_56
.LBB213_88:                             ;   in Loop: Header=BB213_45 Depth=1
	v_mov_b32_e32 v10, s88
	ds_read_b32 v10, v10
	s_waitcnt lgkmcnt(0)
	v_add_u32_e32 v9, v10, v9
	s_or_b64 exec, exec, s[78:79]
	s_and_saveexec_b64 s[78:79], s[18:19]
	s_cbranch_execz .LBB213_57
.LBB213_89:                             ;   in Loop: Header=BB213_45 Depth=1
	v_mov_b32_e32 v10, s89
	ds_read_b32 v10, v10
	s_waitcnt lgkmcnt(0)
	v_add_u32_e32 v9, v10, v9
	s_or_b64 exec, exec, s[78:79]
	s_and_saveexec_b64 s[78:79], s[20:21]
	s_cbranch_execz .LBB213_58
.LBB213_90:                             ;   in Loop: Header=BB213_45 Depth=1
	v_mov_b32_e32 v10, s90
	ds_read_b32 v10, v10
	s_waitcnt lgkmcnt(0)
	v_add_u32_e32 v9, v10, v9
	s_or_b64 exec, exec, s[78:79]
	s_and_saveexec_b64 s[78:79], s[22:23]
	s_cbranch_execz .LBB213_59
.LBB213_91:                             ;   in Loop: Header=BB213_45 Depth=1
	v_mov_b32_e32 v10, s91
	ds_read_b32 v10, v10
	s_waitcnt lgkmcnt(0)
	v_add_u32_e32 v9, v10, v9
	s_or_b64 exec, exec, s[78:79]
	s_and_saveexec_b64 s[78:79], s[24:25]
	s_cbranch_execz .LBB213_60
.LBB213_92:                             ;   in Loop: Header=BB213_45 Depth=1
	v_mov_b32_e32 v10, s92
	ds_read_b32 v10, v10
	s_waitcnt lgkmcnt(0)
	v_add_u32_e32 v9, v10, v9
	s_or_b64 exec, exec, s[78:79]
	s_and_saveexec_b64 s[78:79], s[26:27]
	s_cbranch_execz .LBB213_61
.LBB213_93:                             ;   in Loop: Header=BB213_45 Depth=1
	v_mov_b32_e32 v10, s93
	ds_read_b32 v10, v10
	s_waitcnt lgkmcnt(0)
	v_add_u32_e32 v9, v10, v9
	s_or_b64 exec, exec, s[78:79]
	s_and_saveexec_b64 s[78:79], s[28:29]
	s_cbranch_execz .LBB213_62
.LBB213_94:                             ;   in Loop: Header=BB213_45 Depth=1
	v_mov_b32_e32 v10, s94
	ds_read_b32 v10, v10
	s_waitcnt lgkmcnt(0)
	v_add_u32_e32 v9, v10, v9
	s_or_b64 exec, exec, s[78:79]
	s_and_saveexec_b64 s[78:79], s[30:31]
	s_cbranch_execz .LBB213_63
.LBB213_95:                             ;   in Loop: Header=BB213_45 Depth=1
	v_mov_b32_e32 v10, s95
	ds_read_b32 v10, v10
	s_waitcnt lgkmcnt(0)
	v_add_u32_e32 v9, v10, v9
	s_or_b64 exec, exec, s[78:79]
	s_and_saveexec_b64 s[78:79], s[34:35]
	s_cbranch_execz .LBB213_64
.LBB213_96:                             ;   in Loop: Header=BB213_45 Depth=1
	v_mov_b32_e32 v10, s76
	ds_read_b32 v10, v10
	s_waitcnt lgkmcnt(0)
	v_add_u32_e32 v9, v10, v9
	s_or_b64 exec, exec, s[78:79]
	s_and_saveexec_b64 s[78:79], s[36:37]
	s_cbranch_execz .LBB213_65
.LBB213_97:                             ;   in Loop: Header=BB213_45 Depth=1
	v_mov_b32_e32 v10, s66
	ds_read_b32 v10, v10
	s_waitcnt lgkmcnt(0)
	v_add_u32_e32 v9, v10, v9
	s_or_b64 exec, exec, s[78:79]
	s_and_saveexec_b64 s[78:79], s[38:39]
	s_cbranch_execz .LBB213_66
.LBB213_98:                             ;   in Loop: Header=BB213_45 Depth=1
	v_mov_b32_e32 v10, s67
	ds_read_b32 v10, v10
	s_waitcnt lgkmcnt(0)
	v_add_u32_e32 v9, v10, v9
	s_or_b64 exec, exec, s[78:79]
	s_and_saveexec_b64 s[78:79], s[40:41]
	s_cbranch_execz .LBB213_67
.LBB213_99:                             ;   in Loop: Header=BB213_45 Depth=1
	v_mov_b32_e32 v10, s72
	ds_read_b32 v10, v10
	s_waitcnt lgkmcnt(0)
	v_add_u32_e32 v9, v10, v9
	s_or_b64 exec, exec, s[78:79]
	s_and_saveexec_b64 s[78:79], s[42:43]
	s_cbranch_execz .LBB213_68
.LBB213_100:                            ;   in Loop: Header=BB213_45 Depth=1
	v_mov_b32_e32 v10, s73
	ds_read_b32 v10, v10
	s_waitcnt lgkmcnt(0)
	v_add_u32_e32 v9, v10, v9
	s_or_b64 exec, exec, s[78:79]
	s_and_saveexec_b64 s[78:79], s[44:45]
	s_cbranch_execz .LBB213_69
.LBB213_101:                            ;   in Loop: Header=BB213_45 Depth=1
	v_mov_b32_e32 v10, s74
	ds_read_b32 v10, v10
	s_waitcnt lgkmcnt(0)
	v_add_u32_e32 v9, v10, v9
	s_or_b64 exec, exec, s[78:79]
	s_and_saveexec_b64 s[78:79], s[46:47]
	s_cbranch_execz .LBB213_70
.LBB213_102:                            ;   in Loop: Header=BB213_45 Depth=1
	v_mov_b32_e32 v10, s75
	ds_read_b32 v10, v10
	s_waitcnt lgkmcnt(0)
	v_add_u32_e32 v9, v10, v9
	s_or_b64 exec, exec, s[78:79]
	s_and_saveexec_b64 s[78:79], s[48:49]
	s_cbranch_execz .LBB213_71
.LBB213_103:                            ;   in Loop: Header=BB213_45 Depth=1
	v_mov_b32_e32 v10, s71
	ds_read_b32 v10, v10
	s_waitcnt lgkmcnt(0)
	v_add_u32_e32 v9, v10, v9
	s_or_b64 exec, exec, s[78:79]
	s_and_saveexec_b64 s[78:79], s[50:51]
	s_cbranch_execz .LBB213_72
.LBB213_104:                            ;   in Loop: Header=BB213_45 Depth=1
	v_mov_b32_e32 v10, s77
	ds_read_b32 v10, v10
	s_waitcnt lgkmcnt(0)
	v_add_u32_e32 v9, v10, v9
	s_or_b64 exec, exec, s[78:79]
	s_and_saveexec_b64 s[78:79], s[52:53]
	s_cbranch_execz .LBB213_73
.LBB213_105:                            ;   in Loop: Header=BB213_45 Depth=1
	v_mov_b32_e32 v10, s80
	ds_read_b32 v10, v10
	s_waitcnt lgkmcnt(0)
	v_add_u32_e32 v9, v10, v9
	s_or_b64 exec, exec, s[78:79]
	s_and_saveexec_b64 s[78:79], s[54:55]
	s_cbranch_execz .LBB213_74
.LBB213_106:                            ;   in Loop: Header=BB213_45 Depth=1
	v_mov_b32_e32 v10, s81
	ds_read_b32 v10, v10
	s_waitcnt lgkmcnt(0)
	v_add_u32_e32 v9, v10, v9
	s_or_b64 exec, exec, s[78:79]
	s_and_saveexec_b64 s[78:79], s[56:57]
	s_cbranch_execz .LBB213_75
.LBB213_107:                            ;   in Loop: Header=BB213_45 Depth=1
	v_mov_b32_e32 v10, s82
	ds_read_b32 v10, v10
	s_waitcnt lgkmcnt(0)
	v_add_u32_e32 v9, v10, v9
	s_or_b64 exec, exec, s[78:79]
	s_and_saveexec_b64 s[78:79], s[58:59]
	s_cbranch_execz .LBB213_76
.LBB213_108:                            ;   in Loop: Header=BB213_45 Depth=1
	v_mov_b32_e32 v10, s83
	ds_read_b32 v10, v10
	s_waitcnt lgkmcnt(0)
	v_add_u32_e32 v9, v10, v9
	s_or_b64 exec, exec, s[78:79]
	s_and_saveexec_b64 s[78:79], s[64:65]
	s_cbranch_execz .LBB213_77
.LBB213_109:                            ;   in Loop: Header=BB213_45 Depth=1
	v_add3_u32 v10, v6, -1, v9
	v_lshl_add_u32 v11, v10, 2, 0
	v_lshl_add_u32 v10, v10, 3, 0
	v_add_u32_e32 v10, 0x20000, v10
	ds_write_b32 v11, v8
	ds_write_b64 v10, v[4:5]
	s_or_b64 exec, exec, s[78:79]
	s_and_saveexec_b64 s[64:65], vcc
	s_cbranch_execz .LBB213_44
.LBB213_110:                            ;   in Loop: Header=BB213_45 Depth=1
	v_mov_b32_e32 v4, s84
	ds_write_b32 v4, v9
	s_branch .LBB213_44
.LBB213_111:
	s_or_b64 exec, exec, s[68:69]
	v_readlane_b32 s0, v27, 12
	v_readlane_b32 s1, v27, 13
	;; [unrolled: 1-line block ×3, first 2 shown]
	s_ashr_i32 s1, s0, 31
	v_readlane_b32 s6, v27, 6
	v_readlane_b32 s7, v27, 7
	;; [unrolled: 1-line block ×4, first 2 shown]
	s_lshl_b64 s[0:1], s[0:1], 3
	s_mov_b64 s[6:7], s[10:11]
	s_add_u32 s0, s6, s0
	s_addc_u32 s1, s7, s1
	s_load_dwordx4 s[0:3], s[0:1], 0x0
	v_readlane_b32 s8, v27, 8
	v_readlane_b32 s5, v27, 5
	;; [unrolled: 1-line block ×3, first 2 shown]
	s_waitcnt lgkmcnt(0)
	s_sub_i32 s8, s2, s0
	v_cmp_gt_i32_e32 vcc, s8, v0
	s_and_saveexec_b64 s[4:5], vcc
	s_cbranch_execz .LBB213_121
; %bb.112:
	s_sub_u32 s4, s0, s70
	s_subb_u32 s5, s1, 0
	s_and_b32 s9, s8, 7
	s_sub_i32 s0, s0, s2
	s_cmp_lt_u32 s0, -7
	s_cselect_b64 s[0:1], -1, 0
	s_and_b32 s10, s8, -8
	s_cmp_lg_u32 s9, 0
	v_cndmask_b32_e64 v1, 0, 1, s[0:1]
	s_cselect_b64 s[2:3], -1, 0
	v_cmp_ne_u32_e64 s[0:1], 1, v1
	v_cndmask_b32_e64 v1, 0, 1, s[2:3]
	s_mov_b64 s[6:7], 0
	v_cmp_ne_u32_e64 s[2:3], 1, v1
	s_branch .LBB213_114
.LBB213_113:                            ;   in Loop: Header=BB213_114 Depth=1
	v_readlane_b32 s12, v27, 0
	v_lshlrev_b64 v[6:7], 2, v[4:5]
	v_readlane_b32 s13, v27, 1
	v_mov_b32_e32 v8, s13
	v_add_co_u32_e32 v6, vcc, s12, v6
	s_waitcnt lgkmcnt(1)
	v_add_u32_e32 v1, s70, v1
	v_readlane_b32 s14, v27, 2
	v_readlane_b32 s15, v27, 3
	v_addc_co_u32_e32 v7, vcc, v8, v7, vcc
	v_lshlrev_b64 v[4:5], 3, v[4:5]
	global_store_dword v[6:7], v1, off
	v_mov_b32_e32 v1, s15
	v_add_co_u32_e32 v4, vcc, s14, v4
	v_addc_co_u32_e32 v5, vcc, v1, v5, vcc
	v_add_u32_e32 v0, 0x400, v0
	v_cmp_le_i32_e32 vcc, s8, v0
	s_or_b64 s[6:7], vcc, s[6:7]
	s_waitcnt lgkmcnt(0)
	global_store_dwordx2 v[4:5], v[2:3], off
	s_andn2_b64 exec, exec, s[6:7]
	s_cbranch_execz .LBB213_121
.LBB213_114:                            ; =>This Loop Header: Depth=1
                                        ;     Child Loop BB213_116 Depth 2
                                        ;     Child Loop BB213_120 Depth 2
	v_lshl_add_u32 v2, v0, 3, 0
	v_lshl_add_u32 v1, v0, 2, 0
	v_add_u32_e32 v2, 0x20000, v2
	ds_read_b32 v1, v1
	ds_read_b64 v[2:3], v2
	s_and_b64 vcc, exec, s[0:1]
	v_pk_mov_b32 v[4:5], s[4:5], s[4:5] op_sel:[0,1]
	s_mov_b32 s11, 0
	s_cbranch_vccnz .LBB213_118
; %bb.115:                              ;   in Loop: Header=BB213_114 Depth=1
	s_mov_b32 s12, 0
	v_pk_mov_b32 v[4:5], s[4:5], s[4:5] op_sel:[0,1]
.LBB213_116:                            ;   Parent Loop BB213_114 Depth=1
                                        ; =>  This Inner Loop Header: Depth=2
	v_mov_b32_e32 v12, s12
	ds_read2_b32 v[6:7], v12 offset1:1
	ds_read2_b32 v[8:9], v12 offset0:2 offset1:3
	ds_read2_b32 v[10:11], v12 offset0:4 offset1:5
	;; [unrolled: 1-line block ×3, first 2 shown]
	s_add_i32 s11, s11, 8
	s_waitcnt lgkmcnt(3)
	v_cmp_gt_i32_e32 vcc, v1, v6
	v_cndmask_b32_e64 v6, 0, 1, vcc
	v_cmp_gt_i32_e32 vcc, v1, v7
	v_cndmask_b32_e64 v7, 0, 1, vcc
	s_waitcnt lgkmcnt(2)
	v_cmp_gt_i32_e32 vcc, v1, v8
	v_cndmask_b32_e64 v8, 0, 1, vcc
	v_cmp_gt_i32_e32 vcc, v1, v9
	v_cndmask_b32_e64 v9, 0, 1, vcc
	;; [unrolled: 5-line block ×4, first 2 shown]
	v_add_co_u32_e32 v4, vcc, v4, v6
	v_addc_co_u32_e32 v5, vcc, 0, v5, vcc
	v_add_co_u32_e32 v4, vcc, v4, v7
	v_addc_co_u32_e32 v5, vcc, 0, v5, vcc
	;; [unrolled: 2-line block ×7, first 2 shown]
	s_add_i32 s12, s12, 32
	v_add_co_u32_e32 v4, vcc, v4, v13
	s_cmp_eq_u32 s10, s11
	v_addc_co_u32_e32 v5, vcc, 0, v5, vcc
	s_cbranch_scc0 .LBB213_116
; %bb.117:                              ;   in Loop: Header=BB213_114 Depth=1
	s_mov_b32 s11, s10
.LBB213_118:                            ;   in Loop: Header=BB213_114 Depth=1
	s_and_b64 vcc, exec, s[2:3]
	s_cbranch_vccnz .LBB213_113
; %bb.119:                              ;   in Loop: Header=BB213_114 Depth=1
	s_lshl_b32 s11, s11, 2
	s_add_i32 s11, s11, 0
	s_mov_b32 s12, s9
.LBB213_120:                            ;   Parent Loop BB213_114 Depth=1
                                        ; =>  This Inner Loop Header: Depth=2
	v_mov_b32_e32 v6, s11
	ds_read_b32 v6, v6
	s_add_i32 s11, s11, 4
	s_add_i32 s12, s12, -1
	s_cmp_lg_u32 s12, 0
	s_waitcnt lgkmcnt(0)
	v_cmp_gt_i32_e32 vcc, v1, v6
	v_cndmask_b32_e64 v6, 0, 1, vcc
	v_add_co_u32_e32 v4, vcc, v4, v6
	v_addc_co_u32_e32 v5, vcc, 0, v5, vcc
	s_cbranch_scc1 .LBB213_120
	s_branch .LBB213_113
.LBB213_121:
	s_endpgm
	.section	.rodata,"a",@progbits
	.p2align	6, 0x0
	.amdhsa_kernel _ZN9rocsparseL26csrgemm_fill_block_per_rowILj1024ELj64ELj32768ELj137ELj32ElidEEvT5_PKS1_S3_NS_24const_host_device_scalarIT6_EEPKT4_S3_PKS5_S9_S3_SB_S6_S9_S3_SB_S9_PS1_PS5_21rocsparse_index_base_SE_SE_SE_bbb
		.amdhsa_group_segment_fixed_size 0
		.amdhsa_private_segment_fixed_size 0
		.amdhsa_kernarg_size 156
		.amdhsa_user_sgpr_count 6
		.amdhsa_user_sgpr_private_segment_buffer 1
		.amdhsa_user_sgpr_dispatch_ptr 0
		.amdhsa_user_sgpr_queue_ptr 0
		.amdhsa_user_sgpr_kernarg_segment_ptr 1
		.amdhsa_user_sgpr_dispatch_id 0
		.amdhsa_user_sgpr_flat_scratch_init 0
		.amdhsa_user_sgpr_kernarg_preload_length 0
		.amdhsa_user_sgpr_kernarg_preload_offset 0
		.amdhsa_user_sgpr_private_segment_size 0
		.amdhsa_uses_dynamic_stack 0
		.amdhsa_system_sgpr_private_segment_wavefront_offset 0
		.amdhsa_system_sgpr_workgroup_id_x 1
		.amdhsa_system_sgpr_workgroup_id_y 0
		.amdhsa_system_sgpr_workgroup_id_z 0
		.amdhsa_system_sgpr_workgroup_info 0
		.amdhsa_system_vgpr_workitem_id 0
		.amdhsa_next_free_vgpr 28
		.amdhsa_next_free_sgpr 96
		.amdhsa_accum_offset 28
		.amdhsa_reserve_vcc 1
		.amdhsa_reserve_flat_scratch 0
		.amdhsa_float_round_mode_32 0
		.amdhsa_float_round_mode_16_64 0
		.amdhsa_float_denorm_mode_32 3
		.amdhsa_float_denorm_mode_16_64 3
		.amdhsa_dx10_clamp 1
		.amdhsa_ieee_mode 1
		.amdhsa_fp16_overflow 0
		.amdhsa_tg_split 0
		.amdhsa_exception_fp_ieee_invalid_op 0
		.amdhsa_exception_fp_denorm_src 0
		.amdhsa_exception_fp_ieee_div_zero 0
		.amdhsa_exception_fp_ieee_overflow 0
		.amdhsa_exception_fp_ieee_underflow 0
		.amdhsa_exception_fp_ieee_inexact 0
		.amdhsa_exception_int_div_zero 0
	.end_amdhsa_kernel
	.section	.text._ZN9rocsparseL26csrgemm_fill_block_per_rowILj1024ELj64ELj32768ELj137ELj32ElidEEvT5_PKS1_S3_NS_24const_host_device_scalarIT6_EEPKT4_S3_PKS5_S9_S3_SB_S6_S9_S3_SB_S9_PS1_PS5_21rocsparse_index_base_SE_SE_SE_bbb,"axG",@progbits,_ZN9rocsparseL26csrgemm_fill_block_per_rowILj1024ELj64ELj32768ELj137ELj32ElidEEvT5_PKS1_S3_NS_24const_host_device_scalarIT6_EEPKT4_S3_PKS5_S9_S3_SB_S6_S9_S3_SB_S9_PS1_PS5_21rocsparse_index_base_SE_SE_SE_bbb,comdat
.Lfunc_end213:
	.size	_ZN9rocsparseL26csrgemm_fill_block_per_rowILj1024ELj64ELj32768ELj137ELj32ElidEEvT5_PKS1_S3_NS_24const_host_device_scalarIT6_EEPKT4_S3_PKS5_S9_S3_SB_S6_S9_S3_SB_S9_PS1_PS5_21rocsparse_index_base_SE_SE_SE_bbb, .Lfunc_end213-_ZN9rocsparseL26csrgemm_fill_block_per_rowILj1024ELj64ELj32768ELj137ELj32ElidEEvT5_PKS1_S3_NS_24const_host_device_scalarIT6_EEPKT4_S3_PKS5_S9_S3_SB_S6_S9_S3_SB_S9_PS1_PS5_21rocsparse_index_base_SE_SE_SE_bbb
                                        ; -- End function
	.section	.AMDGPU.csdata,"",@progbits
; Kernel info:
; codeLenInByte = 5096
; NumSgprs: 100
; NumVgprs: 28
; NumAgprs: 0
; TotalNumVgprs: 28
; ScratchSize: 0
; MemoryBound: 0
; FloatMode: 240
; IeeeMode: 1
; LDSByteSize: 0 bytes/workgroup (compile time only)
; SGPRBlocks: 12
; VGPRBlocks: 3
; NumSGPRsForWavesPerEU: 100
; NumVGPRsForWavesPerEU: 28
; AccumOffset: 28
; Occupancy: 8
; WaveLimiterHint : 1
; COMPUTE_PGM_RSRC2:SCRATCH_EN: 0
; COMPUTE_PGM_RSRC2:USER_SGPR: 6
; COMPUTE_PGM_RSRC2:TRAP_HANDLER: 0
; COMPUTE_PGM_RSRC2:TGID_X_EN: 1
; COMPUTE_PGM_RSRC2:TGID_Y_EN: 0
; COMPUTE_PGM_RSRC2:TGID_Z_EN: 0
; COMPUTE_PGM_RSRC2:TIDIG_COMP_CNT: 0
; COMPUTE_PGM_RSRC3_GFX90A:ACCUM_OFFSET: 6
; COMPUTE_PGM_RSRC3_GFX90A:TG_SPLIT: 0
	.section	.text._ZN9rocsparseL26csrgemm_fill_block_per_rowILj1024ELj64ELj32768ELj137ELj64ElidEEvT5_PKS1_S3_NS_24const_host_device_scalarIT6_EEPKT4_S3_PKS5_S9_S3_SB_S6_S9_S3_SB_S9_PS1_PS5_21rocsparse_index_base_SE_SE_SE_bbb,"axG",@progbits,_ZN9rocsparseL26csrgemm_fill_block_per_rowILj1024ELj64ELj32768ELj137ELj64ElidEEvT5_PKS1_S3_NS_24const_host_device_scalarIT6_EEPKT4_S3_PKS5_S9_S3_SB_S6_S9_S3_SB_S9_PS1_PS5_21rocsparse_index_base_SE_SE_SE_bbb,comdat
	.globl	_ZN9rocsparseL26csrgemm_fill_block_per_rowILj1024ELj64ELj32768ELj137ELj64ElidEEvT5_PKS1_S3_NS_24const_host_device_scalarIT6_EEPKT4_S3_PKS5_S9_S3_SB_S6_S9_S3_SB_S9_PS1_PS5_21rocsparse_index_base_SE_SE_SE_bbb ; -- Begin function _ZN9rocsparseL26csrgemm_fill_block_per_rowILj1024ELj64ELj32768ELj137ELj64ElidEEvT5_PKS1_S3_NS_24const_host_device_scalarIT6_EEPKT4_S3_PKS5_S9_S3_SB_S6_S9_S3_SB_S9_PS1_PS5_21rocsparse_index_base_SE_SE_SE_bbb
	.p2align	8
	.type	_ZN9rocsparseL26csrgemm_fill_block_per_rowILj1024ELj64ELj32768ELj137ELj64ElidEEvT5_PKS1_S3_NS_24const_host_device_scalarIT6_EEPKT4_S3_PKS5_S9_S3_SB_S6_S9_S3_SB_S9_PS1_PS5_21rocsparse_index_base_SE_SE_SE_bbb,@function
_ZN9rocsparseL26csrgemm_fill_block_per_rowILj1024ELj64ELj32768ELj137ELj64ElidEEvT5_PKS1_S3_NS_24const_host_device_scalarIT6_EEPKT4_S3_PKS5_S9_S3_SB_S6_S9_S3_SB_S9_PS1_PS5_21rocsparse_index_base_SE_SE_SE_bbb: ; @_ZN9rocsparseL26csrgemm_fill_block_per_rowILj1024ELj64ELj32768ELj137ELj64ElidEEvT5_PKS1_S3_NS_24const_host_device_scalarIT6_EEPKT4_S3_PKS5_S9_S3_SB_S6_S9_S3_SB_S9_PS1_PS5_21rocsparse_index_base_SE_SE_SE_bbb
; %bb.0:
	s_load_dword s7, s[4:5], 0x98
	s_load_dwordx4 s[44:47], s[4:5], 0x88
	s_load_dwordx2 s[0:1], s[4:5], 0x18
	s_load_dwordx2 s[24:25], s[4:5], 0x50
	s_waitcnt lgkmcnt(0)
	s_and_b32 s2, 1, s7
	s_bitcmp1_b32 s7, 16
	s_cselect_b64 s[26:27], -1, 0
	s_cmp_eq_u32 s2, 1
	s_cselect_b64 s[22:23], -1, 0
	s_and_b64 s[2:3], s[22:23], exec
	s_cselect_b32 s3, s1, 0
	s_cselect_b32 s2, s0, 0
	s_xor_b64 s[8:9], s[22:23], -1
	s_or_b64 s[8:9], s[8:9], s[26:27]
	s_and_b64 vcc, exec, s[8:9]
	v_pk_mov_b32 v[4:5], s[2:3], s[2:3] op_sel:[0,1]
	s_cbranch_vccnz .LBB214_2
; %bb.1:
	v_pk_mov_b32 v[2:3], s[0:1], s[0:1] op_sel:[0,1]
	flat_load_dwordx2 v[4:5], v[2:3]
.LBB214_2:
	s_load_dwordx4 s[48:51], s[4:5], 0x78
	s_load_dwordx8 s[36:43], s[4:5], 0x58
	s_load_dwordx4 s[0:3], s[4:5], 0x40
	s_load_dwordx4 s[16:19], s[4:5], 0x8
	s_load_dwordx8 s[8:15], s[4:5], 0x20
	s_bitcmp1_b32 s7, 8
	s_cselect_b64 s[20:21], -1, 0
	s_and_b64 s[28:29], s[20:21], exec
	s_cselect_b32 s29, s25, 0
	s_cselect_b32 s28, s24, 0
	s_xor_b64 s[30:31], s[20:21], -1
	s_or_b64 s[26:27], s[30:31], s[26:27]
	s_and_b64 vcc, exec, s[26:27]
	v_pk_mov_b32 v[2:3], s[28:29], s[28:29] op_sel:[0,1]
	s_cbranch_vccnz .LBB214_4
; %bb.3:
	v_pk_mov_b32 v[2:3], s[24:25], s[24:25] op_sel:[0,1]
	flat_load_dwordx2 v[2:3], v[2:3]
.LBB214_4:
	s_load_dword s33, s[4:5], 0x0
	v_lshl_add_u32 v7, v0, 3, 0
	v_or_b32_e32 v1, 0xfffffc00, v0
	v_mov_b32_e32 v6, 0
	v_add_u32_e32 v16, 0x20000, v7
	v_lshl_add_u32 v17, v0, 2, 0
	s_mov_b64 s[4:5], 0
	s_waitcnt lgkmcnt(0)
	v_mov_b32_e32 v8, s33
	v_mov_b32_e32 v7, v6
	s_movk_i32 s7, 0x7bff
	v_mov_b32_e32 v9, v17
	v_mov_b32_e32 v10, v16
	v_mov_b32_e32 v11, v1
.LBB214_5:                              ; =>This Inner Loop Header: Depth=1
	v_add_u32_e32 v11, 0x400, v11
	v_cmp_lt_u32_e32 vcc, s7, v11
	ds_write_b32 v9, v8
	ds_write_b64 v10, v[6:7]
	v_add_u32_e32 v10, 0x2000, v10
	s_or_b64 s[4:5], vcc, s[4:5]
	v_add_u32_e32 v9, 0x1000, v9
	s_andn2_b64 exec, exec, s[4:5]
	s_cbranch_execnz .LBB214_5
; %bb.6:
	s_or_b64 exec, exec, s[4:5]
	s_waitcnt lgkmcnt(0)
	s_barrier
	s_load_dword s4, s[16:17], 0x0
	s_mov_b32 s5, 0
	v_lshrrev_b32_e32 v18, 6, v0
	s_waitcnt lgkmcnt(0)
	s_add_i32 s4, s4, s6
	s_lshl_b64 s[4:5], s[4:5], 2
	s_add_u32 s4, s18, s4
	s_addc_u32 s5, s19, s5
	s_load_dword s34, s[4:5], 0x0
	s_and_b64 vcc, exec, s[22:23]
	s_cbranch_vccz .LBB214_26
; %bb.7:
	s_waitcnt lgkmcnt(0)
	s_ashr_i32 s35, s34, 31
	s_lshl_b64 s[4:5], s[34:35], 3
	s_add_u32 s4, s8, s4
	s_addc_u32 s5, s9, s5
	s_load_dwordx4 s[16:19], s[4:5], 0x0
	v_subrev_co_u32_e32 v6, vcc, s44, v18
	v_subb_co_u32_e64 v7, s[4:5], 0, 0, vcc
	s_waitcnt lgkmcnt(0)
	s_sub_u32 s4, s18, s44
	v_mov_b32_e32 v8, s17
	v_add_co_u32_e32 v6, vcc, s16, v6
	s_subb_u32 s5, s19, 0
	v_addc_co_u32_e32 v7, vcc, v8, v7, vcc
	v_cmp_gt_i64_e32 vcc, s[4:5], v[6:7]
	s_and_saveexec_b64 s[6:7], vcc
	s_cbranch_execz .LBB214_25
; %bb.8:
	v_and_b32_e32 v8, 63, v0
	v_subrev_co_u32_e32 v19, vcc, s45, v8
	s_mov_b32 s16, 0
	v_subb_co_u32_e64 v20, s[8:9], 0, 0, vcc
	s_mov_b32 s35, s45
	s_mov_b64 s[8:9], 0
	v_mov_b32_e32 v21, s11
	v_mov_b32_e32 v22, s15
	;; [unrolled: 1-line block ×3, first 2 shown]
	s_movk_i32 s11, 0x89
	s_branch .LBB214_10
.LBB214_9:                              ;   in Loop: Header=BB214_10 Depth=1
	s_or_b64 exec, exec, s[16:17]
	v_add_co_u32_e32 v6, vcc, 16, v6
	v_addc_co_u32_e32 v7, vcc, 0, v7, vcc
	v_cmp_le_i64_e32 vcc, s[4:5], v[6:7]
	s_or_b64 s[8:9], vcc, s[8:9]
	s_andn2_b64 exec, exec, s[8:9]
	s_cbranch_execz .LBB214_25
.LBB214_10:                             ; =>This Loop Header: Depth=1
                                        ;     Child Loop BB214_13 Depth 2
                                        ;       Child Loop BB214_15 Depth 3
	v_lshlrev_b64 v[8:9], 2, v[6:7]
	v_add_co_u32_e32 v8, vcc, s10, v8
	v_addc_co_u32_e32 v9, vcc, v21, v9, vcc
	global_load_dword v8, v[8:9], off
	s_waitcnt vmcnt(0)
	v_subrev_u32_e32 v8, s44, v8
	v_ashrrev_i32_e32 v9, 31, v8
	v_lshlrev_b64 v[8:9], 3, v[8:9]
	v_add_co_u32_e32 v8, vcc, s14, v8
	v_addc_co_u32_e32 v9, vcc, v22, v9, vcc
	global_load_dwordx4 v[10:13], v[8:9], off
	s_waitcnt vmcnt(0)
	v_subrev_co_u32_e32 v8, vcc, s35, v12
	v_subb_co_u32_e32 v9, vcc, v13, v23, vcc
	v_add_co_u32_e32 v10, vcc, v10, v19
	v_addc_co_u32_e32 v11, vcc, v11, v20, vcc
	v_cmp_lt_i64_e32 vcc, v[10:11], v[8:9]
	s_and_saveexec_b64 s[16:17], vcc
	s_cbranch_execz .LBB214_9
; %bb.11:                               ;   in Loop: Header=BB214_10 Depth=1
	v_lshlrev_b64 v[12:13], 3, v[6:7]
	v_mov_b32_e32 v14, s13
	v_add_co_u32_e32 v12, vcc, s12, v12
	v_addc_co_u32_e32 v13, vcc, v14, v13, vcc
	global_load_dwordx2 v[12:13], v[12:13], off
	s_mov_b64 s[18:19], 0
	s_waitcnt vmcnt(0)
	v_mul_f64 v[12:13], v[4:5], v[12:13]
	s_branch .LBB214_13
.LBB214_12:                             ;   in Loop: Header=BB214_13 Depth=2
	s_or_b64 exec, exec, s[22:23]
	v_add_co_u32_e32 v10, vcc, 64, v10
	v_addc_co_u32_e32 v11, vcc, 0, v11, vcc
	v_cmp_ge_i64_e32 vcc, v[10:11], v[8:9]
	s_or_b64 s[18:19], vcc, s[18:19]
	s_andn2_b64 exec, exec, s[18:19]
	s_cbranch_execz .LBB214_9
.LBB214_13:                             ;   Parent Loop BB214_10 Depth=1
                                        ; =>  This Loop Header: Depth=2
                                        ;       Child Loop BB214_15 Depth 3
	v_lshlrev_b64 v[14:15], 2, v[10:11]
	v_mov_b32_e32 v24, s1
	v_add_co_u32_e32 v14, vcc, s0, v14
	v_addc_co_u32_e32 v15, vcc, v24, v15, vcc
	global_load_dword v24, v[14:15], off
	v_lshlrev_b64 v[14:15], 3, v[10:11]
	v_mov_b32_e32 v25, s3
	v_add_co_u32_e32 v14, vcc, s2, v14
	v_addc_co_u32_e32 v15, vcc, v25, v15, vcc
	global_load_dwordx2 v[14:15], v[14:15], off
	s_mov_b64 s[22:23], 0
	s_waitcnt vmcnt(1)
	v_subrev_u32_e32 v24, s45, v24
	v_mul_lo_u32 v25, v24, s11
	v_and_b32_e32 v25, 0x7fff, v25
	s_waitcnt vmcnt(0)
	v_mul_f64 v[14:15], v[12:13], v[14:15]
	s_branch .LBB214_15
.LBB214_14:                             ;   in Loop: Header=BB214_15 Depth=3
	s_or_b64 exec, exec, s[24:25]
	s_xor_b64 s[24:25], s[26:27], -1
	s_and_b64 s[24:25], exec, s[24:25]
	s_or_b64 s[22:23], s[24:25], s[22:23]
	s_andn2_b64 exec, exec, s[22:23]
	s_cbranch_execz .LBB214_12
.LBB214_15:                             ;   Parent Loop BB214_10 Depth=1
                                        ;     Parent Loop BB214_13 Depth=2
                                        ; =>    This Inner Loop Header: Depth=3
	v_lshl_add_u32 v26, v25, 2, 0
	ds_read_b32 v27, v26
                                        ; implicit-def: $sgpr26_sgpr27
	s_waitcnt lgkmcnt(0)
	v_cmp_ne_u32_e32 vcc, v27, v24
	s_and_saveexec_b64 s[24:25], vcc
	s_xor_b64 s[24:25], exec, s[24:25]
	s_cbranch_execz .LBB214_23
; %bb.16:                               ;   in Loop: Header=BB214_15 Depth=3
	v_cmp_ne_u32_e32 vcc, s33, v27
                                        ; implicit-def: $sgpr26_sgpr27
	s_and_saveexec_b64 s[28:29], vcc
	s_xor_b64 s[28:29], exec, s[28:29]
; %bb.17:                               ;   in Loop: Header=BB214_15 Depth=3
	v_add_u32_e32 v25, 1, v25
	v_and_b32_e32 v25, 0x7fff, v25
	s_mov_b64 s[26:27], -1
                                        ; implicit-def: $vgpr26
; %bb.18:                               ;   in Loop: Header=BB214_15 Depth=3
	s_andn2_saveexec_b64 s[28:29], s[28:29]
	s_cbranch_execz .LBB214_22
; %bb.19:                               ;   in Loop: Header=BB214_15 Depth=3
	v_mov_b32_e32 v27, s33
	ds_cmpst_rtn_b32 v26, v26, v27, v24
	s_mov_b64 s[30:31], -1
	s_waitcnt lgkmcnt(0)
	v_cmp_eq_u32_e32 vcc, s33, v26
	s_and_saveexec_b64 s[52:53], vcc
	s_cbranch_execz .LBB214_21
; %bb.20:                               ;   in Loop: Header=BB214_15 Depth=3
	v_lshl_add_u32 v26, v25, 3, 0
	v_add_u32_e32 v26, 0x20000, v26
	ds_add_f64 v26, v[14:15]
	s_xor_b64 s[30:31], exec, -1
.LBB214_21:                             ;   in Loop: Header=BB214_15 Depth=3
	s_or_b64 exec, exec, s[52:53]
	s_andn2_b64 s[26:27], s[26:27], exec
	s_and_b64 s[30:31], s[30:31], exec
	s_or_b64 s[26:27], s[26:27], s[30:31]
.LBB214_22:                             ;   in Loop: Header=BB214_15 Depth=3
	s_or_b64 exec, exec, s[28:29]
	s_and_b64 s[26:27], s[26:27], exec
.LBB214_23:                             ;   in Loop: Header=BB214_15 Depth=3
	s_andn2_saveexec_b64 s[24:25], s[24:25]
	s_cbranch_execz .LBB214_14
; %bb.24:                               ;   in Loop: Header=BB214_15 Depth=3
	v_lshl_add_u32 v26, v25, 3, 0
	v_add_u32_e32 v26, 0x20000, v26
	ds_add_f64 v26, v[14:15]
	s_andn2_b64 s[26:27], s[26:27], exec
	s_branch .LBB214_14
.LBB214_25:
	s_or_b64 exec, exec, s[6:7]
.LBB214_26:
	s_andn2_b64 vcc, exec, s[20:21]
	s_cbranch_vccnz .LBB214_43
; %bb.27:
	s_waitcnt lgkmcnt(0)
	s_ashr_i32 s35, s34, 31
	s_lshl_b64 s[0:1], s[34:35], 3
	s_add_u32 s0, s36, s0
	s_addc_u32 s1, s37, s1
	s_load_dwordx4 s[4:7], s[0:1], 0x0
	s_waitcnt vmcnt(0)
	v_subrev_co_u32_e32 v4, vcc, s47, v0
	v_subb_co_u32_e64 v5, s[0:1], 0, 0, vcc
	s_waitcnt lgkmcnt(0)
	s_sub_u32 s0, s6, s47
	v_mov_b32_e32 v6, s5
	v_add_co_u32_e32 v4, vcc, s4, v4
	s_subb_u32 s1, s7, 0
	v_addc_co_u32_e32 v5, vcc, v6, v5, vcc
	v_cmp_gt_i64_e32 vcc, s[0:1], v[4:5]
	s_and_saveexec_b64 s[2:3], vcc
	s_cbranch_execz .LBB214_42
; %bb.28:
	s_mov_b64 s[4:5], 0
	v_mov_b32_e32 v8, s39
	v_mov_b32_e32 v9, s41
	s_movk_i32 s18, 0x89
	s_branch .LBB214_30
.LBB214_29:                             ;   in Loop: Header=BB214_30 Depth=1
	s_or_b64 exec, exec, s[6:7]
	v_add_co_u32_e32 v4, vcc, 0x400, v4
	v_addc_co_u32_e32 v5, vcc, 0, v5, vcc
	v_cmp_le_i64_e32 vcc, s[0:1], v[4:5]
	s_or_b64 s[4:5], vcc, s[4:5]
	s_andn2_b64 exec, exec, s[4:5]
	s_cbranch_execz .LBB214_42
.LBB214_30:                             ; =>This Loop Header: Depth=1
                                        ;     Child Loop BB214_32 Depth 2
	v_lshlrev_b64 v[6:7], 2, v[4:5]
	v_add_co_u32_e32 v6, vcc, s38, v6
	v_addc_co_u32_e32 v7, vcc, v8, v7, vcc
	global_load_dword v10, v[6:7], off
	v_lshlrev_b64 v[6:7], 3, v[4:5]
	v_add_co_u32_e32 v6, vcc, s40, v6
	v_addc_co_u32_e32 v7, vcc, v9, v7, vcc
	global_load_dwordx2 v[6:7], v[6:7], off
	s_mov_b64 s[6:7], 0
	s_waitcnt vmcnt(1)
	v_subrev_u32_e32 v10, s47, v10
	v_mul_lo_u32 v11, v10, s18
	v_and_b32_e32 v11, 0x7fff, v11
	s_waitcnt vmcnt(0)
	v_mul_f64 v[6:7], v[2:3], v[6:7]
	s_branch .LBB214_32
.LBB214_31:                             ;   in Loop: Header=BB214_32 Depth=2
	s_or_b64 exec, exec, s[8:9]
	s_xor_b64 s[8:9], s[10:11], -1
	s_and_b64 s[8:9], exec, s[8:9]
	s_or_b64 s[6:7], s[8:9], s[6:7]
	s_andn2_b64 exec, exec, s[6:7]
	s_cbranch_execz .LBB214_29
.LBB214_32:                             ;   Parent Loop BB214_30 Depth=1
                                        ; =>  This Inner Loop Header: Depth=2
	v_lshl_add_u32 v12, v11, 2, 0
	ds_read_b32 v13, v12
                                        ; implicit-def: $sgpr10_sgpr11
	s_waitcnt lgkmcnt(0)
	v_cmp_ne_u32_e32 vcc, v13, v10
	s_and_saveexec_b64 s[8:9], vcc
	s_xor_b64 s[8:9], exec, s[8:9]
	s_cbranch_execz .LBB214_40
; %bb.33:                               ;   in Loop: Header=BB214_32 Depth=2
	v_cmp_ne_u32_e32 vcc, s33, v13
                                        ; implicit-def: $sgpr10_sgpr11
	s_and_saveexec_b64 s[12:13], vcc
	s_xor_b64 s[12:13], exec, s[12:13]
; %bb.34:                               ;   in Loop: Header=BB214_32 Depth=2
	v_add_u32_e32 v11, 1, v11
	v_and_b32_e32 v11, 0x7fff, v11
	s_mov_b64 s[10:11], -1
                                        ; implicit-def: $vgpr12
; %bb.35:                               ;   in Loop: Header=BB214_32 Depth=2
	s_andn2_saveexec_b64 s[12:13], s[12:13]
	s_cbranch_execz .LBB214_39
; %bb.36:                               ;   in Loop: Header=BB214_32 Depth=2
	v_mov_b32_e32 v13, s33
	ds_cmpst_rtn_b32 v12, v12, v13, v10
	s_mov_b64 s[14:15], -1
	s_waitcnt lgkmcnt(0)
	v_cmp_eq_u32_e32 vcc, s33, v12
	s_and_saveexec_b64 s[16:17], vcc
	s_cbranch_execz .LBB214_38
; %bb.37:                               ;   in Loop: Header=BB214_32 Depth=2
	v_lshl_add_u32 v12, v11, 3, 0
	v_add_u32_e32 v12, 0x20000, v12
	ds_add_f64 v12, v[6:7]
	s_xor_b64 s[14:15], exec, -1
.LBB214_38:                             ;   in Loop: Header=BB214_32 Depth=2
	s_or_b64 exec, exec, s[16:17]
	s_andn2_b64 s[10:11], s[10:11], exec
	s_and_b64 s[14:15], s[14:15], exec
	s_or_b64 s[10:11], s[10:11], s[14:15]
.LBB214_39:                             ;   in Loop: Header=BB214_32 Depth=2
	s_or_b64 exec, exec, s[12:13]
	s_and_b64 s[10:11], s[10:11], exec
.LBB214_40:                             ;   in Loop: Header=BB214_32 Depth=2
	s_andn2_saveexec_b64 s[8:9], s[8:9]
	s_cbranch_execz .LBB214_31
; %bb.41:                               ;   in Loop: Header=BB214_32 Depth=2
	v_lshl_add_u32 v12, v11, 3, 0
	v_add_u32_e32 v12, 0x20000, v12
	ds_add_f64 v12, v[6:7]
	s_andn2_b64 s[10:11], s[10:11], exec
	s_branch .LBB214_31
.LBB214_42:
	s_or_b64 exec, exec, s[2:3]
.LBB214_43:
	s_waitcnt vmcnt(0)
	v_mbcnt_lo_u32_b32 v2, -1, 0
	v_mbcnt_hi_u32_b32 v2, -1, v2
	v_sub_u32_e32 v2, 63, v2
	s_add_i32 s35, 0, 0x60000
	s_movk_i32 s0, 0x3ff
	s_movk_i32 s2, 0x7f
	;; [unrolled: 1-line block ×15, first 2 shown]
	s_add_i32 s61, 0, 0x6003c
	v_mov_b32_e32 v6, 0
	v_lshrrev_b64 v[2:3], v2, -1
	v_lshl_add_u32 v7, v18, 2, s35
	v_cmp_eq_u32_e32 vcc, s0, v0
	v_cmp_lt_u32_e64 s[0:1], 63, v0
	v_cmp_lt_u32_e64 s[2:3], s2, v0
	;; [unrolled: 1-line block ×15, first 2 shown]
	s_mov_b64 s[36:37], 0
	s_add_i32 s40, 0, 0x60004
	s_add_i32 s41, 0, 0x60008
	;; [unrolled: 1-line block ×14, first 2 shown]
	v_mov_b32_e32 v8, s61
	s_movk_i32 s62, 0x7bff
	s_waitcnt lgkmcnt(0)
	s_barrier
	s_branch .LBB214_45
.LBB214_44:                             ;   in Loop: Header=BB214_45 Depth=1
	s_or_b64 exec, exec, s[30:31]
	s_waitcnt lgkmcnt(0)
	s_barrier
	ds_read_b32 v4, v8
	v_add_u32_e32 v1, 0x400, v1
	v_cmp_lt_u32_e64 s[30:31], s62, v1
	v_add_u32_e32 v16, 0x2000, v16
	s_or_b64 s[36:37], s[30:31], s[36:37]
	s_waitcnt lgkmcnt(0)
	v_add_u32_e32 v6, v4, v6
	v_add_u32_e32 v17, 0x1000, v17
	s_andn2_b64 exec, exec, s[36:37]
	s_cbranch_execz .LBB214_79
.LBB214_45:                             ; =>This Inner Loop Header: Depth=1
	ds_read_b32 v9, v17
	ds_read_b64 v[4:5], v16
	s_waitcnt lgkmcnt(0)
	s_barrier
	v_cmp_gt_i32_e64 s[30:31], s33, v9
	v_and_b32_e32 v11, s30, v2
	s_bcnt1_i32_b64 s38, s[30:31]
	v_and_b32_e32 v10, s31, v3
	v_bcnt_u32_b32 v11, v11, 0
	v_bcnt_u32_b32 v10, v10, v11
	v_mov_b32_e32 v11, s38
	ds_write_b32 v7, v11
	s_waitcnt lgkmcnt(0)
	s_barrier
	s_and_saveexec_b64 s[38:39], s[0:1]
	s_cbranch_execnz .LBB214_62
; %bb.46:                               ;   in Loop: Header=BB214_45 Depth=1
	s_or_b64 exec, exec, s[38:39]
	s_and_saveexec_b64 s[38:39], s[2:3]
	s_cbranch_execnz .LBB214_63
.LBB214_47:                             ;   in Loop: Header=BB214_45 Depth=1
	s_or_b64 exec, exec, s[38:39]
	s_and_saveexec_b64 s[38:39], s[4:5]
	s_cbranch_execnz .LBB214_64
.LBB214_48:                             ;   in Loop: Header=BB214_45 Depth=1
	s_or_b64 exec, exec, s[38:39]
	s_and_saveexec_b64 s[38:39], s[6:7]
	s_cbranch_execnz .LBB214_65
.LBB214_49:                             ;   in Loop: Header=BB214_45 Depth=1
	s_or_b64 exec, exec, s[38:39]
	s_and_saveexec_b64 s[38:39], s[8:9]
	s_cbranch_execnz .LBB214_66
.LBB214_50:                             ;   in Loop: Header=BB214_45 Depth=1
	s_or_b64 exec, exec, s[38:39]
	s_and_saveexec_b64 s[38:39], s[10:11]
	s_cbranch_execnz .LBB214_67
.LBB214_51:                             ;   in Loop: Header=BB214_45 Depth=1
	s_or_b64 exec, exec, s[38:39]
	s_and_saveexec_b64 s[38:39], s[12:13]
	s_cbranch_execnz .LBB214_68
.LBB214_52:                             ;   in Loop: Header=BB214_45 Depth=1
	s_or_b64 exec, exec, s[38:39]
	s_and_saveexec_b64 s[38:39], s[14:15]
	s_cbranch_execnz .LBB214_69
.LBB214_53:                             ;   in Loop: Header=BB214_45 Depth=1
	s_or_b64 exec, exec, s[38:39]
	s_and_saveexec_b64 s[38:39], s[16:17]
	s_cbranch_execnz .LBB214_70
.LBB214_54:                             ;   in Loop: Header=BB214_45 Depth=1
	s_or_b64 exec, exec, s[38:39]
	s_and_saveexec_b64 s[38:39], s[18:19]
	s_cbranch_execnz .LBB214_71
.LBB214_55:                             ;   in Loop: Header=BB214_45 Depth=1
	s_or_b64 exec, exec, s[38:39]
	s_and_saveexec_b64 s[38:39], s[20:21]
	s_cbranch_execnz .LBB214_72
.LBB214_56:                             ;   in Loop: Header=BB214_45 Depth=1
	s_or_b64 exec, exec, s[38:39]
	s_and_saveexec_b64 s[38:39], s[22:23]
	s_cbranch_execnz .LBB214_73
.LBB214_57:                             ;   in Loop: Header=BB214_45 Depth=1
	s_or_b64 exec, exec, s[38:39]
	s_and_saveexec_b64 s[38:39], s[24:25]
	s_cbranch_execnz .LBB214_74
.LBB214_58:                             ;   in Loop: Header=BB214_45 Depth=1
	s_or_b64 exec, exec, s[38:39]
	s_and_saveexec_b64 s[38:39], s[26:27]
	s_cbranch_execnz .LBB214_75
.LBB214_59:                             ;   in Loop: Header=BB214_45 Depth=1
	s_or_b64 exec, exec, s[38:39]
	s_and_saveexec_b64 s[38:39], s[28:29]
	s_cbranch_execnz .LBB214_76
.LBB214_60:                             ;   in Loop: Header=BB214_45 Depth=1
	s_or_b64 exec, exec, s[38:39]
	s_and_saveexec_b64 s[38:39], s[30:31]
	s_cbranch_execnz .LBB214_77
.LBB214_61:                             ;   in Loop: Header=BB214_45 Depth=1
	s_or_b64 exec, exec, s[38:39]
	s_and_saveexec_b64 s[30:31], vcc
	s_cbranch_execz .LBB214_44
	s_branch .LBB214_78
.LBB214_62:                             ;   in Loop: Header=BB214_45 Depth=1
	v_mov_b32_e32 v11, s35
	ds_read_b32 v11, v11
	s_waitcnt lgkmcnt(0)
	v_add_u32_e32 v10, v11, v10
	s_or_b64 exec, exec, s[38:39]
	s_and_saveexec_b64 s[38:39], s[2:3]
	s_cbranch_execz .LBB214_47
.LBB214_63:                             ;   in Loop: Header=BB214_45 Depth=1
	v_mov_b32_e32 v11, s40
	ds_read_b32 v11, v11
	s_waitcnt lgkmcnt(0)
	v_add_u32_e32 v10, v11, v10
	s_or_b64 exec, exec, s[38:39]
	s_and_saveexec_b64 s[38:39], s[4:5]
	s_cbranch_execz .LBB214_48
.LBB214_64:                             ;   in Loop: Header=BB214_45 Depth=1
	v_mov_b32_e32 v11, s41
	ds_read_b32 v11, v11
	s_waitcnt lgkmcnt(0)
	v_add_u32_e32 v10, v11, v10
	s_or_b64 exec, exec, s[38:39]
	s_and_saveexec_b64 s[38:39], s[6:7]
	s_cbranch_execz .LBB214_49
.LBB214_65:                             ;   in Loop: Header=BB214_45 Depth=1
	v_mov_b32_e32 v11, s44
	ds_read_b32 v11, v11
	s_waitcnt lgkmcnt(0)
	v_add_u32_e32 v10, v11, v10
	s_or_b64 exec, exec, s[38:39]
	s_and_saveexec_b64 s[38:39], s[8:9]
	s_cbranch_execz .LBB214_50
.LBB214_66:                             ;   in Loop: Header=BB214_45 Depth=1
	v_mov_b32_e32 v11, s45
	ds_read_b32 v11, v11
	s_waitcnt lgkmcnt(0)
	v_add_u32_e32 v10, v11, v10
	s_or_b64 exec, exec, s[38:39]
	s_and_saveexec_b64 s[38:39], s[10:11]
	s_cbranch_execz .LBB214_51
.LBB214_67:                             ;   in Loop: Header=BB214_45 Depth=1
	v_mov_b32_e32 v11, s47
	ds_read_b32 v11, v11
	s_waitcnt lgkmcnt(0)
	v_add_u32_e32 v10, v11, v10
	s_or_b64 exec, exec, s[38:39]
	s_and_saveexec_b64 s[38:39], s[12:13]
	s_cbranch_execz .LBB214_52
.LBB214_68:                             ;   in Loop: Header=BB214_45 Depth=1
	v_mov_b32_e32 v11, s52
	ds_read_b32 v11, v11
	s_waitcnt lgkmcnt(0)
	v_add_u32_e32 v10, v11, v10
	s_or_b64 exec, exec, s[38:39]
	s_and_saveexec_b64 s[38:39], s[14:15]
	s_cbranch_execz .LBB214_53
.LBB214_69:                             ;   in Loop: Header=BB214_45 Depth=1
	v_mov_b32_e32 v11, s53
	ds_read_b32 v11, v11
	s_waitcnt lgkmcnt(0)
	v_add_u32_e32 v10, v11, v10
	s_or_b64 exec, exec, s[38:39]
	s_and_saveexec_b64 s[38:39], s[16:17]
	s_cbranch_execz .LBB214_54
.LBB214_70:                             ;   in Loop: Header=BB214_45 Depth=1
	v_mov_b32_e32 v11, s54
	ds_read_b32 v11, v11
	s_waitcnt lgkmcnt(0)
	v_add_u32_e32 v10, v11, v10
	s_or_b64 exec, exec, s[38:39]
	s_and_saveexec_b64 s[38:39], s[18:19]
	s_cbranch_execz .LBB214_55
.LBB214_71:                             ;   in Loop: Header=BB214_45 Depth=1
	v_mov_b32_e32 v11, s55
	ds_read_b32 v11, v11
	s_waitcnt lgkmcnt(0)
	v_add_u32_e32 v10, v11, v10
	s_or_b64 exec, exec, s[38:39]
	s_and_saveexec_b64 s[38:39], s[20:21]
	s_cbranch_execz .LBB214_56
.LBB214_72:                             ;   in Loop: Header=BB214_45 Depth=1
	v_mov_b32_e32 v11, s56
	ds_read_b32 v11, v11
	s_waitcnt lgkmcnt(0)
	v_add_u32_e32 v10, v11, v10
	s_or_b64 exec, exec, s[38:39]
	s_and_saveexec_b64 s[38:39], s[22:23]
	s_cbranch_execz .LBB214_57
.LBB214_73:                             ;   in Loop: Header=BB214_45 Depth=1
	v_mov_b32_e32 v11, s57
	ds_read_b32 v11, v11
	s_waitcnt lgkmcnt(0)
	v_add_u32_e32 v10, v11, v10
	s_or_b64 exec, exec, s[38:39]
	s_and_saveexec_b64 s[38:39], s[24:25]
	s_cbranch_execz .LBB214_58
.LBB214_74:                             ;   in Loop: Header=BB214_45 Depth=1
	v_mov_b32_e32 v11, s58
	ds_read_b32 v11, v11
	s_waitcnt lgkmcnt(0)
	v_add_u32_e32 v10, v11, v10
	s_or_b64 exec, exec, s[38:39]
	s_and_saveexec_b64 s[38:39], s[26:27]
	s_cbranch_execz .LBB214_59
.LBB214_75:                             ;   in Loop: Header=BB214_45 Depth=1
	v_mov_b32_e32 v11, s59
	ds_read_b32 v11, v11
	s_waitcnt lgkmcnt(0)
	v_add_u32_e32 v10, v11, v10
	s_or_b64 exec, exec, s[38:39]
	s_and_saveexec_b64 s[38:39], s[28:29]
	s_cbranch_execz .LBB214_60
.LBB214_76:                             ;   in Loop: Header=BB214_45 Depth=1
	v_mov_b32_e32 v11, s60
	ds_read_b32 v11, v11
	s_waitcnt lgkmcnt(0)
	v_add_u32_e32 v10, v11, v10
	s_or_b64 exec, exec, s[38:39]
	s_and_saveexec_b64 s[38:39], s[30:31]
	s_cbranch_execz .LBB214_61
.LBB214_77:                             ;   in Loop: Header=BB214_45 Depth=1
	v_add3_u32 v11, v6, -1, v10
	v_lshl_add_u32 v12, v11, 2, 0
	v_lshl_add_u32 v11, v11, 3, 0
	v_add_u32_e32 v11, 0x20000, v11
	ds_write_b32 v12, v9
	ds_write_b64 v11, v[4:5]
	s_or_b64 exec, exec, s[38:39]
	s_and_saveexec_b64 s[30:31], vcc
	s_cbranch_execz .LBB214_44
.LBB214_78:                             ;   in Loop: Header=BB214_45 Depth=1
	v_mov_b32_e32 v4, s61
	ds_write_b32 v4, v10
	s_branch .LBB214_44
.LBB214_79:
	s_or_b64 exec, exec, s[36:37]
	s_ashr_i32 s35, s34, 31
	s_lshl_b64 s[0:1], s[34:35], 3
	s_add_u32 s0, s42, s0
	s_addc_u32 s1, s43, s1
	s_load_dwordx4 s[0:3], s[0:1], 0x0
	s_waitcnt lgkmcnt(0)
	s_sub_i32 s8, s2, s0
	v_cmp_gt_i32_e32 vcc, s8, v0
	s_and_saveexec_b64 s[4:5], vcc
	s_cbranch_execz .LBB214_89
; %bb.80:
	s_sub_u32 s4, s0, s46
	s_subb_u32 s5, s1, 0
	s_and_b32 s9, s8, 7
	s_sub_i32 s0, s0, s2
	s_cmp_lt_u32 s0, -7
	s_cselect_b64 s[0:1], -1, 0
	s_and_b32 s10, s8, -8
	s_cmp_lg_u32 s9, 0
	v_cndmask_b32_e64 v1, 0, 1, s[0:1]
	s_cselect_b64 s[2:3], -1, 0
	v_cmp_ne_u32_e64 s[0:1], 1, v1
	v_cndmask_b32_e64 v1, 0, 1, s[2:3]
	s_mov_b64 s[6:7], 0
	v_cmp_ne_u32_e64 s[2:3], 1, v1
	s_branch .LBB214_82
.LBB214_81:                             ;   in Loop: Header=BB214_82 Depth=1
	v_lshlrev_b64 v[6:7], 2, v[4:5]
	v_mov_b32_e32 v8, s49
	v_add_co_u32_e32 v6, vcc, s48, v6
	s_waitcnt lgkmcnt(1)
	v_add_u32_e32 v1, s46, v1
	v_addc_co_u32_e32 v7, vcc, v8, v7, vcc
	v_lshlrev_b64 v[4:5], 3, v[4:5]
	global_store_dword v[6:7], v1, off
	v_mov_b32_e32 v1, s51
	v_add_co_u32_e32 v4, vcc, s50, v4
	v_addc_co_u32_e32 v5, vcc, v1, v5, vcc
	v_add_u32_e32 v0, 0x400, v0
	v_cmp_le_i32_e32 vcc, s8, v0
	s_or_b64 s[6:7], vcc, s[6:7]
	s_waitcnt lgkmcnt(0)
	global_store_dwordx2 v[4:5], v[2:3], off
	s_andn2_b64 exec, exec, s[6:7]
	s_cbranch_execz .LBB214_89
.LBB214_82:                             ; =>This Loop Header: Depth=1
                                        ;     Child Loop BB214_84 Depth 2
                                        ;     Child Loop BB214_88 Depth 2
	v_lshl_add_u32 v2, v0, 3, 0
	v_lshl_add_u32 v1, v0, 2, 0
	v_add_u32_e32 v2, 0x20000, v2
	ds_read_b32 v1, v1
	ds_read_b64 v[2:3], v2
	s_and_b64 vcc, exec, s[0:1]
	v_pk_mov_b32 v[4:5], s[4:5], s[4:5] op_sel:[0,1]
	s_mov_b32 s11, 0
	s_cbranch_vccnz .LBB214_86
; %bb.83:                               ;   in Loop: Header=BB214_82 Depth=1
	s_mov_b32 s12, 0
	v_pk_mov_b32 v[4:5], s[4:5], s[4:5] op_sel:[0,1]
.LBB214_84:                             ;   Parent Loop BB214_82 Depth=1
                                        ; =>  This Inner Loop Header: Depth=2
	v_mov_b32_e32 v12, s12
	ds_read2_b32 v[6:7], v12 offset1:1
	ds_read2_b32 v[8:9], v12 offset0:2 offset1:3
	ds_read2_b32 v[10:11], v12 offset0:4 offset1:5
	;; [unrolled: 1-line block ×3, first 2 shown]
	s_add_i32 s11, s11, 8
	s_waitcnt lgkmcnt(3)
	v_cmp_gt_i32_e32 vcc, v1, v6
	v_cndmask_b32_e64 v6, 0, 1, vcc
	v_cmp_gt_i32_e32 vcc, v1, v7
	v_cndmask_b32_e64 v7, 0, 1, vcc
	s_waitcnt lgkmcnt(2)
	v_cmp_gt_i32_e32 vcc, v1, v8
	v_cndmask_b32_e64 v8, 0, 1, vcc
	v_cmp_gt_i32_e32 vcc, v1, v9
	v_cndmask_b32_e64 v9, 0, 1, vcc
	s_waitcnt lgkmcnt(1)
	v_cmp_gt_i32_e32 vcc, v1, v10
	v_cndmask_b32_e64 v10, 0, 1, vcc
	v_cmp_gt_i32_e32 vcc, v1, v11
	v_cndmask_b32_e64 v11, 0, 1, vcc
	s_waitcnt lgkmcnt(0)
	v_cmp_gt_i32_e32 vcc, v1, v12
	v_cndmask_b32_e64 v12, 0, 1, vcc
	v_cmp_gt_i32_e32 vcc, v1, v13
	v_cndmask_b32_e64 v13, 0, 1, vcc
	v_add_co_u32_e32 v4, vcc, v4, v6
	v_addc_co_u32_e32 v5, vcc, 0, v5, vcc
	v_add_co_u32_e32 v4, vcc, v4, v7
	v_addc_co_u32_e32 v5, vcc, 0, v5, vcc
	;; [unrolled: 2-line block ×7, first 2 shown]
	s_add_i32 s12, s12, 32
	v_add_co_u32_e32 v4, vcc, v4, v13
	s_cmp_eq_u32 s10, s11
	v_addc_co_u32_e32 v5, vcc, 0, v5, vcc
	s_cbranch_scc0 .LBB214_84
; %bb.85:                               ;   in Loop: Header=BB214_82 Depth=1
	s_mov_b32 s11, s10
.LBB214_86:                             ;   in Loop: Header=BB214_82 Depth=1
	s_and_b64 vcc, exec, s[2:3]
	s_cbranch_vccnz .LBB214_81
; %bb.87:                               ;   in Loop: Header=BB214_82 Depth=1
	s_lshl_b32 s11, s11, 2
	s_add_i32 s11, s11, 0
	s_mov_b32 s12, s9
.LBB214_88:                             ;   Parent Loop BB214_82 Depth=1
                                        ; =>  This Inner Loop Header: Depth=2
	v_mov_b32_e32 v6, s11
	ds_read_b32 v6, v6
	s_add_i32 s11, s11, 4
	s_add_i32 s12, s12, -1
	s_cmp_lg_u32 s12, 0
	s_waitcnt lgkmcnt(0)
	v_cmp_gt_i32_e32 vcc, v1, v6
	v_cndmask_b32_e64 v6, 0, 1, vcc
	v_add_co_u32_e32 v4, vcc, v4, v6
	v_addc_co_u32_e32 v5, vcc, 0, v5, vcc
	s_cbranch_scc1 .LBB214_88
	s_branch .LBB214_81
.LBB214_89:
	s_endpgm
	.section	.rodata,"a",@progbits
	.p2align	6, 0x0
	.amdhsa_kernel _ZN9rocsparseL26csrgemm_fill_block_per_rowILj1024ELj64ELj32768ELj137ELj64ElidEEvT5_PKS1_S3_NS_24const_host_device_scalarIT6_EEPKT4_S3_PKS5_S9_S3_SB_S6_S9_S3_SB_S9_PS1_PS5_21rocsparse_index_base_SE_SE_SE_bbb
		.amdhsa_group_segment_fixed_size 0
		.amdhsa_private_segment_fixed_size 0
		.amdhsa_kernarg_size 156
		.amdhsa_user_sgpr_count 6
		.amdhsa_user_sgpr_private_segment_buffer 1
		.amdhsa_user_sgpr_dispatch_ptr 0
		.amdhsa_user_sgpr_queue_ptr 0
		.amdhsa_user_sgpr_kernarg_segment_ptr 1
		.amdhsa_user_sgpr_dispatch_id 0
		.amdhsa_user_sgpr_flat_scratch_init 0
		.amdhsa_user_sgpr_kernarg_preload_length 0
		.amdhsa_user_sgpr_kernarg_preload_offset 0
		.amdhsa_user_sgpr_private_segment_size 0
		.amdhsa_uses_dynamic_stack 0
		.amdhsa_system_sgpr_private_segment_wavefront_offset 0
		.amdhsa_system_sgpr_workgroup_id_x 1
		.amdhsa_system_sgpr_workgroup_id_y 0
		.amdhsa_system_sgpr_workgroup_id_z 0
		.amdhsa_system_sgpr_workgroup_info 0
		.amdhsa_system_vgpr_workitem_id 0
		.amdhsa_next_free_vgpr 28
		.amdhsa_next_free_sgpr 63
		.amdhsa_accum_offset 28
		.amdhsa_reserve_vcc 1
		.amdhsa_reserve_flat_scratch 0
		.amdhsa_float_round_mode_32 0
		.amdhsa_float_round_mode_16_64 0
		.amdhsa_float_denorm_mode_32 3
		.amdhsa_float_denorm_mode_16_64 3
		.amdhsa_dx10_clamp 1
		.amdhsa_ieee_mode 1
		.amdhsa_fp16_overflow 0
		.amdhsa_tg_split 0
		.amdhsa_exception_fp_ieee_invalid_op 0
		.amdhsa_exception_fp_denorm_src 0
		.amdhsa_exception_fp_ieee_div_zero 0
		.amdhsa_exception_fp_ieee_overflow 0
		.amdhsa_exception_fp_ieee_underflow 0
		.amdhsa_exception_fp_ieee_inexact 0
		.amdhsa_exception_int_div_zero 0
	.end_amdhsa_kernel
	.section	.text._ZN9rocsparseL26csrgemm_fill_block_per_rowILj1024ELj64ELj32768ELj137ELj64ElidEEvT5_PKS1_S3_NS_24const_host_device_scalarIT6_EEPKT4_S3_PKS5_S9_S3_SB_S6_S9_S3_SB_S9_PS1_PS5_21rocsparse_index_base_SE_SE_SE_bbb,"axG",@progbits,_ZN9rocsparseL26csrgemm_fill_block_per_rowILj1024ELj64ELj32768ELj137ELj64ElidEEvT5_PKS1_S3_NS_24const_host_device_scalarIT6_EEPKT4_S3_PKS5_S9_S3_SB_S6_S9_S3_SB_S9_PS1_PS5_21rocsparse_index_base_SE_SE_SE_bbb,comdat
.Lfunc_end214:
	.size	_ZN9rocsparseL26csrgemm_fill_block_per_rowILj1024ELj64ELj32768ELj137ELj64ElidEEvT5_PKS1_S3_NS_24const_host_device_scalarIT6_EEPKT4_S3_PKS5_S9_S3_SB_S6_S9_S3_SB_S9_PS1_PS5_21rocsparse_index_base_SE_SE_SE_bbb, .Lfunc_end214-_ZN9rocsparseL26csrgemm_fill_block_per_rowILj1024ELj64ELj32768ELj137ELj64ElidEEvT5_PKS1_S3_NS_24const_host_device_scalarIT6_EEPKT4_S3_PKS5_S9_S3_SB_S6_S9_S3_SB_S9_PS1_PS5_21rocsparse_index_base_SE_SE_SE_bbb
                                        ; -- End function
	.section	.AMDGPU.csdata,"",@progbits
; Kernel info:
; codeLenInByte = 3396
; NumSgprs: 67
; NumVgprs: 28
; NumAgprs: 0
; TotalNumVgprs: 28
; ScratchSize: 0
; MemoryBound: 0
; FloatMode: 240
; IeeeMode: 1
; LDSByteSize: 0 bytes/workgroup (compile time only)
; SGPRBlocks: 8
; VGPRBlocks: 3
; NumSGPRsForWavesPerEU: 67
; NumVGPRsForWavesPerEU: 28
; AccumOffset: 28
; Occupancy: 8
; WaveLimiterHint : 1
; COMPUTE_PGM_RSRC2:SCRATCH_EN: 0
; COMPUTE_PGM_RSRC2:USER_SGPR: 6
; COMPUTE_PGM_RSRC2:TRAP_HANDLER: 0
; COMPUTE_PGM_RSRC2:TGID_X_EN: 1
; COMPUTE_PGM_RSRC2:TGID_Y_EN: 0
; COMPUTE_PGM_RSRC2:TGID_Z_EN: 0
; COMPUTE_PGM_RSRC2:TIDIG_COMP_CNT: 0
; COMPUTE_PGM_RSRC3_GFX90A:ACCUM_OFFSET: 6
; COMPUTE_PGM_RSRC3_GFX90A:TG_SPLIT: 0
	.section	.text._ZN9rocsparseL36csrgemm_fill_block_per_row_multipassILj512ELj16ELj2048ELj32ElidEEvT4_PKS1_S3_NS_24const_host_device_scalarIT5_EEPKT3_S3_PKS5_S9_S3_SB_S6_S9_S3_SB_S9_PS1_PS5_PS7_21rocsparse_index_base_SF_SF_SF_bbb,"axG",@progbits,_ZN9rocsparseL36csrgemm_fill_block_per_row_multipassILj512ELj16ELj2048ELj32ElidEEvT4_PKS1_S3_NS_24const_host_device_scalarIT5_EEPKT3_S3_PKS5_S9_S3_SB_S6_S9_S3_SB_S9_PS1_PS5_PS7_21rocsparse_index_base_SF_SF_SF_bbb,comdat
	.globl	_ZN9rocsparseL36csrgemm_fill_block_per_row_multipassILj512ELj16ELj2048ELj32ElidEEvT4_PKS1_S3_NS_24const_host_device_scalarIT5_EEPKT3_S3_PKS5_S9_S3_SB_S6_S9_S3_SB_S9_PS1_PS5_PS7_21rocsparse_index_base_SF_SF_SF_bbb ; -- Begin function _ZN9rocsparseL36csrgemm_fill_block_per_row_multipassILj512ELj16ELj2048ELj32ElidEEvT4_PKS1_S3_NS_24const_host_device_scalarIT5_EEPKT3_S3_PKS5_S9_S3_SB_S6_S9_S3_SB_S9_PS1_PS5_PS7_21rocsparse_index_base_SF_SF_SF_bbb
	.p2align	8
	.type	_ZN9rocsparseL36csrgemm_fill_block_per_row_multipassILj512ELj16ELj2048ELj32ElidEEvT4_PKS1_S3_NS_24const_host_device_scalarIT5_EEPKT3_S3_PKS5_S9_S3_SB_S6_S9_S3_SB_S9_PS1_PS5_PS7_21rocsparse_index_base_SF_SF_SF_bbb,@function
_ZN9rocsparseL36csrgemm_fill_block_per_row_multipassILj512ELj16ELj2048ELj32ElidEEvT4_PKS1_S3_NS_24const_host_device_scalarIT5_EEPKT3_S3_PKS5_S9_S3_SB_S6_S9_S3_SB_S9_PS1_PS5_PS7_21rocsparse_index_base_SF_SF_SF_bbb: ; @_ZN9rocsparseL36csrgemm_fill_block_per_row_multipassILj512ELj16ELj2048ELj32ElidEEvT4_PKS1_S3_NS_24const_host_device_scalarIT5_EEPKT3_S3_PKS5_S9_S3_SB_S6_S9_S3_SB_S9_PS1_PS5_PS7_21rocsparse_index_base_SF_SF_SF_bbb
; %bb.0:
	s_load_dword s7, s[4:5], 0xa0
	s_load_dwordx4 s[0:3], s[4:5], 0x8
	s_load_dwordx2 s[10:11], s[4:5], 0x18
	s_load_dwordx4 s[56:59], s[4:5], 0x90
	s_load_dwordx2 s[12:13], s[4:5], 0x50
	s_waitcnt lgkmcnt(0)
	s_and_b32 s8, 1, s7
	s_bitcmp1_b32 s7, 16
	s_cselect_b64 s[14:15], -1, 0
	s_cmp_eq_u32 s8, 1
	s_cselect_b64 s[8:9], -1, 0
	s_and_b64 s[16:17], s[8:9], exec
	s_cselect_b32 s17, s11, 0
	s_cselect_b32 s16, s10, 0
	s_xor_b64 s[18:19], s[8:9], -1
	s_or_b64 s[18:19], s[18:19], s[14:15]
	s_and_b64 vcc, exec, s[18:19]
	v_pk_mov_b32 v[2:3], s[16:17], s[16:17] op_sel:[0,1]
	s_cbranch_vccnz .LBB215_2
; %bb.1:
	v_pk_mov_b32 v[2:3], s[10:11], s[10:11] op_sel:[0,1]
	flat_load_dwordx2 v[2:3], v[2:3]
.LBB215_2:
	s_bitcmp1_b32 s7, 8
	s_load_dwordx2 s[10:11], s[4:5], 0x20
	s_cselect_b64 s[64:65], -1, 0
	s_and_b64 s[16:17], s[64:65], exec
	s_cselect_b32 s17, s13, 0
	s_cselect_b32 s16, s12, 0
	s_xor_b64 s[18:19], s[64:65], -1
	s_or_b64 s[14:15], s[18:19], s[14:15]
	s_and_b64 vcc, exec, s[14:15]
	v_pk_mov_b32 v[4:5], s[16:17], s[16:17] op_sel:[0,1]
	s_cbranch_vccnz .LBB215_4
; %bb.3:
	v_pk_mov_b32 v[4:5], s[12:13], s[12:13] op_sel:[0,1]
	flat_load_dwordx2 v[4:5], v[4:5]
.LBB215_4:
	s_load_dword s0, s[0:1], 0x0
	s_mov_b32 s1, 0
	v_cndmask_b32_e64 v1, 0, 1, s[8:9]
	s_mov_b64 s[66:67], 0
	s_waitcnt lgkmcnt(0)
	s_add_i32 s0, s0, s6
	s_lshl_b64 s[0:1], s[0:1], 2
	s_add_u32 s0, s2, s0
	s_addc_u32 s1, s3, s1
	s_load_dword s6, s[0:1], 0x0
	v_cmp_ne_u32_e64 s[0:1], 1, v1
	s_andn2_b64 vcc, exec, s[8:9]
	s_mov_b64 s[2:3], 0
	s_cbranch_vccz .LBB215_7
; %bb.5:
	s_and_b64 vcc, exec, s[0:1]
	s_cbranch_vccz .LBB215_8
.LBB215_6:
	s_load_dword s33, s[4:5], 0x0
	s_waitcnt lgkmcnt(0)
	s_cmp_lt_i32 s33, 1
	s_cbranch_scc0 .LBB215_9
	s_branch .LBB215_62
.LBB215_7:
	s_waitcnt lgkmcnt(0)
	s_ashr_i32 s7, s6, 31
	s_lshl_b64 s[2:3], s[6:7], 3
	s_add_u32 s2, s10, s2
	s_addc_u32 s3, s11, s3
	s_load_dwordx2 s[2:3], s[2:3], 0x0
	s_waitcnt lgkmcnt(0)
	s_sub_u32 s2, s2, s56
	s_subb_u32 s3, s3, 0
	s_and_b64 vcc, exec, s[0:1]
	s_cbranch_vccnz .LBB215_6
.LBB215_8:
	s_waitcnt lgkmcnt(0)
	s_ashr_i32 s7, s6, 31
	s_lshl_b64 s[0:1], s[6:7], 3
	s_add_u32 s0, s10, s0
	s_addc_u32 s1, s11, s1
	s_load_dwordx2 s[0:1], s[0:1], 0x8
	s_waitcnt lgkmcnt(0)
	s_sub_u32 s66, s0, s56
	s_subb_u32 s67, s1, 0
	s_load_dword s33, s[4:5], 0x0
	s_waitcnt lgkmcnt(0)
	s_cmp_lt_i32 s33, 1
	s_cbranch_scc1 .LBB215_62
.LBB215_9:
	s_load_dwordx8 s[12:19], s[4:5], 0x58
	s_load_dwordx2 s[68:69], s[4:5], 0x88
	s_load_dwordx4 s[60:63], s[4:5], 0x78
	s_load_dwordx2 s[70:71], s[4:5], 0x48
	s_ashr_i32 s7, s6, 31
	s_lshl_b64 s[6:7], s[6:7], 3
	s_waitcnt lgkmcnt(0)
	s_add_u32 s0, s18, s6
	s_addc_u32 s1, s19, s7
	s_load_dwordx2 s[10:11], s[0:1], 0x0
	s_load_dwordx8 s[48:55], s[4:5], 0x28
                                        ; implicit-def: $vgpr43 : SGPR spill to VGPR lane
	v_lshrrev_b32_e32 v1, 4, v0
	v_mov_b32_e32 v7, s3
	v_add_co_u32_e32 v10, vcc, s2, v1
	s_waitcnt lgkmcnt(0)
	s_sub_u32 s38, s10, s58
	s_subb_u32 s39, s11, 0
	s_add_u32 s40, s12, s6
	v_writelane_b32 v43, s12, 0
	v_writelane_b32 v43, s13, 1
	;; [unrolled: 1-line block ×3, first 2 shown]
	v_addc_co_u32_e32 v11, vcc, 0, v7, vcc
	v_writelane_b32 v43, s15, 3
	v_cmp_gt_i64_e32 vcc, s[66:67], v[10:11]
	v_writelane_b32 v43, s16, 4
	v_writelane_b32 v43, s17, 5
	s_addc_u32 s41, s13, s7
	s_and_b64 s[46:47], s[8:9], vcc
	v_writelane_b32 v43, s18, 6
	s_add_u32 s89, s52, 8
	v_writelane_b32 v43, s19, 7
	s_mov_b32 s4, s59
	v_mbcnt_lo_u32_b32 v9, -1, 0
	s_addc_u32 s90, s53, 0
	v_writelane_b32 v43, s4, 8
	v_subrev_co_u32_e64 v1, s[4:5], s59, v0
	v_mbcnt_hi_u32_b32 v9, -1, v9
	s_add_u32 s91, s60, -4
	v_subb_co_u32_e64 v7, s[4:5], 0, 0, s[4:5]
	v_sub_u32_e32 v9, 63, v9
	s_addc_u32 s92, s61, -1
	v_and_b32_e32 v6, 15, v0
	s_mov_b32 s88, 0
	v_mov_b32_e32 v8, 0
	v_lshrrev_b64 v[12:13], v9, -1
	v_lshrrev_b32_e32 v9, 3, v0
	s_movk_i32 s4, 0x1ff
	s_movk_i32 s10, 0x60
	;; [unrolled: 1-line block ×14, first 2 shown]
	s_add_u32 s93, s62, -8
	v_cmp_eq_u32_e64 s[0:1], 0, v0
	s_mov_b32 s87, s57
	v_cmp_eq_u32_e64 s[2:3], 15, v6
	v_and_b32_e32 v36, 60, v9
	v_cmp_eq_u32_e64 s[4:5], s4, v0
	v_cmp_gt_u32_e64 s[6:7], 32, v0
	v_cmp_gt_u32_e64 s[8:9], 64, v0
	;; [unrolled: 1-line block ×15, first 2 shown]
	s_addc_u32 s94, s63, -1
	v_or_b32_e32 v37, 0xfffffe00, v0
	v_lshlrev_b32_e32 v38, 3, v0
	v_mov_b32_e32 v40, 0x800
	v_pk_mov_b32 v[14:15], s[38:39], s[38:39] op_sel:[0,1]
	v_mov_b32_e32 v9, v8
	s_movk_i32 s95, 0x5ff
	v_mov_b32_e32 v39, 1
	s_mov_b32 s86, s88
	s_branch .LBB215_11
.LBB215_10:                             ;   in Loop: Header=BB215_11 Depth=1
	s_or_b64 exec, exec, s[38:39]
	ds_read_b32 v16, v8 offset:18432
	s_waitcnt lgkmcnt(0)
	s_barrier
	v_cmp_le_i32_e32 vcc, s33, v16
	v_readfirstlane_b32 s86, v16
	v_add_u32_e32 v40, 0x800, v16
	s_cbranch_vccnz .LBB215_62
.LBB215_11:                             ; =>This Loop Header: Depth=1
                                        ;     Child Loop BB215_12 Depth 2
                                        ;     Child Loop BB215_18 Depth 2
                                        ;       Child Loop BB215_24 Depth 3
                                        ;     Child Loop BB215_41 Depth 2
                                        ;     Child Loop BB215_53 Depth 2
	;; [unrolled: 1-line block ×3, first 2 shown]
	s_mov_b64 s[38:39], 0
	v_mov_b32_e32 v16, v38
	v_mov_b32_e32 v17, v37
.LBB215_12:                             ;   Parent Loop BB215_11 Depth=1
                                        ; =>  This Inner Loop Header: Depth=2
	ds_write_b8 v17, v8 offset:16896
	ds_write_b64 v16, v[8:9]
	v_add_u32_e32 v17, 0x200, v17
	v_cmp_lt_u32_e32 vcc, s95, v17
	s_or_b64 s[38:39], vcc, s[38:39]
	v_add_u32_e32 v16, 0x1000, v16
	s_andn2_b64 exec, exec, s[38:39]
	s_cbranch_execnz .LBB215_12
; %bb.13:                               ;   in Loop: Header=BB215_11 Depth=1
	s_or_b64 exec, exec, s[38:39]
	s_and_saveexec_b64 s[38:39], s[0:1]
	s_cbranch_execz .LBB215_15
; %bb.14:                               ;   in Loop: Header=BB215_11 Depth=1
	v_mov_b32_e32 v16, s33
	ds_write_b32 v8, v16 offset:18432
.LBB215_15:                             ;   in Loop: Header=BB215_11 Depth=1
	s_or_b64 exec, exec, s[38:39]
	v_mov_b32_e32 v41, s33
	s_waitcnt lgkmcnt(0)
	s_barrier
	s_and_saveexec_b64 s[60:61], s[46:47]
	s_cbranch_execz .LBB215_37
; %bb.16:                               ;   in Loop: Header=BB215_11 Depth=1
	s_cmp_lg_u32 s86, 0
	s_mov_b64 s[62:63], 0
	s_cselect_b64 s[72:73], -1, 0
	v_mov_b32_e32 v41, s33
	v_pk_mov_b32 v[16:17], v[10:11], v[10:11] op_sel:[0,1]
	s_branch .LBB215_18
.LBB215_17:                             ;   in Loop: Header=BB215_18 Depth=2
	s_or_b64 exec, exec, s[38:39]
	v_add_co_u32_e32 v16, vcc, 32, v16
	v_addc_co_u32_e32 v17, vcc, 0, v17, vcc
	v_cmp_le_i64_e32 vcc, s[66:67], v[16:17]
	s_or_b64 s[62:63], vcc, s[62:63]
	s_andn2_b64 exec, exec, s[62:63]
	s_cbranch_execz .LBB215_36
.LBB215_18:                             ;   Parent Loop BB215_11 Depth=1
                                        ; =>  This Loop Header: Depth=2
                                        ;       Child Loop BB215_24 Depth 3
	v_lshlrev_b64 v[18:19], 2, v[16:17]
	v_mov_b32_e32 v20, s49
	v_add_co_u32_e32 v18, vcc, s48, v18
	v_addc_co_u32_e32 v19, vcc, v20, v19, vcc
	global_load_dword v22, v[18:19], off
	v_lshlrev_b64 v[18:19], 3, v[16:17]
	v_mov_b32_e32 v21, s51
	v_add_co_u32_e32 v20, vcc, s50, v18
	v_addc_co_u32_e32 v21, vcc, v21, v19, vcc
	global_load_dwordx2 v[24:25], v[20:21], off
	s_and_b64 vcc, exec, s[72:73]
	s_waitcnt vmcnt(0)
	v_subrev_u32_e32 v20, s56, v22
	v_ashrrev_i32_e32 v21, 31, v20
	s_cbranch_vccz .LBB215_35
; %bb.19:                               ;   in Loop: Header=BB215_18 Depth=2
	v_mov_b32_e32 v23, s69
	v_add_co_u32_e32 v22, vcc, s68, v18
	v_addc_co_u32_e32 v23, vcc, v23, v19, vcc
	global_load_dwordx2 v[26:27], v[22:23], off
	s_cbranch_execnz .LBB215_21
.LBB215_20:                             ;   in Loop: Header=BB215_18 Depth=2
	v_lshlrev_b64 v[22:23], 3, v[20:21]
	s_waitcnt vmcnt(0)
	v_mov_b32_e32 v26, s53
	v_add_co_u32_e32 v22, vcc, s52, v22
	v_addc_co_u32_e32 v23, vcc, v26, v23, vcc
	global_load_dwordx2 v[22:23], v[22:23], off
	v_mov_b32_e32 v27, s88
	s_waitcnt vmcnt(0)
	v_subrev_co_u32_e32 v26, vcc, s87, v22
	v_subb_co_u32_e32 v27, vcc, v23, v27, vcc
.LBB215_21:                             ;   in Loop: Header=BB215_18 Depth=2
	v_lshlrev_b64 v[20:21], 3, v[20:21]
	v_mov_b32_e32 v22, s90
	v_add_co_u32_e32 v20, vcc, s89, v20
	v_addc_co_u32_e32 v21, vcc, v22, v21, vcc
	global_load_dwordx2 v[20:21], v[20:21], off
	v_mov_b32_e32 v23, s88
	s_waitcnt vmcnt(0)
	v_subrev_co_u32_e32 v22, vcc, s87, v20
	v_subb_co_u32_e32 v23, vcc, v21, v23, vcc
	v_add_co_u32_e32 v20, vcc, v26, v6
	v_addc_co_u32_e32 v21, vcc, 0, v27, vcc
	v_cmp_lt_i64_e32 vcc, v[20:21], v[22:23]
	s_and_saveexec_b64 s[74:75], vcc
	s_cbranch_execz .LBB215_33
; %bb.22:                               ;   in Loop: Header=BB215_18 Depth=2
	v_lshlrev_b64 v[26:27], 2, v[20:21]
	v_mov_b32_e32 v28, s55
	v_add_co_u32_e32 v26, vcc, s54, v26
	v_addc_co_u32_e32 v27, vcc, v28, v27, vcc
	v_lshlrev_b64 v[28:29], 3, v[20:21]
	v_mov_b32_e32 v30, s71
	v_add_co_u32_e32 v28, vcc, s70, v28
	v_mul_f64 v[24:25], v[2:3], v[24:25]
	v_addc_co_u32_e32 v29, vcc, v30, v29, vcc
	s_mov_b64 s[78:79], 0
	v_pk_mov_b32 v[30:31], v[20:21], v[20:21] op_sel:[0,1]
                                        ; implicit-def: $sgpr76_sgpr77
                                        ; implicit-def: $sgpr80_sgpr81
	s_branch .LBB215_24
.LBB215_23:                             ;   in Loop: Header=BB215_24 Depth=3
	s_or_b64 exec, exec, s[82:83]
	s_and_b64 s[38:39], exec, s[84:85]
	s_or_b64 s[78:79], s[38:39], s[78:79]
	s_andn2_b64 s[38:39], s[76:77], exec
	s_and_b64 s[42:43], s[80:81], exec
	s_or_b64 s[76:77], s[38:39], s[42:43]
	v_pk_mov_b32 v[30:31], v[32:33], v[32:33] op_sel:[0,1]
	s_andn2_b64 exec, exec, s[78:79]
	s_cbranch_execz .LBB215_30
.LBB215_24:                             ;   Parent Loop BB215_11 Depth=1
                                        ;     Parent Loop BB215_18 Depth=2
                                        ; =>    This Inner Loop Header: Depth=3
	global_load_dword v32, v[26:27], off
                                        ; implicit-def: $sgpr82_sgpr83
	s_waitcnt vmcnt(0)
	v_subrev_u32_e32 v42, s57, v32
	v_cmp_gt_i32_e32 vcc, s86, v42
	v_cmp_ge_i32_e64 s[38:39], v42, v40
	s_or_b64 s[84:85], vcc, s[38:39]
	s_mov_b64 s[38:39], 0
	s_and_saveexec_b64 vcc, s[84:85]
	s_xor_b64 s[84:85], exec, vcc
; %bb.25:                               ;   in Loop: Header=BB215_24 Depth=3
	v_cmp_lt_i32_e32 vcc, v42, v40
	s_mov_b64 s[82:83], -1
	s_and_b64 s[38:39], vcc, exec
; %bb.26:                               ;   in Loop: Header=BB215_24 Depth=3
	s_andn2_saveexec_b64 s[84:85], s[84:85]
	s_cbranch_execz .LBB215_28
; %bb.27:                               ;   in Loop: Header=BB215_24 Depth=3
	global_load_dwordx2 v[32:33], v[28:29], off
	v_subrev_u32_e32 v34, s86, v42
	ds_write_b8 v34, v39 offset:16384
	v_lshlrev_b32_e32 v34, 3, v34
	s_or_b64 s[38:39], s[38:39], exec
	s_waitcnt vmcnt(0)
	v_mul_f64 v[32:33], v[24:25], v[32:33]
	ds_add_f64 v34, v[32:33]
.LBB215_28:                             ;   in Loop: Header=BB215_24 Depth=3
	s_or_b64 exec, exec, s[84:85]
	s_andn2_b64 s[42:43], s[80:81], exec
	s_and_b64 s[44:45], s[82:83], exec
	s_mov_b64 s[84:85], -1
	s_or_b64 s[80:81], s[42:43], s[44:45]
	v_pk_mov_b32 v[34:35], v[30:31], v[30:31] op_sel:[0,1]
                                        ; implicit-def: $vgpr32_vgpr33
	s_and_saveexec_b64 s[82:83], s[38:39]
	s_cbranch_execz .LBB215_23
; %bb.29:                               ;   in Loop: Header=BB215_24 Depth=3
	v_add_co_u32_e32 v32, vcc, 16, v30
	v_addc_co_u32_e32 v33, vcc, 0, v31, vcc
	v_add_co_u32_e32 v26, vcc, 64, v26
	v_addc_co_u32_e32 v27, vcc, 0, v27, vcc
	;; [unrolled: 2-line block ×3, first 2 shown]
	v_cmp_ge_i64_e32 vcc, v[32:33], v[22:23]
	s_andn2_b64 s[80:81], s[80:81], exec
	s_orn2_b64 s[84:85], vcc, exec
	v_pk_mov_b32 v[34:35], v[30:31], v[30:31] op_sel:[0,1]
	s_branch .LBB215_23
.LBB215_30:                             ;   in Loop: Header=BB215_18 Depth=2
	s_or_b64 exec, exec, s[78:79]
	s_and_saveexec_b64 s[38:39], s[76:77]
	s_xor_b64 s[38:39], exec, s[38:39]
; %bb.31:                               ;   in Loop: Header=BB215_18 Depth=2
	v_min_i32_e32 v41, v42, v41
	v_pk_mov_b32 v[20:21], v[34:35], v[34:35] op_sel:[0,1]
; %bb.32:                               ;   in Loop: Header=BB215_18 Depth=2
	s_or_b64 exec, exec, s[38:39]
.LBB215_33:                             ;   in Loop: Header=BB215_18 Depth=2
	s_or_b64 exec, exec, s[74:75]
	v_mov_b32_dpp v22, v20 row_shr:1 row_mask:0xf bank_mask:0xf
	v_mov_b32_dpp v23, v21 row_shr:1 row_mask:0xf bank_mask:0xf
	v_cmp_lt_i64_e32 vcc, v[22:23], v[20:21]
	v_cndmask_b32_e32 v21, v21, v23, vcc
	v_cndmask_b32_e32 v20, v20, v22, vcc
	s_nop 0
	v_mov_b32_dpp v23, v21 row_shr:2 row_mask:0xf bank_mask:0xf
	v_mov_b32_dpp v22, v20 row_shr:2 row_mask:0xf bank_mask:0xf
	v_cmp_lt_i64_e32 vcc, v[22:23], v[20:21]
	v_cndmask_b32_e32 v21, v21, v23, vcc
	v_cndmask_b32_e32 v20, v20, v22, vcc
	s_nop 0
	;; [unrolled: 6-line block ×3, first 2 shown]
	v_mov_b32_dpp v23, v21 row_shr:8 row_mask:0xf bank_mask:0xc
	v_mov_b32_dpp v22, v20 row_shr:8 row_mask:0xf bank_mask:0xc
	s_and_saveexec_b64 s[38:39], s[2:3]
	s_cbranch_execz .LBB215_17
; %bb.34:                               ;   in Loop: Header=BB215_18 Depth=2
	v_cmp_lt_i64_e32 vcc, v[22:23], v[20:21]
	v_cndmask_b32_e32 v21, v21, v23, vcc
	v_cndmask_b32_e32 v20, v20, v22, vcc
	v_mov_b32_e32 v22, s69
	v_add_co_u32_e32 v18, vcc, s68, v18
	v_addc_co_u32_e32 v19, vcc, v22, v19, vcc
	global_store_dwordx2 v[18:19], v[20:21], off
	s_branch .LBB215_17
.LBB215_35:                             ;   in Loop: Header=BB215_18 Depth=2
                                        ; implicit-def: $vgpr26_vgpr27
	s_branch .LBB215_20
.LBB215_36:                             ;   in Loop: Header=BB215_11 Depth=1
	s_or_b64 exec, exec, s[62:63]
.LBB215_37:                             ;   in Loop: Header=BB215_11 Depth=1
	s_or_b64 exec, exec, s[60:61]
	s_andn2_b64 vcc, exec, s[64:65]
	s_cbranch_vccnz .LBB215_51
; %bb.38:                               ;   in Loop: Header=BB215_11 Depth=1
	s_load_dwordx4 s[60:63], s[40:41], 0x0
	v_readlane_b32 s38, v43, 8
	s_waitcnt lgkmcnt(0)
	s_sub_u32 s62, s62, s38
	v_mov_b32_e32 v17, s61
	v_add_co_u32_e32 v16, vcc, s60, v1
	s_subb_u32 s63, s63, 0
	v_addc_co_u32_e32 v17, vcc, v17, v7, vcc
	v_cmp_gt_i64_e32 vcc, s[62:63], v[16:17]
	s_and_saveexec_b64 s[60:61], vcc
	s_cbranch_execz .LBB215_50
; %bb.39:                               ;   in Loop: Header=BB215_11 Depth=1
	v_readlane_b32 s72, v43, 0
	v_readlane_b32 s74, v43, 2
	;; [unrolled: 1-line block ×3, first 2 shown]
	v_lshlrev_b64 v[18:19], 2, v[16:17]
	s_mov_b64 s[42:43], s[74:75]
	v_readlane_b32 s76, v43, 4
	v_readlane_b32 s77, v43, 5
	v_mov_b32_e32 v20, s43
	v_add_co_u32_e32 v18, vcc, s42, v18
	s_mov_b64 s[44:45], s[76:77]
	v_addc_co_u32_e32 v19, vcc, v20, v19, vcc
	v_lshlrev_b64 v[20:21], 3, v[16:17]
	v_readlane_b32 s73, v43, 1
	v_mov_b32_e32 v22, s45
	v_add_co_u32_e32 v20, vcc, s44, v20
	v_addc_co_u32_e32 v21, vcc, v22, v21, vcc
	s_mov_b64 s[72:73], 0
	v_readlane_b32 s78, v43, 6
	v_readlane_b32 s79, v43, 7
                                        ; implicit-def: $sgpr74_sgpr75
                                        ; implicit-def: $sgpr76_sgpr77
	s_branch .LBB215_41
.LBB215_40:                             ;   in Loop: Header=BB215_41 Depth=2
	s_or_b64 exec, exec, s[78:79]
	s_and_b64 s[38:39], exec, s[80:81]
	s_or_b64 s[72:73], s[38:39], s[72:73]
	s_andn2_b64 s[38:39], s[74:75], exec
	s_and_b64 s[42:43], s[76:77], exec
	s_or_b64 s[74:75], s[38:39], s[42:43]
	s_andn2_b64 exec, exec, s[72:73]
	s_cbranch_execz .LBB215_47
.LBB215_41:                             ;   Parent Loop BB215_11 Depth=1
                                        ; =>  This Inner Loop Header: Depth=2
	global_load_dword v22, v[18:19], off
                                        ; implicit-def: $sgpr78_sgpr79
	s_waitcnt vmcnt(0)
	v_subrev_u32_e32 v22, s59, v22
	v_cmp_gt_i32_e32 vcc, s86, v22
	v_cmp_ge_i32_e64 s[38:39], v22, v40
	s_or_b64 s[42:43], vcc, s[38:39]
	s_mov_b64 s[38:39], 0
	s_and_saveexec_b64 s[44:45], s[42:43]
	s_xor_b64 s[80:81], exec, s[44:45]
; %bb.42:                               ;   in Loop: Header=BB215_41 Depth=2
	v_cmp_lt_i32_e32 vcc, v22, v40
	s_mov_b64 s[78:79], -1
	s_and_b64 s[38:39], vcc, exec
; %bb.43:                               ;   in Loop: Header=BB215_41 Depth=2
	s_andn2_saveexec_b64 s[80:81], s[80:81]
	s_cbranch_execz .LBB215_45
; %bb.44:                               ;   in Loop: Header=BB215_41 Depth=2
	global_load_dwordx2 v[24:25], v[20:21], off
	v_subrev_u32_e32 v23, s86, v22
	ds_write_b8 v23, v39 offset:16384
	v_lshlrev_b32_e32 v23, 3, v23
	s_or_b64 s[38:39], s[38:39], exec
	s_waitcnt vmcnt(0)
	v_mul_f64 v[24:25], v[4:5], v[24:25]
	ds_add_f64 v23, v[24:25]
.LBB215_45:                             ;   in Loop: Header=BB215_41 Depth=2
	s_or_b64 exec, exec, s[80:81]
	s_andn2_b64 s[42:43], s[76:77], exec
	s_and_b64 s[44:45], s[78:79], exec
	s_mov_b64 s[80:81], -1
	s_or_b64 s[76:77], s[42:43], s[44:45]
	s_and_saveexec_b64 s[78:79], s[38:39]
	s_cbranch_execz .LBB215_40
; %bb.46:                               ;   in Loop: Header=BB215_41 Depth=2
	v_add_co_u32_e32 v16, vcc, 0x200, v16
	v_addc_co_u32_e32 v17, vcc, 0, v17, vcc
	v_add_co_u32_e32 v18, vcc, 0x800, v18
	v_addc_co_u32_e32 v19, vcc, 0, v19, vcc
	;; [unrolled: 2-line block ×3, first 2 shown]
	v_cmp_le_i64_e32 vcc, s[62:63], v[16:17]
	s_andn2_b64 s[76:77], s[76:77], exec
	s_orn2_b64 s[80:81], vcc, exec
	s_branch .LBB215_40
.LBB215_47:                             ;   in Loop: Header=BB215_11 Depth=1
	s_or_b64 exec, exec, s[72:73]
	s_and_saveexec_b64 s[38:39], s[74:75]
	s_xor_b64 s[38:39], exec, s[38:39]
; %bb.48:                               ;   in Loop: Header=BB215_11 Depth=1
	v_min_i32_e32 v41, v22, v41
; %bb.49:                               ;   in Loop: Header=BB215_11 Depth=1
	s_or_b64 exec, exec, s[38:39]
.LBB215_50:                             ;   in Loop: Header=BB215_11 Depth=1
	s_or_b64 exec, exec, s[60:61]
.LBB215_51:                             ;   in Loop: Header=BB215_11 Depth=1
	v_mov_b32_dpp v16, v41 row_shr:1 row_mask:0xf bank_mask:0xf
	v_min_i32_e32 v16, v16, v41
	s_nop 1
	v_mov_b32_dpp v17, v16 row_shr:2 row_mask:0xf bank_mask:0xf
	v_min_i32_e32 v16, v17, v16
	s_nop 1
	;; [unrolled: 3-line block ×3, first 2 shown]
	v_mov_b32_dpp v17, v16 row_shr:8 row_mask:0xf bank_mask:0xc
	s_and_saveexec_b64 s[38:39], s[2:3]
	s_cbranch_execz .LBB215_56
; %bb.52:                               ;   in Loop: Header=BB215_11 Depth=1
	s_mov_b64 s[60:61], exec
	v_min_i32_e32 v16, v17, v16
	s_brev_b32 s62, -2
.LBB215_53:                             ;   Parent Loop BB215_11 Depth=1
                                        ; =>  This Inner Loop Header: Depth=2
	s_ff1_i32_b64 s42, s[60:61]
	v_readlane_b32 s44, v16, s42
	s_lshl_b64 s[42:43], 1, s42
	s_min_i32 s62, s62, s44
	s_andn2_b64 s[60:61], s[60:61], s[42:43]
	s_cmp_lg_u64 s[60:61], 0
	s_cbranch_scc1 .LBB215_53
; %bb.54:                               ;   in Loop: Header=BB215_11 Depth=1
	v_mbcnt_lo_u32_b32 v16, exec_lo, 0
	v_mbcnt_hi_u32_b32 v16, exec_hi, v16
	v_cmp_eq_u32_e32 vcc, 0, v16
	s_and_saveexec_b64 s[42:43], vcc
	s_xor_b64 s[42:43], exec, s[42:43]
	s_cbranch_execz .LBB215_56
; %bb.55:                               ;   in Loop: Header=BB215_11 Depth=1
	v_mov_b32_e32 v16, s62
	ds_min_i32 v8, v16 offset:18432
.LBB215_56:                             ;   in Loop: Header=BB215_11 Depth=1
	s_or_b64 exec, exec, s[38:39]
	s_add_i32 s62, s58, s86
	s_mov_b64 s[38:39], 0
	v_mov_b32_e32 v18, v38
	v_mov_b32_e32 v19, v0
	s_waitcnt lgkmcnt(0)
	s_barrier
	s_branch .LBB215_58
.LBB215_57:                             ;   in Loop: Header=BB215_58 Depth=2
	s_or_b64 exec, exec, s[60:61]
	s_waitcnt lgkmcnt(0)
	s_barrier
	ds_read_b32 v16, v8 offset:60
	v_add_u32_e32 v18, 0x1000, v18
	s_waitcnt lgkmcnt(0)
	v_ashrrev_i32_e32 v17, 31, v16
	v_add_co_u32_e32 v14, vcc, v14, v16
	v_addc_co_u32_e32 v15, vcc, v15, v17, vcc
	v_add_u32_e32 v16, 0x200, v19
	v_cmp_lt_u32_e32 vcc, s95, v19
	s_or_b64 s[38:39], vcc, s[38:39]
	v_mov_b32_e32 v19, v16
	s_andn2_b64 exec, exec, s[38:39]
	s_cbranch_execz .LBB215_10
.LBB215_58:                             ;   Parent Loop BB215_11 Depth=1
                                        ; =>  This Inner Loop Header: Depth=2
	ds_read_u8 v35, v19 offset:16384
	ds_read_b64 v[16:17], v18
	s_waitcnt lgkmcnt(0)
	s_barrier
	v_cmp_ne_u16_e32 vcc, 0, v35
	s_bcnt1_i32_b64 s42, vcc
	v_and_b32_e32 v20, vcc_lo, v12
	v_bcnt_u32_b32 v25, v20, 0
	v_mov_b32_e32 v20, s42
	ds_write_b32 v36, v20
	s_waitcnt lgkmcnt(0)
	s_barrier
	ds_read_b128 v[20:23], v8
	v_and_b32_e32 v24, vcc_hi, v13
	v_bcnt_u32_b32 v40, v24, v25
	ds_read_b128 v[24:27], v8 offset:16
	ds_read_b128 v[28:31], v8 offset:32
	ds_read_b96 v[32:34], v8 offset:48
	s_waitcnt lgkmcnt(0)
	v_cndmask_b32_e64 v20, v20, 0, s[6:7]
	v_add_u32_e32 v20, v20, v40
	v_cndmask_b32_e64 v21, v21, 0, s[8:9]
	v_cndmask_b32_e64 v22, v22, 0, s[10:11]
	v_add3_u32 v20, v20, v21, v22
	v_cndmask_b32_e64 v21, v23, 0, s[12:13]
	v_cndmask_b32_e64 v22, v24, 0, s[14:15]
	v_add3_u32 v20, v20, v21, v22
	;; [unrolled: 3-line block ×7, first 2 shown]
	v_and_b32_e32 v21, 1, v35
	v_cmp_eq_u32_e32 vcc, 1, v21
	s_and_saveexec_b64 s[60:61], vcc
	s_cbranch_execz .LBB215_60
; %bb.59:                               ;   in Loop: Header=BB215_58 Depth=2
	v_ashrrev_i32_e32 v21, 31, v20
	v_add_co_u32_e32 v22, vcc, v14, v20
	v_addc_co_u32_e32 v23, vcc, v15, v21, vcc
	v_lshlrev_b64 v[24:25], 2, v[22:23]
	v_mov_b32_e32 v21, s92
	v_add_co_u32_e32 v24, vcc, s91, v24
	v_addc_co_u32_e32 v25, vcc, v21, v25, vcc
	v_lshlrev_b64 v[22:23], 3, v[22:23]
	v_mov_b32_e32 v21, s94
	v_add_co_u32_e32 v22, vcc, s93, v22
	v_add_u32_e32 v26, s62, v19
	v_addc_co_u32_e32 v23, vcc, v21, v23, vcc
	global_store_dword v[24:25], v26, off
	global_store_dwordx2 v[22:23], v[16:17], off
.LBB215_60:                             ;   in Loop: Header=BB215_58 Depth=2
	s_or_b64 exec, exec, s[60:61]
	s_and_saveexec_b64 s[60:61], s[4:5]
	s_cbranch_execz .LBB215_57
; %bb.61:                               ;   in Loop: Header=BB215_58 Depth=2
	ds_write_b32 v8, v20 offset:60
	s_branch .LBB215_57
.LBB215_62:
	s_endpgm
	.section	.rodata,"a",@progbits
	.p2align	6, 0x0
	.amdhsa_kernel _ZN9rocsparseL36csrgemm_fill_block_per_row_multipassILj512ELj16ELj2048ELj32ElidEEvT4_PKS1_S3_NS_24const_host_device_scalarIT5_EEPKT3_S3_PKS5_S9_S3_SB_S6_S9_S3_SB_S9_PS1_PS5_PS7_21rocsparse_index_base_SF_SF_SF_bbb
		.amdhsa_group_segment_fixed_size 18440
		.amdhsa_private_segment_fixed_size 0
		.amdhsa_kernarg_size 164
		.amdhsa_user_sgpr_count 6
		.amdhsa_user_sgpr_private_segment_buffer 1
		.amdhsa_user_sgpr_dispatch_ptr 0
		.amdhsa_user_sgpr_queue_ptr 0
		.amdhsa_user_sgpr_kernarg_segment_ptr 1
		.amdhsa_user_sgpr_dispatch_id 0
		.amdhsa_user_sgpr_flat_scratch_init 0
		.amdhsa_user_sgpr_kernarg_preload_length 0
		.amdhsa_user_sgpr_kernarg_preload_offset 0
		.amdhsa_user_sgpr_private_segment_size 0
		.amdhsa_uses_dynamic_stack 0
		.amdhsa_system_sgpr_private_segment_wavefront_offset 0
		.amdhsa_system_sgpr_workgroup_id_x 1
		.amdhsa_system_sgpr_workgroup_id_y 0
		.amdhsa_system_sgpr_workgroup_id_z 0
		.amdhsa_system_sgpr_workgroup_info 0
		.amdhsa_system_vgpr_workitem_id 0
		.amdhsa_next_free_vgpr 44
		.amdhsa_next_free_sgpr 96
		.amdhsa_accum_offset 44
		.amdhsa_reserve_vcc 1
		.amdhsa_reserve_flat_scratch 0
		.amdhsa_float_round_mode_32 0
		.amdhsa_float_round_mode_16_64 0
		.amdhsa_float_denorm_mode_32 3
		.amdhsa_float_denorm_mode_16_64 3
		.amdhsa_dx10_clamp 1
		.amdhsa_ieee_mode 1
		.amdhsa_fp16_overflow 0
		.amdhsa_tg_split 0
		.amdhsa_exception_fp_ieee_invalid_op 0
		.amdhsa_exception_fp_denorm_src 0
		.amdhsa_exception_fp_ieee_div_zero 0
		.amdhsa_exception_fp_ieee_overflow 0
		.amdhsa_exception_fp_ieee_underflow 0
		.amdhsa_exception_fp_ieee_inexact 0
		.amdhsa_exception_int_div_zero 0
	.end_amdhsa_kernel
	.section	.text._ZN9rocsparseL36csrgemm_fill_block_per_row_multipassILj512ELj16ELj2048ELj32ElidEEvT4_PKS1_S3_NS_24const_host_device_scalarIT5_EEPKT3_S3_PKS5_S9_S3_SB_S6_S9_S3_SB_S9_PS1_PS5_PS7_21rocsparse_index_base_SF_SF_SF_bbb,"axG",@progbits,_ZN9rocsparseL36csrgemm_fill_block_per_row_multipassILj512ELj16ELj2048ELj32ElidEEvT4_PKS1_S3_NS_24const_host_device_scalarIT5_EEPKT3_S3_PKS5_S9_S3_SB_S6_S9_S3_SB_S9_PS1_PS5_PS7_21rocsparse_index_base_SF_SF_SF_bbb,comdat
.Lfunc_end215:
	.size	_ZN9rocsparseL36csrgemm_fill_block_per_row_multipassILj512ELj16ELj2048ELj32ElidEEvT4_PKS1_S3_NS_24const_host_device_scalarIT5_EEPKT3_S3_PKS5_S9_S3_SB_S6_S9_S3_SB_S9_PS1_PS5_PS7_21rocsparse_index_base_SF_SF_SF_bbb, .Lfunc_end215-_ZN9rocsparseL36csrgemm_fill_block_per_row_multipassILj512ELj16ELj2048ELj32ElidEEvT4_PKS1_S3_NS_24const_host_device_scalarIT5_EEPKT3_S3_PKS5_S9_S3_SB_S6_S9_S3_SB_S9_PS1_PS5_PS7_21rocsparse_index_base_SF_SF_SF_bbb
                                        ; -- End function
	.section	.AMDGPU.csdata,"",@progbits
; Kernel info:
; codeLenInByte = 2936
; NumSgprs: 100
; NumVgprs: 44
; NumAgprs: 0
; TotalNumVgprs: 44
; ScratchSize: 0
; MemoryBound: 0
; FloatMode: 240
; IeeeMode: 1
; LDSByteSize: 18440 bytes/workgroup (compile time only)
; SGPRBlocks: 12
; VGPRBlocks: 5
; NumSGPRsForWavesPerEU: 100
; NumVGPRsForWavesPerEU: 44
; AccumOffset: 44
; Occupancy: 6
; WaveLimiterHint : 1
; COMPUTE_PGM_RSRC2:SCRATCH_EN: 0
; COMPUTE_PGM_RSRC2:USER_SGPR: 6
; COMPUTE_PGM_RSRC2:TRAP_HANDLER: 0
; COMPUTE_PGM_RSRC2:TGID_X_EN: 1
; COMPUTE_PGM_RSRC2:TGID_Y_EN: 0
; COMPUTE_PGM_RSRC2:TGID_Z_EN: 0
; COMPUTE_PGM_RSRC2:TIDIG_COMP_CNT: 0
; COMPUTE_PGM_RSRC3_GFX90A:ACCUM_OFFSET: 10
; COMPUTE_PGM_RSRC3_GFX90A:TG_SPLIT: 0
	.section	.text._ZN9rocsparseL36csrgemm_fill_block_per_row_multipassILj512ELj16ELj2048ELj64ElidEEvT4_PKS1_S3_NS_24const_host_device_scalarIT5_EEPKT3_S3_PKS5_S9_S3_SB_S6_S9_S3_SB_S9_PS1_PS5_PS7_21rocsparse_index_base_SF_SF_SF_bbb,"axG",@progbits,_ZN9rocsparseL36csrgemm_fill_block_per_row_multipassILj512ELj16ELj2048ELj64ElidEEvT4_PKS1_S3_NS_24const_host_device_scalarIT5_EEPKT3_S3_PKS5_S9_S3_SB_S6_S9_S3_SB_S9_PS1_PS5_PS7_21rocsparse_index_base_SF_SF_SF_bbb,comdat
	.globl	_ZN9rocsparseL36csrgemm_fill_block_per_row_multipassILj512ELj16ELj2048ELj64ElidEEvT4_PKS1_S3_NS_24const_host_device_scalarIT5_EEPKT3_S3_PKS5_S9_S3_SB_S6_S9_S3_SB_S9_PS1_PS5_PS7_21rocsparse_index_base_SF_SF_SF_bbb ; -- Begin function _ZN9rocsparseL36csrgemm_fill_block_per_row_multipassILj512ELj16ELj2048ELj64ElidEEvT4_PKS1_S3_NS_24const_host_device_scalarIT5_EEPKT3_S3_PKS5_S9_S3_SB_S6_S9_S3_SB_S9_PS1_PS5_PS7_21rocsparse_index_base_SF_SF_SF_bbb
	.p2align	8
	.type	_ZN9rocsparseL36csrgemm_fill_block_per_row_multipassILj512ELj16ELj2048ELj64ElidEEvT4_PKS1_S3_NS_24const_host_device_scalarIT5_EEPKT3_S3_PKS5_S9_S3_SB_S6_S9_S3_SB_S9_PS1_PS5_PS7_21rocsparse_index_base_SF_SF_SF_bbb,@function
_ZN9rocsparseL36csrgemm_fill_block_per_row_multipassILj512ELj16ELj2048ELj64ElidEEvT4_PKS1_S3_NS_24const_host_device_scalarIT5_EEPKT3_S3_PKS5_S9_S3_SB_S6_S9_S3_SB_S9_PS1_PS5_PS7_21rocsparse_index_base_SF_SF_SF_bbb: ; @_ZN9rocsparseL36csrgemm_fill_block_per_row_multipassILj512ELj16ELj2048ELj64ElidEEvT4_PKS1_S3_NS_24const_host_device_scalarIT5_EEPKT3_S3_PKS5_S9_S3_SB_S6_S9_S3_SB_S9_PS1_PS5_PS7_21rocsparse_index_base_SF_SF_SF_bbb
; %bb.0:
	s_load_dword s7, s[4:5], 0xa0
	s_load_dwordx4 s[0:3], s[4:5], 0x8
	s_load_dwordx2 s[10:11], s[4:5], 0x18
	s_load_dwordx4 s[28:31], s[4:5], 0x90
	s_load_dwordx2 s[12:13], s[4:5], 0x50
	s_waitcnt lgkmcnt(0)
	s_and_b32 s8, 1, s7
	s_bitcmp1_b32 s7, 16
	s_cselect_b64 s[14:15], -1, 0
	s_cmp_eq_u32 s8, 1
	s_cselect_b64 s[8:9], -1, 0
	s_and_b64 s[16:17], s[8:9], exec
	s_cselect_b32 s17, s11, 0
	s_cselect_b32 s16, s10, 0
	s_xor_b64 s[18:19], s[8:9], -1
	s_or_b64 s[18:19], s[18:19], s[14:15]
	s_and_b64 vcc, exec, s[18:19]
	v_pk_mov_b32 v[2:3], s[16:17], s[16:17] op_sel:[0,1]
	s_cbranch_vccnz .LBB216_2
; %bb.1:
	v_pk_mov_b32 v[2:3], s[10:11], s[10:11] op_sel:[0,1]
	flat_load_dwordx2 v[2:3], v[2:3]
.LBB216_2:
	s_bitcmp1_b32 s7, 8
	s_load_dwordx2 s[10:11], s[4:5], 0x20
	s_cselect_b64 s[34:35], -1, 0
	s_and_b64 s[16:17], s[34:35], exec
	s_cselect_b32 s17, s13, 0
	s_cselect_b32 s16, s12, 0
	s_xor_b64 s[18:19], s[34:35], -1
	s_or_b64 s[14:15], s[18:19], s[14:15]
	s_and_b64 vcc, exec, s[14:15]
	v_pk_mov_b32 v[4:5], s[16:17], s[16:17] op_sel:[0,1]
	s_cbranch_vccnz .LBB216_4
; %bb.3:
	v_pk_mov_b32 v[4:5], s[12:13], s[12:13] op_sel:[0,1]
	flat_load_dwordx2 v[4:5], v[4:5]
.LBB216_4:
	s_load_dword s0, s[0:1], 0x0
	s_mov_b32 s1, 0
	v_cndmask_b32_e64 v1, 0, 1, s[8:9]
	s_mov_b64 s[48:49], 0
	s_waitcnt lgkmcnt(0)
	s_add_i32 s0, s0, s6
	s_lshl_b64 s[0:1], s[0:1], 2
	s_add_u32 s0, s2, s0
	s_addc_u32 s1, s3, s1
	s_load_dword s6, s[0:1], 0x0
	v_cmp_ne_u32_e64 s[0:1], 1, v1
	s_andn2_b64 vcc, exec, s[8:9]
	s_mov_b64 s[2:3], 0
	s_cbranch_vccz .LBB216_7
; %bb.5:
	s_and_b64 vcc, exec, s[0:1]
	s_cbranch_vccz .LBB216_8
.LBB216_6:
	s_load_dword s33, s[4:5], 0x0
	s_waitcnt lgkmcnt(0)
	s_cmp_lt_i32 s33, 1
	s_cbranch_scc0 .LBB216_9
	s_branch .LBB216_62
.LBB216_7:
	s_waitcnt lgkmcnt(0)
	s_ashr_i32 s7, s6, 31
	s_lshl_b64 s[2:3], s[6:7], 3
	s_add_u32 s2, s10, s2
	s_addc_u32 s3, s11, s3
	s_load_dwordx2 s[2:3], s[2:3], 0x0
	s_waitcnt lgkmcnt(0)
	s_sub_u32 s2, s2, s28
	s_subb_u32 s3, s3, 0
	s_and_b64 vcc, exec, s[0:1]
	s_cbranch_vccnz .LBB216_6
.LBB216_8:
	s_waitcnt lgkmcnt(0)
	s_ashr_i32 s7, s6, 31
	s_lshl_b64 s[0:1], s[6:7], 3
	s_add_u32 s0, s10, s0
	s_addc_u32 s1, s11, s1
	s_load_dwordx2 s[0:1], s[0:1], 0x8
	s_waitcnt lgkmcnt(0)
	s_sub_u32 s48, s0, s28
	s_subb_u32 s49, s1, 0
	s_load_dword s33, s[4:5], 0x0
	s_waitcnt lgkmcnt(0)
	s_cmp_lt_i32 s33, 1
	s_cbranch_scc1 .LBB216_62
.LBB216_9:
	s_load_dwordx8 s[20:27], s[4:5], 0x58
	s_load_dwordx2 s[50:51], s[4:5], 0x88
	s_load_dwordx4 s[44:47], s[4:5], 0x78
	s_load_dwordx2 s[52:53], s[4:5], 0x48
	s_ashr_i32 s7, s6, 31
	s_lshl_b64 s[6:7], s[6:7], 3
	s_waitcnt lgkmcnt(0)
	s_add_u32 s0, s26, s6
	s_addc_u32 s1, s27, s7
	s_load_dwordx2 s[10:11], s[0:1], 0x0
	s_load_dwordx8 s[36:43], s[4:5], 0x28
	v_lshrrev_b32_e32 v9, 4, v0
	v_mov_b32_e32 v1, s3
	v_add_co_u32_e32 v10, vcc, s2, v9
	s_waitcnt lgkmcnt(0)
	s_sub_u32 s56, s10, s30
	s_subb_u32 s57, s11, 0
	v_addc_co_u32_e32 v11, vcc, 0, v1, vcc
	v_cmp_gt_i64_e32 vcc, s[48:49], v[10:11]
	s_add_u32 s26, s20, s6
	s_addc_u32 s27, s21, s7
	s_and_b64 s[54:55], s[8:9], vcc
	s_add_u32 s73, s40, 8
	s_addc_u32 s74, s41, 0
	v_subrev_co_u32_e64 v1, s[4:5], s31, v0
	v_mbcnt_lo_u32_b32 v12, -1, 0
	s_add_u32 s75, s44, -4
	v_subb_co_u32_e64 v7, s[4:5], 0, 0, s[4:5]
	v_mbcnt_hi_u32_b32 v12, -1, v12
	s_addc_u32 s76, s45, -1
	v_and_b32_e32 v6, 15, v0
	s_mov_b32 s70, 0
	v_mov_b32_e32 v8, 0
	v_sub_u32_e32 v12, 63, v12
	s_movk_i32 s4, 0x1ff
	s_movk_i32 s8, 0x80
	;; [unrolled: 1-line block ×7, first 2 shown]
	s_add_u32 s77, s46, -8
	v_cmp_eq_u32_e64 s[0:1], 0, v0
	s_mov_b32 s71, s29
	v_cmp_eq_u32_e64 s[2:3], 15, v6
	s_mov_b32 s72, s31
	v_lshrrev_b64 v[12:13], v12, -1
	v_and_b32_e32 v36, 28, v9
	v_cmp_eq_u32_e64 s[4:5], s4, v0
	v_cmp_gt_u32_e64 s[6:7], 64, v0
	v_cmp_gt_u32_e64 s[8:9], s8, v0
	;; [unrolled: 1-line block ×7, first 2 shown]
	s_addc_u32 s78, s47, -1
	v_or_b32_e32 v37, 0xfffffe00, v0
	v_lshlrev_b32_e32 v38, 3, v0
	v_mov_b32_e32 v40, 0x800
	v_pk_mov_b32 v[14:15], s[56:57], s[56:57] op_sel:[0,1]
	v_mov_b32_e32 v9, v8
	s_movk_i32 s79, 0x5ff
	v_mov_b32_e32 v39, 1
	s_mov_b32 s80, s70
	s_branch .LBB216_11
.LBB216_10:                             ;   in Loop: Header=BB216_11 Depth=1
	s_or_b64 exec, exec, s[20:21]
	ds_read_b32 v16, v8 offset:18432
	s_waitcnt lgkmcnt(0)
	s_barrier
	v_cmp_le_i32_e32 vcc, s33, v16
	v_readfirstlane_b32 s80, v16
	v_add_u32_e32 v40, 0x800, v16
	s_cbranch_vccnz .LBB216_62
.LBB216_11:                             ; =>This Loop Header: Depth=1
                                        ;     Child Loop BB216_12 Depth 2
                                        ;     Child Loop BB216_18 Depth 2
                                        ;       Child Loop BB216_24 Depth 3
                                        ;     Child Loop BB216_41 Depth 2
                                        ;     Child Loop BB216_53 Depth 2
	;; [unrolled: 1-line block ×3, first 2 shown]
	s_mov_b64 s[20:21], 0
	v_mov_b32_e32 v16, v38
	v_mov_b32_e32 v17, v37
.LBB216_12:                             ;   Parent Loop BB216_11 Depth=1
                                        ; =>  This Inner Loop Header: Depth=2
	ds_write_b8 v17, v8 offset:16896
	ds_write_b64 v16, v[8:9]
	v_add_u32_e32 v17, 0x200, v17
	v_cmp_lt_u32_e32 vcc, s79, v17
	s_or_b64 s[20:21], vcc, s[20:21]
	v_add_u32_e32 v16, 0x1000, v16
	s_andn2_b64 exec, exec, s[20:21]
	s_cbranch_execnz .LBB216_12
; %bb.13:                               ;   in Loop: Header=BB216_11 Depth=1
	s_or_b64 exec, exec, s[20:21]
	s_and_saveexec_b64 s[20:21], s[0:1]
	s_cbranch_execz .LBB216_15
; %bb.14:                               ;   in Loop: Header=BB216_11 Depth=1
	v_mov_b32_e32 v16, s33
	ds_write_b32 v8, v16 offset:18432
.LBB216_15:                             ;   in Loop: Header=BB216_11 Depth=1
	s_or_b64 exec, exec, s[20:21]
	v_mov_b32_e32 v41, s33
	s_waitcnt lgkmcnt(0)
	s_barrier
	s_and_saveexec_b64 s[44:45], s[54:55]
	s_cbranch_execz .LBB216_37
; %bb.16:                               ;   in Loop: Header=BB216_11 Depth=1
	s_cmp_lg_u32 s80, 0
	s_mov_b64 s[46:47], 0
	s_cselect_b64 s[56:57], -1, 0
	v_mov_b32_e32 v41, s33
	v_pk_mov_b32 v[16:17], v[10:11], v[10:11] op_sel:[0,1]
	s_branch .LBB216_18
.LBB216_17:                             ;   in Loop: Header=BB216_18 Depth=2
	s_or_b64 exec, exec, s[20:21]
	v_add_co_u32_e32 v16, vcc, 32, v16
	v_addc_co_u32_e32 v17, vcc, 0, v17, vcc
	v_cmp_le_i64_e32 vcc, s[48:49], v[16:17]
	s_or_b64 s[46:47], vcc, s[46:47]
	s_andn2_b64 exec, exec, s[46:47]
	s_cbranch_execz .LBB216_36
.LBB216_18:                             ;   Parent Loop BB216_11 Depth=1
                                        ; =>  This Loop Header: Depth=2
                                        ;       Child Loop BB216_24 Depth 3
	v_lshlrev_b64 v[18:19], 2, v[16:17]
	v_mov_b32_e32 v20, s37
	v_add_co_u32_e32 v18, vcc, s36, v18
	v_addc_co_u32_e32 v19, vcc, v20, v19, vcc
	global_load_dword v22, v[18:19], off
	v_lshlrev_b64 v[18:19], 3, v[16:17]
	v_mov_b32_e32 v21, s39
	v_add_co_u32_e32 v20, vcc, s38, v18
	v_addc_co_u32_e32 v21, vcc, v21, v19, vcc
	global_load_dwordx2 v[24:25], v[20:21], off
	s_and_b64 vcc, exec, s[56:57]
	s_waitcnt vmcnt(0)
	v_subrev_u32_e32 v20, s28, v22
	v_ashrrev_i32_e32 v21, 31, v20
	s_cbranch_vccz .LBB216_35
; %bb.19:                               ;   in Loop: Header=BB216_18 Depth=2
	v_mov_b32_e32 v23, s51
	v_add_co_u32_e32 v22, vcc, s50, v18
	v_addc_co_u32_e32 v23, vcc, v23, v19, vcc
	global_load_dwordx2 v[26:27], v[22:23], off
	s_cbranch_execnz .LBB216_21
.LBB216_20:                             ;   in Loop: Header=BB216_18 Depth=2
	v_lshlrev_b64 v[22:23], 3, v[20:21]
	s_waitcnt vmcnt(0)
	v_mov_b32_e32 v26, s41
	v_add_co_u32_e32 v22, vcc, s40, v22
	v_addc_co_u32_e32 v23, vcc, v26, v23, vcc
	global_load_dwordx2 v[22:23], v[22:23], off
	v_mov_b32_e32 v27, s70
	s_waitcnt vmcnt(0)
	v_subrev_co_u32_e32 v26, vcc, s71, v22
	v_subb_co_u32_e32 v27, vcc, v23, v27, vcc
.LBB216_21:                             ;   in Loop: Header=BB216_18 Depth=2
	v_lshlrev_b64 v[20:21], 3, v[20:21]
	v_mov_b32_e32 v22, s74
	v_add_co_u32_e32 v20, vcc, s73, v20
	v_addc_co_u32_e32 v21, vcc, v22, v21, vcc
	global_load_dwordx2 v[20:21], v[20:21], off
	v_mov_b32_e32 v23, s70
	s_waitcnt vmcnt(0)
	v_subrev_co_u32_e32 v22, vcc, s71, v20
	v_subb_co_u32_e32 v23, vcc, v21, v23, vcc
	v_add_co_u32_e32 v20, vcc, v26, v6
	v_addc_co_u32_e32 v21, vcc, 0, v27, vcc
	v_cmp_lt_i64_e32 vcc, v[20:21], v[22:23]
	s_and_saveexec_b64 s[58:59], vcc
	s_cbranch_execz .LBB216_33
; %bb.22:                               ;   in Loop: Header=BB216_18 Depth=2
	v_lshlrev_b64 v[26:27], 2, v[20:21]
	v_mov_b32_e32 v28, s43
	v_add_co_u32_e32 v26, vcc, s42, v26
	v_addc_co_u32_e32 v27, vcc, v28, v27, vcc
	v_lshlrev_b64 v[28:29], 3, v[20:21]
	v_mov_b32_e32 v30, s53
	v_add_co_u32_e32 v28, vcc, s52, v28
	v_mul_f64 v[24:25], v[2:3], v[24:25]
	v_addc_co_u32_e32 v29, vcc, v30, v29, vcc
	s_mov_b64 s[62:63], 0
	v_pk_mov_b32 v[30:31], v[20:21], v[20:21] op_sel:[0,1]
                                        ; implicit-def: $sgpr60_sgpr61
                                        ; implicit-def: $sgpr64_sgpr65
	s_branch .LBB216_24
.LBB216_23:                             ;   in Loop: Header=BB216_24 Depth=3
	s_or_b64 exec, exec, s[66:67]
	s_and_b64 s[20:21], exec, s[68:69]
	s_or_b64 s[62:63], s[20:21], s[62:63]
	s_andn2_b64 s[20:21], s[60:61], exec
	s_and_b64 s[60:61], s[64:65], exec
	s_or_b64 s[60:61], s[20:21], s[60:61]
	v_pk_mov_b32 v[30:31], v[32:33], v[32:33] op_sel:[0,1]
	s_andn2_b64 exec, exec, s[62:63]
	s_cbranch_execz .LBB216_30
.LBB216_24:                             ;   Parent Loop BB216_11 Depth=1
                                        ;     Parent Loop BB216_18 Depth=2
                                        ; =>    This Inner Loop Header: Depth=3
	global_load_dword v32, v[26:27], off
                                        ; implicit-def: $sgpr66_sgpr67
	s_waitcnt vmcnt(0)
	v_subrev_u32_e32 v42, s29, v32
	v_cmp_gt_i32_e32 vcc, s80, v42
	v_cmp_ge_i32_e64 s[20:21], v42, v40
	s_or_b64 s[68:69], vcc, s[20:21]
	s_mov_b64 s[20:21], 0
	s_and_saveexec_b64 s[82:83], s[68:69]
	s_xor_b64 s[68:69], exec, s[82:83]
; %bb.25:                               ;   in Loop: Header=BB216_24 Depth=3
	v_cmp_lt_i32_e32 vcc, v42, v40
	s_mov_b64 s[66:67], -1
	s_and_b64 s[20:21], vcc, exec
; %bb.26:                               ;   in Loop: Header=BB216_24 Depth=3
	s_andn2_saveexec_b64 s[68:69], s[68:69]
	s_cbranch_execz .LBB216_28
; %bb.27:                               ;   in Loop: Header=BB216_24 Depth=3
	global_load_dwordx2 v[32:33], v[28:29], off
	v_subrev_u32_e32 v34, s80, v42
	ds_write_b8 v34, v39 offset:16384
	v_lshlrev_b32_e32 v34, 3, v34
	s_or_b64 s[20:21], s[20:21], exec
	s_waitcnt vmcnt(0)
	v_mul_f64 v[32:33], v[24:25], v[32:33]
	ds_add_f64 v34, v[32:33]
.LBB216_28:                             ;   in Loop: Header=BB216_24 Depth=3
	s_or_b64 exec, exec, s[68:69]
	s_andn2_b64 s[64:65], s[64:65], exec
	s_and_b64 s[66:67], s[66:67], exec
	s_mov_b64 s[68:69], -1
	s_or_b64 s[64:65], s[64:65], s[66:67]
	v_pk_mov_b32 v[34:35], v[30:31], v[30:31] op_sel:[0,1]
                                        ; implicit-def: $vgpr32_vgpr33
	s_and_saveexec_b64 s[66:67], s[20:21]
	s_cbranch_execz .LBB216_23
; %bb.29:                               ;   in Loop: Header=BB216_24 Depth=3
	v_add_co_u32_e32 v32, vcc, 16, v30
	v_addc_co_u32_e32 v33, vcc, 0, v31, vcc
	v_add_co_u32_e32 v26, vcc, 64, v26
	v_addc_co_u32_e32 v27, vcc, 0, v27, vcc
	;; [unrolled: 2-line block ×3, first 2 shown]
	v_cmp_ge_i64_e32 vcc, v[32:33], v[22:23]
	s_andn2_b64 s[64:65], s[64:65], exec
	s_orn2_b64 s[68:69], vcc, exec
	v_pk_mov_b32 v[34:35], v[30:31], v[30:31] op_sel:[0,1]
	s_branch .LBB216_23
.LBB216_30:                             ;   in Loop: Header=BB216_18 Depth=2
	s_or_b64 exec, exec, s[62:63]
	s_and_saveexec_b64 s[20:21], s[60:61]
	s_xor_b64 s[20:21], exec, s[20:21]
; %bb.31:                               ;   in Loop: Header=BB216_18 Depth=2
	v_min_i32_e32 v41, v42, v41
	v_pk_mov_b32 v[20:21], v[34:35], v[34:35] op_sel:[0,1]
; %bb.32:                               ;   in Loop: Header=BB216_18 Depth=2
	s_or_b64 exec, exec, s[20:21]
.LBB216_33:                             ;   in Loop: Header=BB216_18 Depth=2
	s_or_b64 exec, exec, s[58:59]
	v_mov_b32_dpp v22, v20 row_shr:1 row_mask:0xf bank_mask:0xf
	v_mov_b32_dpp v23, v21 row_shr:1 row_mask:0xf bank_mask:0xf
	v_cmp_lt_i64_e32 vcc, v[22:23], v[20:21]
	v_cndmask_b32_e32 v21, v21, v23, vcc
	v_cndmask_b32_e32 v20, v20, v22, vcc
	s_nop 0
	v_mov_b32_dpp v23, v21 row_shr:2 row_mask:0xf bank_mask:0xf
	v_mov_b32_dpp v22, v20 row_shr:2 row_mask:0xf bank_mask:0xf
	v_cmp_lt_i64_e32 vcc, v[22:23], v[20:21]
	v_cndmask_b32_e32 v21, v21, v23, vcc
	v_cndmask_b32_e32 v20, v20, v22, vcc
	s_nop 0
	;; [unrolled: 6-line block ×3, first 2 shown]
	v_mov_b32_dpp v23, v21 row_shr:8 row_mask:0xf bank_mask:0xc
	v_mov_b32_dpp v22, v20 row_shr:8 row_mask:0xf bank_mask:0xc
	s_and_saveexec_b64 s[20:21], s[2:3]
	s_cbranch_execz .LBB216_17
; %bb.34:                               ;   in Loop: Header=BB216_18 Depth=2
	v_cmp_lt_i64_e32 vcc, v[22:23], v[20:21]
	v_cndmask_b32_e32 v21, v21, v23, vcc
	v_cndmask_b32_e32 v20, v20, v22, vcc
	v_mov_b32_e32 v22, s51
	v_add_co_u32_e32 v18, vcc, s50, v18
	v_addc_co_u32_e32 v19, vcc, v22, v19, vcc
	global_store_dwordx2 v[18:19], v[20:21], off
	s_branch .LBB216_17
.LBB216_35:                             ;   in Loop: Header=BB216_18 Depth=2
                                        ; implicit-def: $vgpr26_vgpr27
	s_branch .LBB216_20
.LBB216_36:                             ;   in Loop: Header=BB216_11 Depth=1
	s_or_b64 exec, exec, s[46:47]
.LBB216_37:                             ;   in Loop: Header=BB216_11 Depth=1
	s_or_b64 exec, exec, s[44:45]
	s_andn2_b64 vcc, exec, s[34:35]
	s_cbranch_vccnz .LBB216_51
; %bb.38:                               ;   in Loop: Header=BB216_11 Depth=1
	s_load_dwordx4 s[44:47], s[26:27], 0x0
	s_waitcnt lgkmcnt(0)
	s_sub_u32 s46, s46, s72
	v_mov_b32_e32 v17, s45
	v_add_co_u32_e32 v16, vcc, s44, v1
	s_subb_u32 s47, s47, 0
	v_addc_co_u32_e32 v17, vcc, v17, v7, vcc
	v_cmp_gt_i64_e32 vcc, s[46:47], v[16:17]
	s_and_saveexec_b64 s[44:45], vcc
	s_cbranch_execz .LBB216_50
; %bb.39:                               ;   in Loop: Header=BB216_11 Depth=1
	v_lshlrev_b64 v[18:19], 2, v[16:17]
	v_mov_b32_e32 v20, s23
	v_add_co_u32_e32 v18, vcc, s22, v18
	v_addc_co_u32_e32 v19, vcc, v20, v19, vcc
	v_lshlrev_b64 v[20:21], 3, v[16:17]
	v_mov_b32_e32 v22, s25
	v_add_co_u32_e32 v20, vcc, s24, v20
	v_addc_co_u32_e32 v21, vcc, v22, v21, vcc
	s_mov_b64 s[56:57], 0
                                        ; implicit-def: $sgpr58_sgpr59
                                        ; implicit-def: $sgpr60_sgpr61
	s_branch .LBB216_41
.LBB216_40:                             ;   in Loop: Header=BB216_41 Depth=2
	s_or_b64 exec, exec, s[62:63]
	s_and_b64 s[20:21], exec, s[64:65]
	s_or_b64 s[56:57], s[20:21], s[56:57]
	s_andn2_b64 s[20:21], s[58:59], exec
	s_and_b64 s[58:59], s[60:61], exec
	s_or_b64 s[58:59], s[20:21], s[58:59]
	s_andn2_b64 exec, exec, s[56:57]
	s_cbranch_execz .LBB216_47
.LBB216_41:                             ;   Parent Loop BB216_11 Depth=1
                                        ; =>  This Inner Loop Header: Depth=2
	global_load_dword v22, v[18:19], off
                                        ; implicit-def: $sgpr62_sgpr63
	s_waitcnt vmcnt(0)
	v_subrev_u32_e32 v22, s31, v22
	v_cmp_gt_i32_e32 vcc, s80, v22
	v_cmp_ge_i32_e64 s[20:21], v22, v40
	s_or_b64 s[64:65], vcc, s[20:21]
	s_mov_b64 s[20:21], 0
	s_and_saveexec_b64 s[66:67], s[64:65]
	s_xor_b64 s[64:65], exec, s[66:67]
; %bb.42:                               ;   in Loop: Header=BB216_41 Depth=2
	v_cmp_lt_i32_e32 vcc, v22, v40
	s_mov_b64 s[62:63], -1
	s_and_b64 s[20:21], vcc, exec
; %bb.43:                               ;   in Loop: Header=BB216_41 Depth=2
	s_andn2_saveexec_b64 s[64:65], s[64:65]
	s_cbranch_execz .LBB216_45
; %bb.44:                               ;   in Loop: Header=BB216_41 Depth=2
	global_load_dwordx2 v[24:25], v[20:21], off
	v_subrev_u32_e32 v23, s80, v22
	ds_write_b8 v23, v39 offset:16384
	v_lshlrev_b32_e32 v23, 3, v23
	s_or_b64 s[20:21], s[20:21], exec
	s_waitcnt vmcnt(0)
	v_mul_f64 v[24:25], v[4:5], v[24:25]
	ds_add_f64 v23, v[24:25]
.LBB216_45:                             ;   in Loop: Header=BB216_41 Depth=2
	s_or_b64 exec, exec, s[64:65]
	s_andn2_b64 s[60:61], s[60:61], exec
	s_and_b64 s[62:63], s[62:63], exec
	s_mov_b64 s[64:65], -1
	s_or_b64 s[60:61], s[60:61], s[62:63]
	s_and_saveexec_b64 s[62:63], s[20:21]
	s_cbranch_execz .LBB216_40
; %bb.46:                               ;   in Loop: Header=BB216_41 Depth=2
	v_add_co_u32_e32 v16, vcc, 0x200, v16
	v_addc_co_u32_e32 v17, vcc, 0, v17, vcc
	v_add_co_u32_e32 v18, vcc, 0x800, v18
	v_addc_co_u32_e32 v19, vcc, 0, v19, vcc
	;; [unrolled: 2-line block ×3, first 2 shown]
	v_cmp_le_i64_e32 vcc, s[46:47], v[16:17]
	s_andn2_b64 s[60:61], s[60:61], exec
	s_orn2_b64 s[64:65], vcc, exec
	s_branch .LBB216_40
.LBB216_47:                             ;   in Loop: Header=BB216_11 Depth=1
	s_or_b64 exec, exec, s[56:57]
	s_and_saveexec_b64 s[20:21], s[58:59]
	s_xor_b64 s[20:21], exec, s[20:21]
; %bb.48:                               ;   in Loop: Header=BB216_11 Depth=1
	v_min_i32_e32 v41, v22, v41
; %bb.49:                               ;   in Loop: Header=BB216_11 Depth=1
	s_or_b64 exec, exec, s[20:21]
.LBB216_50:                             ;   in Loop: Header=BB216_11 Depth=1
	s_or_b64 exec, exec, s[44:45]
.LBB216_51:                             ;   in Loop: Header=BB216_11 Depth=1
	v_mov_b32_dpp v16, v41 row_shr:1 row_mask:0xf bank_mask:0xf
	v_min_i32_e32 v16, v16, v41
	s_nop 1
	v_mov_b32_dpp v17, v16 row_shr:2 row_mask:0xf bank_mask:0xf
	v_min_i32_e32 v16, v17, v16
	s_nop 1
	;; [unrolled: 3-line block ×3, first 2 shown]
	v_mov_b32_dpp v17, v16 row_shr:8 row_mask:0xf bank_mask:0xc
	s_and_saveexec_b64 s[20:21], s[2:3]
	s_cbranch_execz .LBB216_56
; %bb.52:                               ;   in Loop: Header=BB216_11 Depth=1
	s_mov_b64 s[44:45], exec
	v_min_i32_e32 v16, v17, v16
	s_brev_b32 s46, -2
.LBB216_53:                             ;   Parent Loop BB216_11 Depth=1
                                        ; =>  This Inner Loop Header: Depth=2
	s_ff1_i32_b64 s47, s[44:45]
	v_readlane_b32 s58, v16, s47
	s_lshl_b64 s[56:57], 1, s47
	s_min_i32 s46, s46, s58
	s_andn2_b64 s[44:45], s[44:45], s[56:57]
	s_cmp_lg_u64 s[44:45], 0
	s_cbranch_scc1 .LBB216_53
; %bb.54:                               ;   in Loop: Header=BB216_11 Depth=1
	v_mbcnt_lo_u32_b32 v16, exec_lo, 0
	v_mbcnt_hi_u32_b32 v16, exec_hi, v16
	v_cmp_eq_u32_e32 vcc, 0, v16
	s_and_saveexec_b64 s[44:45], vcc
	s_xor_b64 s[44:45], exec, s[44:45]
	s_cbranch_execz .LBB216_56
; %bb.55:                               ;   in Loop: Header=BB216_11 Depth=1
	v_mov_b32_e32 v16, s46
	ds_min_i32 v8, v16 offset:18432
.LBB216_56:                             ;   in Loop: Header=BB216_11 Depth=1
	s_or_b64 exec, exec, s[20:21]
	s_add_i32 s46, s30, s80
	s_mov_b64 s[20:21], 0
	v_mov_b32_e32 v18, v38
	v_mov_b32_e32 v19, v0
	s_waitcnt lgkmcnt(0)
	s_barrier
	s_branch .LBB216_58
.LBB216_57:                             ;   in Loop: Header=BB216_58 Depth=2
	s_or_b64 exec, exec, s[44:45]
	s_waitcnt lgkmcnt(0)
	s_barrier
	ds_read_b32 v16, v8 offset:28
	v_add_u32_e32 v18, 0x1000, v18
	s_waitcnt lgkmcnt(0)
	v_ashrrev_i32_e32 v17, 31, v16
	v_add_co_u32_e32 v14, vcc, v14, v16
	v_addc_co_u32_e32 v15, vcc, v15, v17, vcc
	v_add_u32_e32 v16, 0x200, v19
	v_cmp_lt_u32_e32 vcc, s79, v19
	s_or_b64 s[20:21], vcc, s[20:21]
	v_mov_b32_e32 v19, v16
	s_andn2_b64 exec, exec, s[20:21]
	s_cbranch_execz .LBB216_10
.LBB216_58:                             ;   Parent Loop BB216_11 Depth=1
                                        ; =>  This Inner Loop Header: Depth=2
	ds_read_u8 v27, v19 offset:16384
	ds_read_b64 v[16:17], v18
	s_waitcnt lgkmcnt(0)
	s_barrier
	v_cmp_ne_u16_e32 vcc, 0, v27
	s_bcnt1_i32_b64 s44, vcc
	v_mov_b32_e32 v20, s44
	ds_write_b32 v36, v20
	s_waitcnt lgkmcnt(0)
	s_barrier
	ds_read_b128 v[20:23], v8
	v_and_b32_e32 v25, vcc_lo, v12
	v_and_b32_e32 v24, vcc_hi, v13
	v_bcnt_u32_b32 v25, v25, 0
	v_bcnt_u32_b32 v28, v24, v25
	ds_read_b96 v[24:26], v8 offset:16
	s_waitcnt lgkmcnt(0)
	v_cndmask_b32_e64 v20, v20, 0, s[6:7]
	v_add_u32_e32 v20, v20, v28
	v_cndmask_b32_e64 v21, v21, 0, s[8:9]
	v_cndmask_b32_e64 v22, v22, 0, s[10:11]
	v_add3_u32 v20, v20, v21, v22
	v_cndmask_b32_e64 v21, v23, 0, s[12:13]
	v_cndmask_b32_e64 v22, v24, 0, s[14:15]
	v_add3_u32 v20, v20, v21, v22
	;; [unrolled: 3-line block ×3, first 2 shown]
	v_and_b32_e32 v21, 1, v27
	v_cmp_eq_u32_e32 vcc, 1, v21
	s_and_saveexec_b64 s[44:45], vcc
	s_cbranch_execz .LBB216_60
; %bb.59:                               ;   in Loop: Header=BB216_58 Depth=2
	v_ashrrev_i32_e32 v21, 31, v20
	v_add_co_u32_e32 v22, vcc, v14, v20
	v_addc_co_u32_e32 v23, vcc, v15, v21, vcc
	v_lshlrev_b64 v[24:25], 2, v[22:23]
	v_mov_b32_e32 v21, s76
	v_add_co_u32_e32 v24, vcc, s75, v24
	v_addc_co_u32_e32 v25, vcc, v21, v25, vcc
	v_lshlrev_b64 v[22:23], 3, v[22:23]
	v_mov_b32_e32 v21, s78
	v_add_co_u32_e32 v22, vcc, s77, v22
	v_add_u32_e32 v26, s46, v19
	v_addc_co_u32_e32 v23, vcc, v21, v23, vcc
	global_store_dword v[24:25], v26, off
	global_store_dwordx2 v[22:23], v[16:17], off
.LBB216_60:                             ;   in Loop: Header=BB216_58 Depth=2
	s_or_b64 exec, exec, s[44:45]
	s_and_saveexec_b64 s[44:45], s[4:5]
	s_cbranch_execz .LBB216_57
; %bb.61:                               ;   in Loop: Header=BB216_58 Depth=2
	ds_write_b32 v8, v20 offset:28
	s_branch .LBB216_57
.LBB216_62:
	s_endpgm
	.section	.rodata,"a",@progbits
	.p2align	6, 0x0
	.amdhsa_kernel _ZN9rocsparseL36csrgemm_fill_block_per_row_multipassILj512ELj16ELj2048ELj64ElidEEvT4_PKS1_S3_NS_24const_host_device_scalarIT5_EEPKT3_S3_PKS5_S9_S3_SB_S6_S9_S3_SB_S9_PS1_PS5_PS7_21rocsparse_index_base_SF_SF_SF_bbb
		.amdhsa_group_segment_fixed_size 18440
		.amdhsa_private_segment_fixed_size 0
		.amdhsa_kernarg_size 164
		.amdhsa_user_sgpr_count 6
		.amdhsa_user_sgpr_private_segment_buffer 1
		.amdhsa_user_sgpr_dispatch_ptr 0
		.amdhsa_user_sgpr_queue_ptr 0
		.amdhsa_user_sgpr_kernarg_segment_ptr 1
		.amdhsa_user_sgpr_dispatch_id 0
		.amdhsa_user_sgpr_flat_scratch_init 0
		.amdhsa_user_sgpr_kernarg_preload_length 0
		.amdhsa_user_sgpr_kernarg_preload_offset 0
		.amdhsa_user_sgpr_private_segment_size 0
		.amdhsa_uses_dynamic_stack 0
		.amdhsa_system_sgpr_private_segment_wavefront_offset 0
		.amdhsa_system_sgpr_workgroup_id_x 1
		.amdhsa_system_sgpr_workgroup_id_y 0
		.amdhsa_system_sgpr_workgroup_id_z 0
		.amdhsa_system_sgpr_workgroup_info 0
		.amdhsa_system_vgpr_workitem_id 0
		.amdhsa_next_free_vgpr 43
		.amdhsa_next_free_sgpr 84
		.amdhsa_accum_offset 44
		.amdhsa_reserve_vcc 1
		.amdhsa_reserve_flat_scratch 0
		.amdhsa_float_round_mode_32 0
		.amdhsa_float_round_mode_16_64 0
		.amdhsa_float_denorm_mode_32 3
		.amdhsa_float_denorm_mode_16_64 3
		.amdhsa_dx10_clamp 1
		.amdhsa_ieee_mode 1
		.amdhsa_fp16_overflow 0
		.amdhsa_tg_split 0
		.amdhsa_exception_fp_ieee_invalid_op 0
		.amdhsa_exception_fp_denorm_src 0
		.amdhsa_exception_fp_ieee_div_zero 0
		.amdhsa_exception_fp_ieee_overflow 0
		.amdhsa_exception_fp_ieee_underflow 0
		.amdhsa_exception_fp_ieee_inexact 0
		.amdhsa_exception_int_div_zero 0
	.end_amdhsa_kernel
	.section	.text._ZN9rocsparseL36csrgemm_fill_block_per_row_multipassILj512ELj16ELj2048ELj64ElidEEvT4_PKS1_S3_NS_24const_host_device_scalarIT5_EEPKT3_S3_PKS5_S9_S3_SB_S6_S9_S3_SB_S9_PS1_PS5_PS7_21rocsparse_index_base_SF_SF_SF_bbb,"axG",@progbits,_ZN9rocsparseL36csrgemm_fill_block_per_row_multipassILj512ELj16ELj2048ELj64ElidEEvT4_PKS1_S3_NS_24const_host_device_scalarIT5_EEPKT3_S3_PKS5_S9_S3_SB_S6_S9_S3_SB_S9_PS1_PS5_PS7_21rocsparse_index_base_SF_SF_SF_bbb,comdat
.Lfunc_end216:
	.size	_ZN9rocsparseL36csrgemm_fill_block_per_row_multipassILj512ELj16ELj2048ELj64ElidEEvT4_PKS1_S3_NS_24const_host_device_scalarIT5_EEPKT3_S3_PKS5_S9_S3_SB_S6_S9_S3_SB_S9_PS1_PS5_PS7_21rocsparse_index_base_SF_SF_SF_bbb, .Lfunc_end216-_ZN9rocsparseL36csrgemm_fill_block_per_row_multipassILj512ELj16ELj2048ELj64ElidEEvT4_PKS1_S3_NS_24const_host_device_scalarIT5_EEPKT3_S3_PKS5_S9_S3_SB_S6_S9_S3_SB_S9_PS1_PS5_PS7_21rocsparse_index_base_SF_SF_SF_bbb
                                        ; -- End function
	.section	.AMDGPU.csdata,"",@progbits
; Kernel info:
; codeLenInByte = 2576
; NumSgprs: 88
; NumVgprs: 43
; NumAgprs: 0
; TotalNumVgprs: 43
; ScratchSize: 0
; MemoryBound: 0
; FloatMode: 240
; IeeeMode: 1
; LDSByteSize: 18440 bytes/workgroup (compile time only)
; SGPRBlocks: 10
; VGPRBlocks: 5
; NumSGPRsForWavesPerEU: 88
; NumVGPRsForWavesPerEU: 43
; AccumOffset: 44
; Occupancy: 6
; WaveLimiterHint : 1
; COMPUTE_PGM_RSRC2:SCRATCH_EN: 0
; COMPUTE_PGM_RSRC2:USER_SGPR: 6
; COMPUTE_PGM_RSRC2:TRAP_HANDLER: 0
; COMPUTE_PGM_RSRC2:TGID_X_EN: 1
; COMPUTE_PGM_RSRC2:TGID_Y_EN: 0
; COMPUTE_PGM_RSRC2:TGID_Z_EN: 0
; COMPUTE_PGM_RSRC2:TIDIG_COMP_CNT: 0
; COMPUTE_PGM_RSRC3_GFX90A:ACCUM_OFFSET: 10
; COMPUTE_PGM_RSRC3_GFX90A:TG_SPLIT: 0
	.section	.text._ZN9rocsparseL26csrgemm_group_reduce_part2ILj256ELj11E21rocsparse_complex_numIfEliEEvT3_PKT2_PS3_Pij,"axG",@progbits,_ZN9rocsparseL26csrgemm_group_reduce_part2ILj256ELj11E21rocsparse_complex_numIfEliEEvT3_PKT2_PS3_Pij,comdat
	.globl	_ZN9rocsparseL26csrgemm_group_reduce_part2ILj256ELj11E21rocsparse_complex_numIfEliEEvT3_PKT2_PS3_Pij ; -- Begin function _ZN9rocsparseL26csrgemm_group_reduce_part2ILj256ELj11E21rocsparse_complex_numIfEliEEvT3_PKT2_PS3_Pij
	.p2align	8
	.type	_ZN9rocsparseL26csrgemm_group_reduce_part2ILj256ELj11E21rocsparse_complex_numIfEliEEvT3_PKT2_PS3_Pij,@function
_ZN9rocsparseL26csrgemm_group_reduce_part2ILj256ELj11E21rocsparse_complex_numIfEliEEvT3_PKT2_PS3_Pij: ; @_ZN9rocsparseL26csrgemm_group_reduce_part2ILj256ELj11E21rocsparse_complex_numIfEliEEvT3_PKT2_PS3_Pij
; %bb.0:
	s_load_dword s7, s[4:5], 0x0
	s_load_dwordx2 s[0:1], s[4:5], 0x10
	v_mul_u32_u24_e32 v1, 11, v0
	v_lshl_or_b32 v2, s6, 8, v0
	v_lshlrev_b32_e32 v1, 2, v1
	v_mov_b32_e32 v6, 0
	s_waitcnt lgkmcnt(0)
	v_cmp_gt_i32_e32 vcc, s7, v2
	ds_write2_b32 v1, v6, v6 offset1:1
	ds_write2_b32 v1, v6, v6 offset0:2 offset1:3
	ds_write2_b32 v1, v6, v6 offset0:4 offset1:5
	;; [unrolled: 1-line block ×4, first 2 shown]
	ds_write_b32 v1, v6 offset:40
	s_waitcnt lgkmcnt(0)
	s_and_saveexec_b64 s[2:3], vcc
	s_cbranch_execz .LBB217_43
; %bb.1:
	s_load_dword s12, s[4:5], 0x20
	s_load_dwordx2 s[8:9], s[4:5], 0x8
	s_load_dwordx2 s[10:11], s[4:5], 0x18
	s_load_dword s13, s[4:5], 0x28
	s_mov_b64 s[4:5], 0
	s_waitcnt lgkmcnt(0)
	s_cmpk_lt_u32 s12, 0xc084
	s_cselect_b64 s[22:23], -1, 0
	s_cmp_lt_u32 s12, 0x18084
	s_cselect_b64 s[26:27], -1, 0
	s_cmp_lt_u32 s12, 0x30084
	;; [unrolled: 2-line block ×3, first 2 shown]
	s_cselect_b64 s[36:37], -1, 0
	s_lshl_b32 s33, s13, 8
	v_mov_b32_e32 v7, s9
	s_mov_b64 s[12:13], 0x100
	s_mov_b64 s[14:15], 0x200
	;; [unrolled: 1-line block ×5, first 2 shown]
	s_xor_b64 s[22:23], s[22:23], -1
	v_mov_b32_e32 v8, 6
	s_mov_b64 s[24:25], 0x2001
	s_xor_b64 s[26:27], s[26:27], -1
	v_mov_b32_e32 v9, 7
	s_mov_b64 s[28:29], 0x4001
	;; [unrolled: 3-line block ×3, first 2 shown]
	s_xor_b64 s[36:37], s[36:37], -1
	v_mov_b32_e32 v11, 9
	v_mov_b32_e32 v12, 10
	;; [unrolled: 1-line block ×7, first 2 shown]
	s_branch .LBB217_3
.LBB217_2:                              ;   in Loop: Header=BB217_3 Depth=1
	s_or_b64 exec, exec, s[38:39]
	v_add_u32_e32 v2, s33, v2
	v_cmp_le_i32_e32 vcc, s7, v2
	s_or_b64 s[4:5], vcc, s[4:5]
	s_andn2_b64 exec, exec, s[4:5]
	s_cbranch_execz .LBB217_43
.LBB217_3:                              ; =>This Inner Loop Header: Depth=1
	v_ashrrev_i32_e32 v3, 31, v2
	v_lshlrev_b64 v[4:5], 3, v[2:3]
	v_add_co_u32_e32 v4, vcc, s8, v4
	v_addc_co_u32_e32 v5, vcc, v7, v5, vcc
	global_load_dwordx4 v[18:21], v[4:5], off
	s_waitcnt vmcnt(0)
	v_sub_co_u32_e32 v4, vcc, v20, v18
	v_subb_co_u32_e32 v5, vcc, v21, v19, vcc
	v_cmp_lt_i64_e32 vcc, 16, v[4:5]
	s_and_saveexec_b64 s[38:39], vcc
	s_xor_b64 s[38:39], exec, s[38:39]
	s_cbranch_execz .LBB217_41
; %bb.4:                                ;   in Loop: Header=BB217_3 Depth=1
	v_cmp_lt_u64_e32 vcc, 32, v[4:5]
	s_and_saveexec_b64 s[40:41], vcc
	s_xor_b64 s[40:41], exec, s[40:41]
	s_cbranch_execz .LBB217_38
; %bb.5:                                ;   in Loop: Header=BB217_3 Depth=1
	v_cmp_lt_u64_e32 vcc, s[12:13], v[4:5]
	;; [unrolled: 5-line block ×5, first 2 shown]
	s_and_saveexec_b64 s[48:49], vcc
	s_xor_b64 s[48:49], exec, s[48:49]
	s_cbranch_execz .LBB217_26
; %bb.9:                                ;   in Loop: Header=BB217_3 Depth=1
	v_cmp_gt_u64_e32 vcc, s[20:21], v[4:5]
	s_and_b64 s[50:51], s[22:23], vcc
	s_and_saveexec_b64 s[52:53], s[50:51]
	s_xor_b64 s[50:51], exec, s[52:53]
	s_cbranch_execz .LBB217_11
; %bb.10:                               ;   in Loop: Header=BB217_3 Depth=1
	ds_read_b32 v18, v1 offset:24
	v_lshlrev_b64 v[4:5], 2, v[2:3]
	v_mov_b32_e32 v19, s11
	v_add_co_u32_e32 v4, vcc, s10, v4
	s_waitcnt lgkmcnt(0)
	v_add_u32_e32 v18, 1, v18
	v_addc_co_u32_e32 v5, vcc, v19, v5, vcc
	ds_write_b32 v1, v18 offset:24
	global_store_dword v[4:5], v8, off
                                        ; implicit-def: $vgpr4_vgpr5
.LBB217_11:                             ;   in Loop: Header=BB217_3 Depth=1
	s_andn2_saveexec_b64 s[50:51], s[50:51]
	s_cbranch_execz .LBB217_25
; %bb.12:                               ;   in Loop: Header=BB217_3 Depth=1
	v_cmp_gt_u64_e32 vcc, s[24:25], v[4:5]
	s_and_b64 s[52:53], s[26:27], vcc
	s_and_saveexec_b64 s[54:55], s[52:53]
	s_xor_b64 s[52:53], exec, s[54:55]
	s_cbranch_execz .LBB217_14
; %bb.13:                               ;   in Loop: Header=BB217_3 Depth=1
	ds_read_b32 v18, v1 offset:28
	v_lshlrev_b64 v[4:5], 2, v[2:3]
	v_mov_b32_e32 v19, s11
	v_add_co_u32_e32 v4, vcc, s10, v4
	s_waitcnt lgkmcnt(0)
	v_add_u32_e32 v18, 1, v18
	v_addc_co_u32_e32 v5, vcc, v19, v5, vcc
	ds_write_b32 v1, v18 offset:28
	global_store_dword v[4:5], v9, off
                                        ; implicit-def: $vgpr4_vgpr5
.LBB217_14:                             ;   in Loop: Header=BB217_3 Depth=1
	s_andn2_saveexec_b64 s[52:53], s[52:53]
	s_cbranch_execz .LBB217_24
; %bb.15:                               ;   in Loop: Header=BB217_3 Depth=1
	;; [unrolled: 20-line block ×3, first 2 shown]
	v_cmp_gt_u64_e32 vcc, s[34:35], v[4:5]
	v_lshlrev_b64 v[4:5], 2, v[2:3]
	s_and_b64 s[56:57], s[36:37], vcc
	v_mov_b32_e32 v18, s11
	v_add_co_u32_e32 v4, vcc, s10, v4
	v_addc_co_u32_e32 v5, vcc, v18, v5, vcc
	s_and_saveexec_b64 s[58:59], s[56:57]
	s_xor_b64 s[56:57], exec, s[58:59]
	s_cbranch_execz .LBB217_20
; %bb.19:                               ;   in Loop: Header=BB217_3 Depth=1
	ds_read_b32 v18, v1 offset:36
	global_store_dword v[4:5], v11, off
                                        ; implicit-def: $vgpr4_vgpr5
	s_waitcnt lgkmcnt(0)
	v_add_u32_e32 v18, 1, v18
	ds_write_b32 v1, v18 offset:36
.LBB217_20:                             ;   in Loop: Header=BB217_3 Depth=1
	s_andn2_saveexec_b64 s[56:57], s[56:57]
	s_cbranch_execz .LBB217_22
; %bb.21:                               ;   in Loop: Header=BB217_3 Depth=1
	ds_read_b32 v18, v1 offset:40
	global_store_dword v[4:5], v12, off
	s_waitcnt lgkmcnt(0)
	v_add_u32_e32 v18, 1, v18
	ds_write_b32 v1, v18 offset:40
.LBB217_22:                             ;   in Loop: Header=BB217_3 Depth=1
	s_or_b64 exec, exec, s[56:57]
.LBB217_23:                             ;   in Loop: Header=BB217_3 Depth=1
	s_or_b64 exec, exec, s[54:55]
.LBB217_24:                             ;   in Loop: Header=BB217_3 Depth=1
	s_or_b64 exec, exec, s[52:53]
.LBB217_25:                             ;   in Loop: Header=BB217_3 Depth=1
	s_or_b64 exec, exec, s[50:51]
.LBB217_26:                             ;   in Loop: Header=BB217_3 Depth=1
	s_andn2_saveexec_b64 s[48:49], s[48:49]
	s_cbranch_execz .LBB217_28
; %bb.27:                               ;   in Loop: Header=BB217_3 Depth=1
	ds_read_b32 v18, v1 offset:20
	v_lshlrev_b64 v[4:5], 2, v[2:3]
	v_mov_b32_e32 v19, s11
	v_add_co_u32_e32 v4, vcc, s10, v4
	s_waitcnt lgkmcnt(0)
	v_add_u32_e32 v18, 1, v18
	v_addc_co_u32_e32 v5, vcc, v19, v5, vcc
	ds_write_b32 v1, v18 offset:20
	global_store_dword v[4:5], v13, off
.LBB217_28:                             ;   in Loop: Header=BB217_3 Depth=1
	s_or_b64 exec, exec, s[48:49]
.LBB217_29:                             ;   in Loop: Header=BB217_3 Depth=1
	s_andn2_saveexec_b64 s[46:47], s[46:47]
	s_cbranch_execz .LBB217_31
; %bb.30:                               ;   in Loop: Header=BB217_3 Depth=1
	ds_read_b32 v18, v1 offset:16
	v_lshlrev_b64 v[4:5], 2, v[2:3]
	v_mov_b32_e32 v19, s11
	v_add_co_u32_e32 v4, vcc, s10, v4
	s_waitcnt lgkmcnt(0)
	v_add_u32_e32 v18, 1, v18
	v_addc_co_u32_e32 v5, vcc, v19, v5, vcc
	ds_write_b32 v1, v18 offset:16
	global_store_dword v[4:5], v14, off
.LBB217_31:                             ;   in Loop: Header=BB217_3 Depth=1
	s_or_b64 exec, exec, s[46:47]
.LBB217_32:                             ;   in Loop: Header=BB217_3 Depth=1
	s_andn2_saveexec_b64 s[44:45], s[44:45]
	s_cbranch_execz .LBB217_34
; %bb.33:                               ;   in Loop: Header=BB217_3 Depth=1
	ds_read_b32 v18, v1 offset:12
	v_lshlrev_b64 v[4:5], 2, v[2:3]
	v_mov_b32_e32 v19, s11
	v_add_co_u32_e32 v4, vcc, s10, v4
	s_waitcnt lgkmcnt(0)
	v_add_u32_e32 v18, 1, v18
	v_addc_co_u32_e32 v5, vcc, v19, v5, vcc
	ds_write_b32 v1, v18 offset:12
	global_store_dword v[4:5], v15, off
.LBB217_34:                             ;   in Loop: Header=BB217_3 Depth=1
	s_or_b64 exec, exec, s[44:45]
.LBB217_35:                             ;   in Loop: Header=BB217_3 Depth=1
	s_andn2_saveexec_b64 s[42:43], s[42:43]
	s_cbranch_execz .LBB217_37
; %bb.36:                               ;   in Loop: Header=BB217_3 Depth=1
	ds_read_b32 v18, v1 offset:8
	v_lshlrev_b64 v[4:5], 2, v[2:3]
	v_mov_b32_e32 v19, s11
	v_add_co_u32_e32 v4, vcc, s10, v4
	s_waitcnt lgkmcnt(0)
	v_add_u32_e32 v18, 1, v18
	v_addc_co_u32_e32 v5, vcc, v19, v5, vcc
	ds_write_b32 v1, v18 offset:8
	global_store_dword v[4:5], v16, off
.LBB217_37:                             ;   in Loop: Header=BB217_3 Depth=1
	s_or_b64 exec, exec, s[42:43]
.LBB217_38:                             ;   in Loop: Header=BB217_3 Depth=1
	s_andn2_saveexec_b64 s[40:41], s[40:41]
	s_cbranch_execz .LBB217_40
; %bb.39:                               ;   in Loop: Header=BB217_3 Depth=1
	ds_read_b32 v18, v1 offset:4
	v_lshlrev_b64 v[4:5], 2, v[2:3]
	v_mov_b32_e32 v19, s11
	v_add_co_u32_e32 v4, vcc, s10, v4
	s_waitcnt lgkmcnt(0)
	v_add_u32_e32 v18, 1, v18
	v_addc_co_u32_e32 v5, vcc, v19, v5, vcc
	ds_write_b32 v1, v18 offset:4
	global_store_dword v[4:5], v17, off
.LBB217_40:                             ;   in Loop: Header=BB217_3 Depth=1
	s_or_b64 exec, exec, s[40:41]
.LBB217_41:                             ;   in Loop: Header=BB217_3 Depth=1
	s_andn2_saveexec_b64 s[38:39], s[38:39]
	s_cbranch_execz .LBB217_2
; %bb.42:                               ;   in Loop: Header=BB217_3 Depth=1
	ds_read_b32 v18, v1
	v_lshlrev_b64 v[4:5], 2, v[2:3]
	v_mov_b32_e32 v3, s11
	v_add_co_u32_e32 v4, vcc, s10, v4
	s_waitcnt lgkmcnt(0)
	v_add_u32_e32 v18, 1, v18
	v_addc_co_u32_e32 v5, vcc, v3, v5, vcc
	ds_write_b32 v1, v18
	global_store_dword v[4:5], v6, off
	s_branch .LBB217_2
.LBB217_43:
	s_or_b64 exec, exec, s[2:3]
	s_movk_i32 s2, 0x80
	v_cmp_gt_u32_e32 vcc, s2, v0
	s_waitcnt lgkmcnt(0)
	s_barrier
	s_barrier
	;; [unrolled: 1-line block ×3, first 2 shown]
	s_and_saveexec_b64 s[2:3], vcc
	s_cbranch_execz .LBB217_45
; %bb.44:
	v_add_u32_e32 v2, 0x1600, v1
	v_add_u32_e32 v4, 0x1608, v1
	v_add_u32_e32 v6, 0x1610, v1
	ds_read2_b32 v[2:3], v2 offset1:1
	ds_read2_b32 v[4:5], v4 offset1:1
	;; [unrolled: 1-line block ×4, first 2 shown]
	ds_read2_b32 v[10:11], v1 offset0:2 offset1:3
	ds_read2_b32 v[12:13], v1 offset0:4 offset1:5
	;; [unrolled: 1-line block ×4, first 2 shown]
	s_waitcnt lgkmcnt(4)
	v_add_u32_e32 v3, v9, v3
	v_add_u32_e32 v2, v8, v2
	ds_write2_b32 v1, v2, v3 offset1:1
	s_waitcnt lgkmcnt(4)
	v_add_u32_e32 v2, v11, v5
	v_add_u32_e32 v3, v10, v4
	ds_write2_b32 v1, v3, v2 offset0:2 offset1:3
	v_add_u32_e32 v2, 0x1618, v1
	ds_read2_b32 v[2:3], v2 offset1:1
	s_waitcnt lgkmcnt(5)
	v_add_u32_e32 v4, v13, v7
	v_add_u32_e32 v5, v12, v6
	ds_write2_b32 v1, v5, v4 offset0:4 offset1:5
	v_add_u32_e32 v4, 0x1620, v1
	ds_read2_b32 v[4:5], v4 offset1:1
	s_waitcnt lgkmcnt(2)
	v_add_u32_e32 v7, v14, v2
	v_add_u32_e32 v2, 40, v1
	;; [unrolled: 1-line block ×3, first 2 shown]
	ds_read2st64_b32 v[2:3], v2 offset1:22
	s_waitcnt lgkmcnt(1)
	v_add_u32_e32 v5, v17, v5
	v_add_u32_e32 v4, v16, v4
	ds_write2_b32 v1, v7, v6 offset0:6 offset1:7
	ds_write2_b32 v1, v4, v5 offset0:8 offset1:9
	s_waitcnt lgkmcnt(2)
	v_add_u32_e32 v2, v2, v3
	ds_write_b32 v1, v2 offset:40
.LBB217_45:
	s_or_b64 exec, exec, s[2:3]
	v_cmp_gt_u32_e32 vcc, 64, v0
	s_waitcnt lgkmcnt(0)
	s_barrier
	s_and_saveexec_b64 s[2:3], vcc
	s_cbranch_execz .LBB217_47
; %bb.46:
	v_add_u32_e32 v2, 0xb00, v1
	v_add_u32_e32 v4, 0xb08, v1
	;; [unrolled: 1-line block ×3, first 2 shown]
	ds_read2_b32 v[2:3], v2 offset1:1
	ds_read2_b32 v[4:5], v4 offset1:1
	;; [unrolled: 1-line block ×4, first 2 shown]
	ds_read2_b32 v[10:11], v1 offset0:2 offset1:3
	ds_read2_b32 v[12:13], v1 offset0:4 offset1:5
	ds_read2_b32 v[14:15], v1 offset0:6 offset1:7
	ds_read2_b32 v[16:17], v1 offset0:8 offset1:9
	s_waitcnt lgkmcnt(4)
	v_add_u32_e32 v3, v9, v3
	v_add_u32_e32 v2, v8, v2
	ds_write2_b32 v1, v2, v3 offset1:1
	s_waitcnt lgkmcnt(4)
	v_add_u32_e32 v2, v11, v5
	v_add_u32_e32 v3, v10, v4
	ds_write2_b32 v1, v3, v2 offset0:2 offset1:3
	v_add_u32_e32 v2, 0xb18, v1
	ds_read2_b32 v[2:3], v2 offset1:1
	s_waitcnt lgkmcnt(5)
	v_add_u32_e32 v4, v13, v7
	v_add_u32_e32 v5, v12, v6
	ds_write2_b32 v1, v5, v4 offset0:4 offset1:5
	v_add_u32_e32 v4, 0xb20, v1
	ds_read2_b32 v[4:5], v4 offset1:1
	s_waitcnt lgkmcnt(2)
	v_add_u32_e32 v7, v14, v2
	v_add_u32_e32 v2, 40, v1
	;; [unrolled: 1-line block ×3, first 2 shown]
	ds_read2st64_b32 v[2:3], v2 offset1:11
	s_waitcnt lgkmcnt(1)
	v_add_u32_e32 v5, v17, v5
	v_add_u32_e32 v4, v16, v4
	ds_write2_b32 v1, v7, v6 offset0:6 offset1:7
	ds_write2_b32 v1, v4, v5 offset0:8 offset1:9
	s_waitcnt lgkmcnt(2)
	v_add_u32_e32 v2, v2, v3
	ds_write_b32 v1, v2 offset:40
.LBB217_47:
	s_or_b64 exec, exec, s[2:3]
	v_cmp_gt_u32_e32 vcc, 32, v0
	s_waitcnt lgkmcnt(0)
	s_barrier
	s_and_saveexec_b64 s[2:3], vcc
	s_cbranch_execz .LBB217_49
; %bb.48:
	v_add_u32_e32 v2, 0x580, v1
	ds_read2_b32 v[2:3], v2 offset1:1
	ds_read2_b32 v[4:5], v1 offset1:1
	ds_read2_b32 v[6:7], v1 offset0:2 offset1:3
	ds_read2_b32 v[8:9], v1 offset0:4 offset1:5
	;; [unrolled: 1-line block ×3, first 2 shown]
	ds_read_b32 v16, v1 offset:1448
	s_waitcnt lgkmcnt(4)
	v_add_u32_e32 v3, v5, v3
	v_add_u32_e32 v2, v4, v2
	ds_write2_b32 v1, v2, v3 offset1:1
	v_add_u32_e32 v2, 0x588, v1
	ds_read2_b32 v[2:3], v2 offset1:1
	v_add_u32_e32 v4, 0x590, v1
	v_add_u32_e32 v12, 0x598, v1
	;; [unrolled: 1-line block ×3, first 2 shown]
	ds_read2_b32 v[4:5], v4 offset1:1
	ds_read2_b32 v[12:13], v12 offset1:1
	;; [unrolled: 1-line block ×3, first 2 shown]
	s_waitcnt lgkmcnt(3)
	v_add_u32_e32 v3, v7, v3
	v_add_u32_e32 v2, v6, v2
	ds_write2_b32 v1, v2, v3 offset0:2 offset1:3
	s_waitcnt lgkmcnt(3)
	v_add_u32_e32 v2, v9, v5
	v_add_u32_e32 v3, v8, v4
	ds_write2_b32 v1, v3, v2 offset0:4 offset1:5
	ds_read2_b32 v[2:3], v1 offset0:8 offset1:9
	ds_read_b32 v6, v1 offset:40
	s_waitcnt lgkmcnt(5)
	v_add_u32_e32 v4, v11, v13
	v_add_u32_e32 v5, v10, v12
	ds_write2_b32 v1, v5, v4 offset0:6 offset1:7
	s_waitcnt lgkmcnt(2)
	v_add_u32_e32 v3, v3, v15
	v_add_u32_e32 v2, v2, v14
	ds_write2_b32 v1, v2, v3 offset0:8 offset1:9
	s_waitcnt lgkmcnt(2)
	v_add_u32_e32 v2, v6, v16
	ds_write_b32 v1, v2 offset:40
.LBB217_49:
	s_or_b64 exec, exec, s[2:3]
	v_cmp_gt_u32_e32 vcc, 16, v0
	s_waitcnt lgkmcnt(0)
	s_barrier
	s_and_saveexec_b64 s[2:3], vcc
	s_cbranch_execz .LBB217_51
; %bb.50:
	ds_read2_b32 v[2:3], v1 offset0:176 offset1:177
	ds_read2_b32 v[4:5], v1 offset0:178 offset1:179
	ds_read2_b32 v[6:7], v1 offset0:180 offset1:181
	ds_read2_b32 v[8:9], v1 offset1:1
	ds_read2_b32 v[10:11], v1 offset0:2 offset1:3
	ds_read2_b32 v[12:13], v1 offset0:4 offset1:5
	ds_read2_b32 v[14:15], v1 offset0:6 offset1:7
	ds_read2_b32 v[16:17], v1 offset0:8 offset1:9
	s_waitcnt lgkmcnt(4)
	v_add_u32_e32 v3, v9, v3
	v_add_u32_e32 v2, v8, v2
	ds_write2_b32 v1, v2, v3 offset1:1
	s_waitcnt lgkmcnt(4)
	v_add_u32_e32 v2, v11, v5
	v_add_u32_e32 v3, v10, v4
	ds_write2_b32 v1, v3, v2 offset0:2 offset1:3
	ds_read2_b32 v[2:3], v1 offset0:182 offset1:183
	s_waitcnt lgkmcnt(5)
	v_add_u32_e32 v4, v13, v7
	v_add_u32_e32 v5, v12, v6
	ds_write2_b32 v1, v5, v4 offset0:4 offset1:5
	ds_read2_b32 v[4:5], v1 offset0:184 offset1:185
	s_waitcnt lgkmcnt(2)
	v_add_u32_e32 v6, v15, v3
	v_add_u32_e32 v7, v14, v2
	ds_read2_b32 v[2:3], v1 offset0:10 offset1:186
	ds_write2_b32 v1, v7, v6 offset0:6 offset1:7
	s_waitcnt lgkmcnt(2)
	v_add_u32_e32 v5, v17, v5
	v_add_u32_e32 v4, v16, v4
	ds_write2_b32 v1, v4, v5 offset0:8 offset1:9
	s_waitcnt lgkmcnt(2)
	v_add_u32_e32 v2, v2, v3
	ds_write_b32 v1, v2 offset:40
.LBB217_51:
	s_or_b64 exec, exec, s[2:3]
	v_cmp_gt_u32_e32 vcc, 8, v0
	s_waitcnt lgkmcnt(0)
	s_barrier
	s_and_saveexec_b64 s[2:3], vcc
	s_cbranch_execz .LBB217_53
; %bb.52:
	ds_read2_b32 v[2:3], v1 offset0:88 offset1:89
	ds_read2_b32 v[4:5], v1 offset0:90 offset1:91
	ds_read2_b32 v[6:7], v1 offset0:92 offset1:93
	ds_read2_b32 v[8:9], v1 offset1:1
	ds_read2_b32 v[10:11], v1 offset0:2 offset1:3
	ds_read2_b32 v[12:13], v1 offset0:4 offset1:5
	ds_read2_b32 v[14:15], v1 offset0:6 offset1:7
	ds_read2_b32 v[16:17], v1 offset0:8 offset1:9
	s_waitcnt lgkmcnt(4)
	v_add_u32_e32 v3, v9, v3
	v_add_u32_e32 v2, v8, v2
	ds_write2_b32 v1, v2, v3 offset1:1
	s_waitcnt lgkmcnt(4)
	v_add_u32_e32 v2, v11, v5
	v_add_u32_e32 v3, v10, v4
	ds_write2_b32 v1, v3, v2 offset0:2 offset1:3
	ds_read2_b32 v[2:3], v1 offset0:94 offset1:95
	s_waitcnt lgkmcnt(5)
	v_add_u32_e32 v4, v13, v7
	v_add_u32_e32 v5, v12, v6
	ds_write2_b32 v1, v5, v4 offset0:4 offset1:5
	ds_read2_b32 v[4:5], v1 offset0:96 offset1:97
	s_waitcnt lgkmcnt(2)
	v_add_u32_e32 v6, v15, v3
	v_add_u32_e32 v7, v14, v2
	ds_read2_b32 v[2:3], v1 offset0:10 offset1:98
	ds_write2_b32 v1, v7, v6 offset0:6 offset1:7
	s_waitcnt lgkmcnt(2)
	v_add_u32_e32 v5, v17, v5
	v_add_u32_e32 v4, v16, v4
	ds_write2_b32 v1, v4, v5 offset0:8 offset1:9
	s_waitcnt lgkmcnt(2)
	v_add_u32_e32 v2, v2, v3
	ds_write_b32 v1, v2 offset:40
.LBB217_53:
	s_or_b64 exec, exec, s[2:3]
	v_cmp_gt_u32_e32 vcc, 4, v0
	s_waitcnt lgkmcnt(0)
	s_barrier
	s_and_saveexec_b64 s[2:3], vcc
	s_cbranch_execz .LBB217_55
; %bb.54:
	ds_read2_b32 v[2:3], v1 offset0:44 offset1:45
	ds_read2_b32 v[4:5], v1 offset0:46 offset1:47
	ds_read2_b32 v[6:7], v1 offset0:48 offset1:49
	ds_read2_b32 v[8:9], v1 offset1:1
	ds_read2_b32 v[10:11], v1 offset0:2 offset1:3
	ds_read2_b32 v[12:13], v1 offset0:4 offset1:5
	ds_read2_b32 v[14:15], v1 offset0:6 offset1:7
	ds_read2_b32 v[16:17], v1 offset0:8 offset1:9
	s_waitcnt lgkmcnt(4)
	v_add_u32_e32 v3, v9, v3
	v_add_u32_e32 v2, v8, v2
	ds_write2_b32 v1, v2, v3 offset1:1
	s_waitcnt lgkmcnt(4)
	v_add_u32_e32 v2, v11, v5
	v_add_u32_e32 v3, v10, v4
	ds_write2_b32 v1, v3, v2 offset0:2 offset1:3
	ds_read2_b32 v[2:3], v1 offset0:50 offset1:51
	s_waitcnt lgkmcnt(5)
	v_add_u32_e32 v4, v13, v7
	v_add_u32_e32 v5, v12, v6
	ds_write2_b32 v1, v5, v4 offset0:4 offset1:5
	ds_read2_b32 v[4:5], v1 offset0:52 offset1:53
	s_waitcnt lgkmcnt(2)
	v_add_u32_e32 v6, v15, v3
	v_add_u32_e32 v7, v14, v2
	ds_read2_b32 v[2:3], v1 offset0:10 offset1:54
	ds_write2_b32 v1, v7, v6 offset0:6 offset1:7
	s_waitcnt lgkmcnt(2)
	v_add_u32_e32 v5, v17, v5
	v_add_u32_e32 v4, v16, v4
	ds_write2_b32 v1, v4, v5 offset0:8 offset1:9
	s_waitcnt lgkmcnt(2)
	v_add_u32_e32 v2, v2, v3
	ds_write_b32 v1, v2 offset:40
.LBB217_55:
	s_or_b64 exec, exec, s[2:3]
	v_cmp_gt_u32_e32 vcc, 2, v0
	s_waitcnt lgkmcnt(0)
	s_barrier
	s_and_saveexec_b64 s[2:3], vcc
	s_cbranch_execz .LBB217_57
; %bb.56:
	ds_read2_b32 v[2:3], v1 offset0:22 offset1:23
	ds_read2_b32 v[4:5], v1 offset0:24 offset1:25
	ds_read2_b32 v[6:7], v1 offset0:26 offset1:27
	ds_read2_b32 v[8:9], v1 offset1:1
	ds_read2_b32 v[10:11], v1 offset0:2 offset1:3
	ds_read2_b32 v[12:13], v1 offset0:4 offset1:5
	ds_read2_b32 v[14:15], v1 offset0:6 offset1:7
	ds_read2_b32 v[16:17], v1 offset0:8 offset1:9
	s_waitcnt lgkmcnt(4)
	v_add_u32_e32 v3, v9, v3
	v_add_u32_e32 v2, v8, v2
	ds_write2_b32 v1, v2, v3 offset1:1
	s_waitcnt lgkmcnt(4)
	v_add_u32_e32 v2, v11, v5
	v_add_u32_e32 v3, v10, v4
	ds_write2_b32 v1, v3, v2 offset0:2 offset1:3
	ds_read2_b32 v[2:3], v1 offset0:28 offset1:29
	s_waitcnt lgkmcnt(5)
	v_add_u32_e32 v4, v13, v7
	v_add_u32_e32 v5, v12, v6
	ds_write2_b32 v1, v5, v4 offset0:4 offset1:5
	ds_read2_b32 v[4:5], v1 offset0:30 offset1:31
	s_waitcnt lgkmcnt(2)
	v_add_u32_e32 v6, v15, v3
	v_add_u32_e32 v7, v14, v2
	ds_read2_b32 v[2:3], v1 offset0:10 offset1:32
	ds_write2_b32 v1, v7, v6 offset0:6 offset1:7
	s_waitcnt lgkmcnt(2)
	v_add_u32_e32 v5, v17, v5
	v_add_u32_e32 v4, v16, v4
	ds_write2_b32 v1, v4, v5 offset0:8 offset1:9
	s_waitcnt lgkmcnt(2)
	v_add_u32_e32 v2, v2, v3
	ds_write_b32 v1, v2 offset:40
.LBB217_57:
	s_or_b64 exec, exec, s[2:3]
	v_cmp_eq_u32_e32 vcc, 0, v0
	s_waitcnt lgkmcnt(0)
	s_barrier
	s_and_saveexec_b64 s[2:3], vcc
	s_cbranch_execz .LBB217_59
; %bb.58:
	v_mov_b32_e32 v1, 0
	ds_read2_b32 v[14:15], v1 offset0:11 offset1:12
	ds_read_b128 v[2:5], v1
	ds_read_b128 v[6:9], v1 offset:16
	ds_read_b96 v[10:12], v1 offset:32
	ds_read2_b32 v[16:17], v1 offset0:13 offset1:14
	s_waitcnt lgkmcnt(3)
	v_add_u32_e32 v3, v3, v15
	v_add_u32_e32 v2, v2, v14
	ds_read2_b32 v[14:15], v1 offset0:15 offset1:16
	ds_read2_b32 v[18:19], v1 offset0:17 offset1:18
	;; [unrolled: 1-line block ×3, first 2 shown]
	s_waitcnt lgkmcnt(3)
	v_add_u32_e32 v5, v5, v17
	v_add_u32_e32 v4, v4, v16
	ds_write_b128 v1, v[2:5]
	s_waitcnt lgkmcnt(3)
	v_add_u32_e32 v2, v6, v14
	ds_read_b32 v6, v1 offset:84
	v_add_u32_e32 v3, v7, v15
	s_waitcnt lgkmcnt(3)
	v_add_u32_e32 v5, v9, v19
	v_add_u32_e32 v4, v8, v18
	ds_write_b128 v1, v[2:5] offset:16
	s_waitcnt lgkmcnt(3)
	v_add_u32_e32 v3, v11, v21
	v_add_u32_e32 v2, v10, v20
	s_waitcnt lgkmcnt(1)
	v_add_u32_e32 v4, v12, v6
	ds_write_b96 v1, v[2:4] offset:32
.LBB217_59:
	s_or_b64 exec, exec, s[2:3]
	v_cmp_gt_u32_e32 vcc, 11, v0
	s_waitcnt lgkmcnt(0)
	s_barrier
	s_and_saveexec_b64 s[2:3], vcc
	s_cbranch_execz .LBB217_61
; %bb.60:
	v_mad_u64_u32 v[2:3], s[2:3], s6, 11, v[0:1]
	v_lshlrev_b32_e32 v0, 2, v0
	ds_read_b32 v4, v0
	v_mov_b32_e32 v3, 0
	v_lshlrev_b64 v[2:3], 2, v[2:3]
	v_mov_b32_e32 v1, s1
	v_add_co_u32_e32 v0, vcc, s0, v2
	v_addc_co_u32_e32 v1, vcc, v1, v3, vcc
	s_waitcnt lgkmcnt(0)
	global_store_dword v[0:1], v4, off
.LBB217_61:
	s_endpgm
	.section	.rodata,"a",@progbits
	.p2align	6, 0x0
	.amdhsa_kernel _ZN9rocsparseL26csrgemm_group_reduce_part2ILj256ELj11E21rocsparse_complex_numIfEliEEvT3_PKT2_PS3_Pij
		.amdhsa_group_segment_fixed_size 11264
		.amdhsa_private_segment_fixed_size 0
		.amdhsa_kernarg_size 296
		.amdhsa_user_sgpr_count 6
		.amdhsa_user_sgpr_private_segment_buffer 1
		.amdhsa_user_sgpr_dispatch_ptr 0
		.amdhsa_user_sgpr_queue_ptr 0
		.amdhsa_user_sgpr_kernarg_segment_ptr 1
		.amdhsa_user_sgpr_dispatch_id 0
		.amdhsa_user_sgpr_flat_scratch_init 0
		.amdhsa_user_sgpr_kernarg_preload_length 0
		.amdhsa_user_sgpr_kernarg_preload_offset 0
		.amdhsa_user_sgpr_private_segment_size 0
		.amdhsa_uses_dynamic_stack 0
		.amdhsa_system_sgpr_private_segment_wavefront_offset 0
		.amdhsa_system_sgpr_workgroup_id_x 1
		.amdhsa_system_sgpr_workgroup_id_y 0
		.amdhsa_system_sgpr_workgroup_id_z 0
		.amdhsa_system_sgpr_workgroup_info 0
		.amdhsa_system_vgpr_workitem_id 0
		.amdhsa_next_free_vgpr 22
		.amdhsa_next_free_sgpr 60
		.amdhsa_accum_offset 24
		.amdhsa_reserve_vcc 1
		.amdhsa_reserve_flat_scratch 0
		.amdhsa_float_round_mode_32 0
		.amdhsa_float_round_mode_16_64 0
		.amdhsa_float_denorm_mode_32 3
		.amdhsa_float_denorm_mode_16_64 3
		.amdhsa_dx10_clamp 1
		.amdhsa_ieee_mode 1
		.amdhsa_fp16_overflow 0
		.amdhsa_tg_split 0
		.amdhsa_exception_fp_ieee_invalid_op 0
		.amdhsa_exception_fp_denorm_src 0
		.amdhsa_exception_fp_ieee_div_zero 0
		.amdhsa_exception_fp_ieee_overflow 0
		.amdhsa_exception_fp_ieee_underflow 0
		.amdhsa_exception_fp_ieee_inexact 0
		.amdhsa_exception_int_div_zero 0
	.end_amdhsa_kernel
	.section	.text._ZN9rocsparseL26csrgemm_group_reduce_part2ILj256ELj11E21rocsparse_complex_numIfEliEEvT3_PKT2_PS3_Pij,"axG",@progbits,_ZN9rocsparseL26csrgemm_group_reduce_part2ILj256ELj11E21rocsparse_complex_numIfEliEEvT3_PKT2_PS3_Pij,comdat
.Lfunc_end217:
	.size	_ZN9rocsparseL26csrgemm_group_reduce_part2ILj256ELj11E21rocsparse_complex_numIfEliEEvT3_PKT2_PS3_Pij, .Lfunc_end217-_ZN9rocsparseL26csrgemm_group_reduce_part2ILj256ELj11E21rocsparse_complex_numIfEliEEvT3_PKT2_PS3_Pij
                                        ; -- End function
	.section	.AMDGPU.csdata,"",@progbits
; Kernel info:
; codeLenInByte = 3252
; NumSgprs: 64
; NumVgprs: 22
; NumAgprs: 0
; TotalNumVgprs: 22
; ScratchSize: 0
; MemoryBound: 0
; FloatMode: 240
; IeeeMode: 1
; LDSByteSize: 11264 bytes/workgroup (compile time only)
; SGPRBlocks: 7
; VGPRBlocks: 2
; NumSGPRsForWavesPerEU: 64
; NumVGPRsForWavesPerEU: 22
; AccumOffset: 24
; Occupancy: 5
; WaveLimiterHint : 0
; COMPUTE_PGM_RSRC2:SCRATCH_EN: 0
; COMPUTE_PGM_RSRC2:USER_SGPR: 6
; COMPUTE_PGM_RSRC2:TRAP_HANDLER: 0
; COMPUTE_PGM_RSRC2:TGID_X_EN: 1
; COMPUTE_PGM_RSRC2:TGID_Y_EN: 0
; COMPUTE_PGM_RSRC2:TGID_Z_EN: 0
; COMPUTE_PGM_RSRC2:TIDIG_COMP_CNT: 0
; COMPUTE_PGM_RSRC3_GFX90A:ACCUM_OFFSET: 5
; COMPUTE_PGM_RSRC3_GFX90A:TG_SPLIT: 0
	.section	.text._ZN9rocsparseL23csrgemm_fill_wf_per_rowILj256ELj8ELj16ELj137Eli21rocsparse_complex_numIfEEEvT4_S3_PKS3_S5_NS_24const_host_device_scalarIT5_EEPKT3_S5_PKS7_SB_S5_SD_S8_SB_S5_SD_SB_PS3_PS7_21rocsparse_index_base_SG_SG_SG_bbb,"axG",@progbits,_ZN9rocsparseL23csrgemm_fill_wf_per_rowILj256ELj8ELj16ELj137Eli21rocsparse_complex_numIfEEEvT4_S3_PKS3_S5_NS_24const_host_device_scalarIT5_EEPKT3_S5_PKS7_SB_S5_SD_S8_SB_S5_SD_SB_PS3_PS7_21rocsparse_index_base_SG_SG_SG_bbb,comdat
	.globl	_ZN9rocsparseL23csrgemm_fill_wf_per_rowILj256ELj8ELj16ELj137Eli21rocsparse_complex_numIfEEEvT4_S3_PKS3_S5_NS_24const_host_device_scalarIT5_EEPKT3_S5_PKS7_SB_S5_SD_S8_SB_S5_SD_SB_PS3_PS7_21rocsparse_index_base_SG_SG_SG_bbb ; -- Begin function _ZN9rocsparseL23csrgemm_fill_wf_per_rowILj256ELj8ELj16ELj137Eli21rocsparse_complex_numIfEEEvT4_S3_PKS3_S5_NS_24const_host_device_scalarIT5_EEPKT3_S5_PKS7_SB_S5_SD_S8_SB_S5_SD_SB_PS3_PS7_21rocsparse_index_base_SG_SG_SG_bbb
	.p2align	8
	.type	_ZN9rocsparseL23csrgemm_fill_wf_per_rowILj256ELj8ELj16ELj137Eli21rocsparse_complex_numIfEEEvT4_S3_PKS3_S5_NS_24const_host_device_scalarIT5_EEPKT3_S5_PKS7_SB_S5_SD_S8_SB_S5_SD_SB_PS3_PS7_21rocsparse_index_base_SG_SG_SG_bbb,@function
_ZN9rocsparseL23csrgemm_fill_wf_per_rowILj256ELj8ELj16ELj137Eli21rocsparse_complex_numIfEEEvT4_S3_PKS3_S5_NS_24const_host_device_scalarIT5_EEPKT3_S5_PKS7_SB_S5_SD_S8_SB_S5_SD_SB_PS3_PS7_21rocsparse_index_base_SG_SG_SG_bbb: ; @_ZN9rocsparseL23csrgemm_fill_wf_per_rowILj256ELj8ELj16ELj137Eli21rocsparse_complex_numIfEEEvT4_S3_PKS3_S5_NS_24const_host_device_scalarIT5_EEPKT3_S5_PKS7_SB_S5_SD_S8_SB_S5_SD_SB_PS3_PS7_21rocsparse_index_base_SG_SG_SG_bbb
; %bb.0:
	s_load_dwordx8 s[8:15], s[4:5], 0x60
	s_load_dwordx8 s[16:23], s[4:5], 0x40
	s_load_dword s7, s[4:5], 0x98
	s_load_dwordx4 s[40:43], s[4:5], 0x8
	s_load_dwordx8 s[24:31], s[4:5], 0x20
	s_load_dwordx2 s[2:3], s[4:5], 0x80
	s_load_dwordx4 s[36:39], s[4:5], 0x88
	s_waitcnt lgkmcnt(0)
	s_bitcmp1_b32 s7, 0
	s_cselect_b64 s[46:47], -1, 0
	s_bitcmp1_b32 s7, 16
	s_cselect_b64 s[0:1], -1, 0
	s_xor_b64 s[0:1], s[0:1], -1
	v_cndmask_b32_e64 v1, 0, 1, s[0:1]
	s_mov_b32 s35, 0
	s_bitcmp0_b32 s7, 0
	v_cmp_ne_u32_e64 s[0:1], 1, v1
	s_mov_b32 s54, 0
	s_cbranch_scc1 .LBB218_5
; %bb.1:
	s_load_dwordx2 s[34:35], s[4:5], 0x18
	s_and_b64 vcc, exec, s[0:1]
	s_waitcnt lgkmcnt(0)
	s_mov_b32 s54, s34
	s_cbranch_vccnz .LBB218_3
; %bb.2:
	s_load_dword s54, s[34:35], 0x0
.LBB218_3:
	s_and_b64 vcc, exec, s[0:1]
	s_cbranch_vccnz .LBB218_5
; %bb.4:
	s_load_dword s35, s[34:35], 0x4
.LBB218_5:
	s_bitcmp1_b32 s7, 8
	s_cselect_b64 s[44:45], -1, 0
	s_bfe_u32 s7, s7, 0x10008
	s_mov_b32 s34, 0
	s_cmp_eq_u32 s7, 0
	s_mov_b32 s33, 0
	s_cbranch_scc1 .LBB218_11
; %bb.6:
	s_and_b64 vcc, exec, s[0:1]
	s_mov_b32 s33, s20
	s_cbranch_vccnz .LBB218_8
; %bb.7:
	s_load_dword s33, s[20:21], 0x0
.LBB218_8:
	s_and_b64 vcc, exec, s[0:1]
	s_cbranch_vccnz .LBB218_10
; %bb.9:
	s_load_dword s21, s[20:21], 0x4
.LBB218_10:
	s_waitcnt lgkmcnt(0)
	s_mov_b32 s34, s21
.LBB218_11:
	s_load_dwordx2 s[0:1], s[4:5], 0x0
	v_and_b32_e32 v15, 7, v0
	v_lshrrev_b32_e32 v2, 3, v0
	v_lshlrev_b32_e32 v0, 3, v15
	v_lshl_or_b32 v11, v2, 7, v0
	v_lshlrev_b32_e32 v0, 6, v2
	v_lshlrev_b32_e32 v1, 2, v15
	s_movk_i32 s4, 0x1000
	v_or_b32_e32 v10, -8, v15
	v_or3_b32 v12, v0, v1, s4
	v_mov_b32_e32 v0, 0
	s_mov_b64 s[4:5], 0
	s_waitcnt lgkmcnt(0)
	v_mov_b32_e32 v3, s1
	v_mov_b32_e32 v1, v0
	;; [unrolled: 1-line block ×5, first 2 shown]
.LBB218_12:                             ; =>This Inner Loop Header: Depth=1
	v_add_co_u32_e32 v6, vcc, 8, v6
	s_xor_b64 s[20:21], vcc, -1
	s_and_b64 s[20:21], exec, s[20:21]
	ds_write_b32 v4, v3
	ds_write_b64 v5, v[0:1]
	v_add_u32_e32 v5, 64, v5
	s_or_b64 s[4:5], s[20:21], s[4:5]
	v_add_u32_e32 v4, 32, v4
	s_andn2_b64 exec, exec, s[4:5]
	s_cbranch_execnz .LBB218_12
; %bb.13:
	s_or_b64 exec, exec, s[4:5]
	s_lshl_b32 s4, s6, 5
	s_and_b32 s4, s4, 0x1fffffe0
	v_or_b32_e32 v0, s4, v2
	v_cmp_gt_i32_e32 vcc, s0, v0
	s_waitcnt lgkmcnt(0)
	s_and_saveexec_b64 s[4:5], vcc
	s_cbranch_execz .LBB218_57
; %bb.14:
	s_cmp_eq_u64 s[42:43], 0
	s_cbranch_scc1 .LBB218_16
; %bb.15:
	s_load_dword s0, s[40:41], 0x0
	v_mov_b32_e32 v3, s43
	s_waitcnt lgkmcnt(0)
	v_add_u32_e32 v0, s0, v0
	v_ashrrev_i32_e32 v1, 31, v0
	v_lshlrev_b64 v[0:1], 2, v[0:1]
	v_add_co_u32_e32 v0, vcc, s42, v0
	v_addc_co_u32_e32 v1, vcc, v3, v1, vcc
	global_load_dword v0, v[0:1], off
.LBB218_16:
	v_mov_b32_e32 v1, 0x1000
	v_lshl_or_b32 v13, v2, 6, v1
	s_waitcnt vmcnt(0)
	v_ashrrev_i32_e32 v1, 31, v0
	v_lshlrev_b32_e32 v14, 7, v2
	s_andn2_b64 vcc, exec, s[46:47]
	v_lshlrev_b64 v[4:5], 3, v[0:1]
	s_cbranch_vccnz .LBB218_36
; %bb.17:
	v_mov_b32_e32 v1, s25
	v_add_co_u32_e32 v0, vcc, s24, v4
	v_addc_co_u32_e32 v1, vcc, v1, v5, vcc
	global_load_dwordx4 v[0:3], v[0:1], off
	v_subrev_co_u32_e32 v8, vcc, s36, v15
	v_subb_co_u32_e64 v9, s[4:5], 0, 0, vcc
	s_mov_b32 s0, 0
	s_waitcnt vmcnt(0)
	v_subrev_co_u32_e32 v6, vcc, s36, v2
	v_subbrev_co_u32_e32 v7, vcc, 0, v3, vcc
	v_add_co_u32_e32 v8, vcc, v0, v8
	v_addc_co_u32_e32 v9, vcc, v1, v9, vcc
	v_cmp_lt_i64_e32 vcc, v[8:9], v[6:7]
	s_and_saveexec_b64 s[4:5], vcc
	s_cbranch_execz .LBB218_35
; %bb.18:
	s_mov_b32 s55, s37
	s_mov_b64 s[6:7], 0
	v_mov_b32_e32 v16, s27
	v_mov_b32_e32 v17, s31
	s_branch .LBB218_20
.LBB218_19:                             ;   in Loop: Header=BB218_20 Depth=1
	s_or_b64 exec, exec, s[20:21]
	v_add_co_u32_e32 v8, vcc, 8, v8
	v_addc_co_u32_e32 v9, vcc, 0, v9, vcc
	v_cmp_ge_i64_e32 vcc, v[8:9], v[6:7]
	s_or_b64 s[6:7], vcc, s[6:7]
	s_andn2_b64 exec, exec, s[6:7]
	s_cbranch_execz .LBB218_35
.LBB218_20:                             ; =>This Loop Header: Depth=1
                                        ;     Child Loop BB218_23 Depth 2
                                        ;       Child Loop BB218_25 Depth 3
	v_lshlrev_b64 v[0:1], 2, v[8:9]
	v_add_co_u32_e32 v0, vcc, s26, v0
	v_addc_co_u32_e32 v1, vcc, v16, v1, vcc
	global_load_dword v0, v[0:1], off
	s_waitcnt vmcnt(0)
	v_subrev_u32_e32 v0, s36, v0
	v_ashrrev_i32_e32 v1, 31, v0
	v_lshlrev_b64 v[0:1], 3, v[0:1]
	v_add_co_u32_e32 v0, vcc, s30, v0
	v_addc_co_u32_e32 v1, vcc, v17, v1, vcc
	global_load_dwordx4 v[0:3], v[0:1], off
	s_waitcnt vmcnt(0)
	v_cmp_lt_i64_e32 vcc, v[0:1], v[2:3]
	s_and_saveexec_b64 s[20:21], vcc
	s_cbranch_execz .LBB218_19
; %bb.21:                               ;   in Loop: Header=BB218_20 Depth=1
	v_lshlrev_b64 v[18:19], 3, v[8:9]
	v_mov_b32_e32 v20, s29
	v_add_co_u32_e32 v18, vcc, s28, v18
	v_addc_co_u32_e32 v19, vcc, v20, v19, vcc
	global_load_dwordx2 v[20:21], v[18:19], off
	v_mov_b32_e32 v18, s0
	v_subrev_co_u32_e32 v2, vcc, s55, v2
	v_subb_co_u32_e32 v3, vcc, v3, v18, vcc
	v_subrev_co_u32_e32 v0, vcc, s55, v0
	v_subb_co_u32_e32 v1, vcc, v1, v18, vcc
	s_mov_b64 s[24:25], 0
	s_waitcnt vmcnt(0)
	v_mul_f32_e64 v18, v21, -s35
	v_mul_f32_e32 v19, s54, v21
	v_fmac_f32_e32 v18, s54, v20
	v_fmac_f32_e32 v19, s35, v20
	s_branch .LBB218_23
.LBB218_22:                             ;   in Loop: Header=BB218_23 Depth=2
	s_or_b64 exec, exec, s[40:41]
	v_add_co_u32_e32 v0, vcc, 1, v0
	v_addc_co_u32_e32 v1, vcc, 0, v1, vcc
	v_cmp_ge_i64_e32 vcc, v[0:1], v[2:3]
	s_or_b64 s[24:25], vcc, s[24:25]
	s_andn2_b64 exec, exec, s[24:25]
	s_cbranch_execz .LBB218_19
.LBB218_23:                             ;   Parent Loop BB218_20 Depth=1
                                        ; =>  This Loop Header: Depth=2
                                        ;       Child Loop BB218_25 Depth 3
	v_lshlrev_b64 v[20:21], 2, v[0:1]
	v_mov_b32_e32 v22, s17
	v_add_co_u32_e32 v20, vcc, s16, v20
	v_addc_co_u32_e32 v21, vcc, v22, v21, vcc
	global_load_dword v22, v[20:21], off
	v_lshlrev_b64 v[20:21], 3, v[0:1]
	v_mov_b32_e32 v23, s19
	v_add_co_u32_e32 v20, vcc, s18, v20
	v_addc_co_u32_e32 v21, vcc, v23, v21, vcc
	global_load_dwordx2 v[24:25], v[20:21], off
	s_mov_b64 s[40:41], 0
	s_waitcnt vmcnt(1)
	v_subrev_u32_e32 v20, s37, v22
	v_lshl_add_u32 v23, v20, 3, v20
	v_and_b32_e32 v23, 15, v23
	s_waitcnt vmcnt(0)
	v_mul_f32_e64 v21, v25, -v19
	v_mul_f32_e32 v22, v18, v25
	v_fmac_f32_e32 v21, v18, v24
	v_fmac_f32_e32 v22, v19, v24
	s_branch .LBB218_25
.LBB218_24:                             ;   in Loop: Header=BB218_25 Depth=3
	s_or_b64 exec, exec, s[42:43]
	s_xor_b64 s[42:43], s[46:47], -1
	s_and_b64 s[42:43], exec, s[42:43]
	s_or_b64 s[40:41], s[42:43], s[40:41]
	s_andn2_b64 exec, exec, s[40:41]
	s_cbranch_execz .LBB218_22
.LBB218_25:                             ;   Parent Loop BB218_20 Depth=1
                                        ;     Parent Loop BB218_23 Depth=2
                                        ; =>    This Inner Loop Header: Depth=3
	v_lshl_add_u32 v24, v23, 2, v13
	ds_read_b32 v25, v24
                                        ; implicit-def: $sgpr46_sgpr47
	s_waitcnt lgkmcnt(0)
	v_cmp_ne_u32_e32 vcc, v25, v20
	s_and_saveexec_b64 s[42:43], vcc
	s_xor_b64 s[42:43], exec, s[42:43]
	s_cbranch_execz .LBB218_33
; %bb.26:                               ;   in Loop: Header=BB218_25 Depth=3
	v_cmp_ne_u32_e32 vcc, s1, v25
                                        ; implicit-def: $sgpr46_sgpr47
	s_and_saveexec_b64 s[48:49], vcc
	s_xor_b64 s[48:49], exec, s[48:49]
; %bb.27:                               ;   in Loop: Header=BB218_25 Depth=3
	v_add_u32_e32 v23, 1, v23
	v_and_b32_e32 v23, 15, v23
	s_mov_b64 s[46:47], -1
                                        ; implicit-def: $vgpr24
; %bb.28:                               ;   in Loop: Header=BB218_25 Depth=3
	s_andn2_saveexec_b64 s[48:49], s[48:49]
	s_cbranch_execz .LBB218_32
; %bb.29:                               ;   in Loop: Header=BB218_25 Depth=3
	v_mov_b32_e32 v25, s1
	ds_cmpst_rtn_b32 v24, v24, v25, v20
	s_mov_b64 s[50:51], -1
	s_waitcnt lgkmcnt(0)
	v_cmp_eq_u32_e32 vcc, s1, v24
	s_and_saveexec_b64 s[52:53], vcc
	s_cbranch_execz .LBB218_31
; %bb.30:                               ;   in Loop: Header=BB218_25 Depth=3
	v_lshl_add_u32 v24, v23, 3, v14
	ds_add_f32 v24, v21
	ds_add_f32 v24, v22 offset:4
	s_xor_b64 s[50:51], exec, -1
.LBB218_31:                             ;   in Loop: Header=BB218_25 Depth=3
	s_or_b64 exec, exec, s[52:53]
	s_andn2_b64 s[46:47], s[46:47], exec
	s_and_b64 s[50:51], s[50:51], exec
	s_or_b64 s[46:47], s[46:47], s[50:51]
.LBB218_32:                             ;   in Loop: Header=BB218_25 Depth=3
	s_or_b64 exec, exec, s[48:49]
	s_and_b64 s[46:47], s[46:47], exec
.LBB218_33:                             ;   in Loop: Header=BB218_25 Depth=3
	s_andn2_saveexec_b64 s[42:43], s[42:43]
	s_cbranch_execz .LBB218_24
; %bb.34:                               ;   in Loop: Header=BB218_25 Depth=3
	v_lshl_add_u32 v24, v23, 3, v14
	ds_add_f32 v24, v21
	ds_add_f32 v24, v22 offset:4
	s_andn2_b64 s[46:47], s[46:47], exec
	s_branch .LBB218_24
.LBB218_35:
	s_or_b64 exec, exec, s[4:5]
.LBB218_36:
	s_andn2_b64 vcc, exec, s[44:45]
	s_cbranch_vccnz .LBB218_53
; %bb.37:
	v_mov_b32_e32 v1, s23
	v_add_co_u32_e32 v0, vcc, s22, v4
	v_addc_co_u32_e32 v1, vcc, v1, v5, vcc
	global_load_dwordx4 v[6:9], v[0:1], off
	v_subrev_co_u32_e32 v2, vcc, s39, v15
	v_subb_co_u32_e64 v3, s[4:5], 0, 0, vcc
	s_waitcnt vmcnt(0)
	v_subrev_co_u32_e32 v0, vcc, s39, v8
	v_subbrev_co_u32_e32 v1, vcc, 0, v9, vcc
	v_add_co_u32_e32 v2, vcc, v6, v2
	v_addc_co_u32_e32 v3, vcc, v7, v3, vcc
	v_cmp_lt_i64_e32 vcc, v[2:3], v[0:1]
	s_and_saveexec_b64 s[4:5], vcc
	s_cbranch_execz .LBB218_52
; %bb.38:
	s_mov_b64 s[6:7], 0
	v_mov_b32_e32 v6, s9
	v_mov_b32_e32 v7, s11
	s_branch .LBB218_40
.LBB218_39:                             ;   in Loop: Header=BB218_40 Depth=1
	s_or_b64 exec, exec, s[16:17]
	v_add_co_u32_e32 v2, vcc, 8, v2
	v_addc_co_u32_e32 v3, vcc, 0, v3, vcc
	v_cmp_ge_i64_e32 vcc, v[2:3], v[0:1]
	s_or_b64 s[6:7], vcc, s[6:7]
	s_andn2_b64 exec, exec, s[6:7]
	s_cbranch_execz .LBB218_52
.LBB218_40:                             ; =>This Loop Header: Depth=1
                                        ;     Child Loop BB218_42 Depth 2
	v_lshlrev_b64 v[8:9], 2, v[2:3]
	v_add_co_u32_e32 v8, vcc, s8, v8
	v_addc_co_u32_e32 v9, vcc, v6, v9, vcc
	global_load_dword v15, v[8:9], off
	v_lshlrev_b64 v[8:9], 3, v[2:3]
	v_add_co_u32_e32 v8, vcc, s10, v8
	v_addc_co_u32_e32 v9, vcc, v7, v9, vcc
	global_load_dwordx2 v[16:17], v[8:9], off
	s_mov_b64 s[16:17], 0
	s_waitcnt vmcnt(1)
	v_subrev_u32_e32 v8, s39, v15
	s_waitcnt vmcnt(0)
	v_mul_f32_e64 v9, v17, -s34
	v_mul_f32_e32 v15, s33, v17
	v_fmac_f32_e32 v9, s33, v16
	v_fmac_f32_e32 v15, s34, v16
	v_lshl_add_u32 v16, v8, 3, v8
	v_and_b32_e32 v16, 15, v16
	s_branch .LBB218_42
.LBB218_41:                             ;   in Loop: Header=BB218_42 Depth=2
	s_or_b64 exec, exec, s[18:19]
	s_xor_b64 s[18:19], s[20:21], -1
	s_and_b64 s[18:19], exec, s[18:19]
	s_or_b64 s[16:17], s[18:19], s[16:17]
	s_andn2_b64 exec, exec, s[16:17]
	s_cbranch_execz .LBB218_39
.LBB218_42:                             ;   Parent Loop BB218_40 Depth=1
                                        ; =>  This Inner Loop Header: Depth=2
	v_lshl_add_u32 v17, v16, 2, v13
	ds_read_b32 v18, v17
                                        ; implicit-def: $sgpr20_sgpr21
	s_waitcnt lgkmcnt(0)
	v_cmp_ne_u32_e32 vcc, v18, v8
	s_and_saveexec_b64 s[18:19], vcc
	s_xor_b64 s[18:19], exec, s[18:19]
	s_cbranch_execz .LBB218_50
; %bb.43:                               ;   in Loop: Header=BB218_42 Depth=2
	v_cmp_ne_u32_e32 vcc, s1, v18
                                        ; implicit-def: $sgpr20_sgpr21
	s_and_saveexec_b64 s[22:23], vcc
	s_xor_b64 s[22:23], exec, s[22:23]
; %bb.44:                               ;   in Loop: Header=BB218_42 Depth=2
	v_add_u32_e32 v16, 1, v16
	v_and_b32_e32 v16, 15, v16
	s_mov_b64 s[20:21], -1
                                        ; implicit-def: $vgpr17
; %bb.45:                               ;   in Loop: Header=BB218_42 Depth=2
	s_andn2_saveexec_b64 s[22:23], s[22:23]
	s_cbranch_execz .LBB218_49
; %bb.46:                               ;   in Loop: Header=BB218_42 Depth=2
	v_mov_b32_e32 v18, s1
	ds_cmpst_rtn_b32 v17, v17, v18, v8
	s_mov_b64 s[24:25], -1
	s_waitcnt lgkmcnt(0)
	v_cmp_eq_u32_e32 vcc, s1, v17
	s_and_saveexec_b64 s[26:27], vcc
	s_cbranch_execz .LBB218_48
; %bb.47:                               ;   in Loop: Header=BB218_42 Depth=2
	v_lshl_add_u32 v17, v16, 3, v14
	ds_add_f32 v17, v9
	ds_add_f32 v17, v15 offset:4
	s_xor_b64 s[24:25], exec, -1
.LBB218_48:                             ;   in Loop: Header=BB218_42 Depth=2
	s_or_b64 exec, exec, s[26:27]
	s_andn2_b64 s[20:21], s[20:21], exec
	s_and_b64 s[24:25], s[24:25], exec
	s_or_b64 s[20:21], s[20:21], s[24:25]
.LBB218_49:                             ;   in Loop: Header=BB218_42 Depth=2
	s_or_b64 exec, exec, s[22:23]
	s_and_b64 s[20:21], s[20:21], exec
.LBB218_50:                             ;   in Loop: Header=BB218_42 Depth=2
	s_andn2_saveexec_b64 s[18:19], s[18:19]
	s_cbranch_execz .LBB218_41
; %bb.51:                               ;   in Loop: Header=BB218_42 Depth=2
	v_lshl_add_u32 v17, v16, 3, v14
	ds_add_f32 v17, v9
	ds_add_f32 v17, v15 offset:4
	s_andn2_b64 s[20:21], s[20:21], exec
	s_branch .LBB218_41
.LBB218_52:
	s_or_b64 exec, exec, s[4:5]
.LBB218_53:
	v_mov_b32_e32 v1, s13
	v_add_co_u32_e32 v0, vcc, s12, v4
	v_addc_co_u32_e32 v1, vcc, v1, v5, vcc
	s_waitcnt lgkmcnt(0)
	global_load_dwordx2 v[0:1], v[0:1], off
	s_mov_b64 s[4:5], 0
	s_waitcnt vmcnt(0)
	v_subrev_co_u32_e32 v0, vcc, s38, v0
	v_subbrev_co_u32_e32 v1, vcc, 0, v1, vcc
	s_branch .LBB218_55
.LBB218_54:                             ;   in Loop: Header=BB218_55 Depth=1
	s_or_b64 exec, exec, s[6:7]
	v_add_co_u32_e32 v10, vcc, 8, v10
	s_xor_b64 s[6:7], vcc, -1
	s_and_b64 s[6:7], exec, s[6:7]
	v_add_u32_e32 v11, 64, v11
	s_or_b64 s[4:5], s[6:7], s[4:5]
	v_add_u32_e32 v12, 32, v12
	s_andn2_b64 exec, exec, s[4:5]
	s_cbranch_execz .LBB218_57
.LBB218_55:                             ; =>This Inner Loop Header: Depth=1
	ds_read_b32 v2, v12
	s_waitcnt lgkmcnt(0)
	v_cmp_gt_i32_e32 vcc, s1, v2
	s_and_saveexec_b64 s[6:7], vcc
	s_cbranch_execz .LBB218_54
; %bb.56:                               ;   in Loop: Header=BB218_55 Depth=1
	ds_read_b128 v[4:7], v13
	ds_read_b128 v[14:17], v13 offset:16
	ds_read_b128 v[18:21], v13 offset:32
	;; [unrolled: 1-line block ×3, first 2 shown]
	s_waitcnt lgkmcnt(3)
	v_cmp_gt_i32_e32 vcc, v2, v4
	v_cndmask_b32_e64 v3, 0, 1, vcc
	v_add_co_u32_e32 v3, vcc, v0, v3
	v_addc_co_u32_e32 v4, vcc, 0, v1, vcc
	v_cmp_gt_i32_e32 vcc, v2, v5
	v_cndmask_b32_e64 v5, 0, 1, vcc
	v_add_co_u32_e32 v3, vcc, v3, v5
	v_addc_co_u32_e32 v4, vcc, 0, v4, vcc
	v_cmp_gt_i32_e32 vcc, v2, v6
	v_cndmask_b32_e64 v5, 0, 1, vcc
	v_add_co_u32_e32 v3, vcc, v3, v5
	v_addc_co_u32_e32 v4, vcc, 0, v4, vcc
	v_cmp_gt_i32_e32 vcc, v2, v7
	v_cndmask_b32_e64 v5, 0, 1, vcc
	v_add_co_u32_e32 v3, vcc, v3, v5
	v_addc_co_u32_e32 v4, vcc, 0, v4, vcc
	s_waitcnt lgkmcnt(2)
	v_cmp_gt_i32_e32 vcc, v2, v14
	v_cndmask_b32_e64 v5, 0, 1, vcc
	v_add_co_u32_e32 v3, vcc, v3, v5
	v_addc_co_u32_e32 v4, vcc, 0, v4, vcc
	v_cmp_gt_i32_e32 vcc, v2, v15
	v_cndmask_b32_e64 v5, 0, 1, vcc
	v_add_co_u32_e32 v3, vcc, v3, v5
	v_addc_co_u32_e32 v4, vcc, 0, v4, vcc
	v_cmp_gt_i32_e32 vcc, v2, v16
	v_cndmask_b32_e64 v5, 0, 1, vcc
	v_add_co_u32_e32 v3, vcc, v3, v5
	v_addc_co_u32_e32 v4, vcc, 0, v4, vcc
	v_cmp_gt_i32_e32 vcc, v2, v17
	v_cndmask_b32_e64 v5, 0, 1, vcc
	v_add_co_u32_e32 v3, vcc, v3, v5
	v_addc_co_u32_e32 v4, vcc, 0, v4, vcc
	;; [unrolled: 17-line block ×4, first 2 shown]
	v_add_u32_e32 v6, s38, v2
	v_lshlrev_b64 v[2:3], 2, v[4:5]
	v_mov_b32_e32 v7, s15
	v_add_co_u32_e32 v2, vcc, s14, v2
	v_addc_co_u32_e32 v3, vcc, v7, v3, vcc
	global_store_dword v[2:3], v6, off
	v_lshlrev_b64 v[2:3], 3, v[4:5]
	ds_read_b64 v[4:5], v11
	v_mov_b32_e32 v6, s3
	v_add_co_u32_e32 v2, vcc, s2, v2
	v_addc_co_u32_e32 v3, vcc, v6, v3, vcc
	s_waitcnt lgkmcnt(0)
	global_store_dwordx2 v[2:3], v[4:5], off
	s_branch .LBB218_54
.LBB218_57:
	s_endpgm
	.section	.rodata,"a",@progbits
	.p2align	6, 0x0
	.amdhsa_kernel _ZN9rocsparseL23csrgemm_fill_wf_per_rowILj256ELj8ELj16ELj137Eli21rocsparse_complex_numIfEEEvT4_S3_PKS3_S5_NS_24const_host_device_scalarIT5_EEPKT3_S5_PKS7_SB_S5_SD_S8_SB_S5_SD_SB_PS3_PS7_21rocsparse_index_base_SG_SG_SG_bbb
		.amdhsa_group_segment_fixed_size 6144
		.amdhsa_private_segment_fixed_size 0
		.amdhsa_kernarg_size 156
		.amdhsa_user_sgpr_count 6
		.amdhsa_user_sgpr_private_segment_buffer 1
		.amdhsa_user_sgpr_dispatch_ptr 0
		.amdhsa_user_sgpr_queue_ptr 0
		.amdhsa_user_sgpr_kernarg_segment_ptr 1
		.amdhsa_user_sgpr_dispatch_id 0
		.amdhsa_user_sgpr_flat_scratch_init 0
		.amdhsa_user_sgpr_kernarg_preload_length 0
		.amdhsa_user_sgpr_kernarg_preload_offset 0
		.amdhsa_user_sgpr_private_segment_size 0
		.amdhsa_uses_dynamic_stack 0
		.amdhsa_system_sgpr_private_segment_wavefront_offset 0
		.amdhsa_system_sgpr_workgroup_id_x 1
		.amdhsa_system_sgpr_workgroup_id_y 0
		.amdhsa_system_sgpr_workgroup_id_z 0
		.amdhsa_system_sgpr_workgroup_info 0
		.amdhsa_system_vgpr_workitem_id 0
		.amdhsa_next_free_vgpr 26
		.amdhsa_next_free_sgpr 56
		.amdhsa_accum_offset 28
		.amdhsa_reserve_vcc 1
		.amdhsa_reserve_flat_scratch 0
		.amdhsa_float_round_mode_32 0
		.amdhsa_float_round_mode_16_64 0
		.amdhsa_float_denorm_mode_32 3
		.amdhsa_float_denorm_mode_16_64 3
		.amdhsa_dx10_clamp 1
		.amdhsa_ieee_mode 1
		.amdhsa_fp16_overflow 0
		.amdhsa_tg_split 0
		.amdhsa_exception_fp_ieee_invalid_op 0
		.amdhsa_exception_fp_denorm_src 0
		.amdhsa_exception_fp_ieee_div_zero 0
		.amdhsa_exception_fp_ieee_overflow 0
		.amdhsa_exception_fp_ieee_underflow 0
		.amdhsa_exception_fp_ieee_inexact 0
		.amdhsa_exception_int_div_zero 0
	.end_amdhsa_kernel
	.section	.text._ZN9rocsparseL23csrgemm_fill_wf_per_rowILj256ELj8ELj16ELj137Eli21rocsparse_complex_numIfEEEvT4_S3_PKS3_S5_NS_24const_host_device_scalarIT5_EEPKT3_S5_PKS7_SB_S5_SD_S8_SB_S5_SD_SB_PS3_PS7_21rocsparse_index_base_SG_SG_SG_bbb,"axG",@progbits,_ZN9rocsparseL23csrgemm_fill_wf_per_rowILj256ELj8ELj16ELj137Eli21rocsparse_complex_numIfEEEvT4_S3_PKS3_S5_NS_24const_host_device_scalarIT5_EEPKT3_S5_PKS7_SB_S5_SD_S8_SB_S5_SD_SB_PS3_PS7_21rocsparse_index_base_SG_SG_SG_bbb,comdat
.Lfunc_end218:
	.size	_ZN9rocsparseL23csrgemm_fill_wf_per_rowILj256ELj8ELj16ELj137Eli21rocsparse_complex_numIfEEEvT4_S3_PKS3_S5_NS_24const_host_device_scalarIT5_EEPKT3_S5_PKS7_SB_S5_SD_S8_SB_S5_SD_SB_PS3_PS7_21rocsparse_index_base_SG_SG_SG_bbb, .Lfunc_end218-_ZN9rocsparseL23csrgemm_fill_wf_per_rowILj256ELj8ELj16ELj137Eli21rocsparse_complex_numIfEEEvT4_S3_PKS3_S5_NS_24const_host_device_scalarIT5_EEPKT3_S5_PKS7_SB_S5_SD_S8_SB_S5_SD_SB_PS3_PS7_21rocsparse_index_base_SG_SG_SG_bbb
                                        ; -- End function
	.section	.AMDGPU.csdata,"",@progbits
; Kernel info:
; codeLenInByte = 2120
; NumSgprs: 60
; NumVgprs: 26
; NumAgprs: 0
; TotalNumVgprs: 26
; ScratchSize: 0
; MemoryBound: 0
; FloatMode: 240
; IeeeMode: 1
; LDSByteSize: 6144 bytes/workgroup (compile time only)
; SGPRBlocks: 7
; VGPRBlocks: 3
; NumSGPRsForWavesPerEU: 60
; NumVGPRsForWavesPerEU: 26
; AccumOffset: 28
; Occupancy: 8
; WaveLimiterHint : 1
; COMPUTE_PGM_RSRC2:SCRATCH_EN: 0
; COMPUTE_PGM_RSRC2:USER_SGPR: 6
; COMPUTE_PGM_RSRC2:TRAP_HANDLER: 0
; COMPUTE_PGM_RSRC2:TGID_X_EN: 1
; COMPUTE_PGM_RSRC2:TGID_Y_EN: 0
; COMPUTE_PGM_RSRC2:TGID_Z_EN: 0
; COMPUTE_PGM_RSRC2:TIDIG_COMP_CNT: 0
; COMPUTE_PGM_RSRC3_GFX90A:ACCUM_OFFSET: 6
; COMPUTE_PGM_RSRC3_GFX90A:TG_SPLIT: 0
	.section	.text._ZN9rocsparseL23csrgemm_fill_wf_per_rowILj256ELj16ELj32ELj137Eli21rocsparse_complex_numIfEEEvT4_S3_PKS3_S5_NS_24const_host_device_scalarIT5_EEPKT3_S5_PKS7_SB_S5_SD_S8_SB_S5_SD_SB_PS3_PS7_21rocsparse_index_base_SG_SG_SG_bbb,"axG",@progbits,_ZN9rocsparseL23csrgemm_fill_wf_per_rowILj256ELj16ELj32ELj137Eli21rocsparse_complex_numIfEEEvT4_S3_PKS3_S5_NS_24const_host_device_scalarIT5_EEPKT3_S5_PKS7_SB_S5_SD_S8_SB_S5_SD_SB_PS3_PS7_21rocsparse_index_base_SG_SG_SG_bbb,comdat
	.globl	_ZN9rocsparseL23csrgemm_fill_wf_per_rowILj256ELj16ELj32ELj137Eli21rocsparse_complex_numIfEEEvT4_S3_PKS3_S5_NS_24const_host_device_scalarIT5_EEPKT3_S5_PKS7_SB_S5_SD_S8_SB_S5_SD_SB_PS3_PS7_21rocsparse_index_base_SG_SG_SG_bbb ; -- Begin function _ZN9rocsparseL23csrgemm_fill_wf_per_rowILj256ELj16ELj32ELj137Eli21rocsparse_complex_numIfEEEvT4_S3_PKS3_S5_NS_24const_host_device_scalarIT5_EEPKT3_S5_PKS7_SB_S5_SD_S8_SB_S5_SD_SB_PS3_PS7_21rocsparse_index_base_SG_SG_SG_bbb
	.p2align	8
	.type	_ZN9rocsparseL23csrgemm_fill_wf_per_rowILj256ELj16ELj32ELj137Eli21rocsparse_complex_numIfEEEvT4_S3_PKS3_S5_NS_24const_host_device_scalarIT5_EEPKT3_S5_PKS7_SB_S5_SD_S8_SB_S5_SD_SB_PS3_PS7_21rocsparse_index_base_SG_SG_SG_bbb,@function
_ZN9rocsparseL23csrgemm_fill_wf_per_rowILj256ELj16ELj32ELj137Eli21rocsparse_complex_numIfEEEvT4_S3_PKS3_S5_NS_24const_host_device_scalarIT5_EEPKT3_S5_PKS7_SB_S5_SD_S8_SB_S5_SD_SB_PS3_PS7_21rocsparse_index_base_SG_SG_SG_bbb: ; @_ZN9rocsparseL23csrgemm_fill_wf_per_rowILj256ELj16ELj32ELj137Eli21rocsparse_complex_numIfEEEvT4_S3_PKS3_S5_NS_24const_host_device_scalarIT5_EEPKT3_S5_PKS7_SB_S5_SD_S8_SB_S5_SD_SB_PS3_PS7_21rocsparse_index_base_SG_SG_SG_bbb
; %bb.0:
	s_load_dwordx8 s[8:15], s[4:5], 0x60
	s_load_dwordx8 s[16:23], s[4:5], 0x40
	s_load_dword s7, s[4:5], 0x98
	s_load_dwordx4 s[40:43], s[4:5], 0x8
	s_load_dwordx8 s[24:31], s[4:5], 0x20
	s_load_dwordx2 s[2:3], s[4:5], 0x80
	s_load_dwordx4 s[36:39], s[4:5], 0x88
	s_waitcnt lgkmcnt(0)
	s_bitcmp1_b32 s7, 0
	s_cselect_b64 s[46:47], -1, 0
	s_bitcmp1_b32 s7, 16
	s_cselect_b64 s[0:1], -1, 0
	s_xor_b64 s[0:1], s[0:1], -1
	v_cndmask_b32_e64 v1, 0, 1, s[0:1]
	s_mov_b32 s35, 0
	s_bitcmp0_b32 s7, 0
	v_cmp_ne_u32_e64 s[0:1], 1, v1
	s_mov_b32 s54, 0
	s_cbranch_scc1 .LBB219_5
; %bb.1:
	s_load_dwordx2 s[34:35], s[4:5], 0x18
	s_and_b64 vcc, exec, s[0:1]
	s_waitcnt lgkmcnt(0)
	s_mov_b32 s54, s34
	s_cbranch_vccnz .LBB219_3
; %bb.2:
	s_load_dword s54, s[34:35], 0x0
.LBB219_3:
	s_and_b64 vcc, exec, s[0:1]
	s_cbranch_vccnz .LBB219_5
; %bb.4:
	s_load_dword s35, s[34:35], 0x4
.LBB219_5:
	s_bitcmp1_b32 s7, 8
	s_cselect_b64 s[44:45], -1, 0
	s_bfe_u32 s7, s7, 0x10008
	s_mov_b32 s34, 0
	s_cmp_eq_u32 s7, 0
	s_mov_b32 s33, 0
	s_cbranch_scc1 .LBB219_11
; %bb.6:
	s_and_b64 vcc, exec, s[0:1]
	s_mov_b32 s33, s20
	s_cbranch_vccnz .LBB219_8
; %bb.7:
	s_load_dword s33, s[20:21], 0x0
.LBB219_8:
	s_and_b64 vcc, exec, s[0:1]
	s_cbranch_vccnz .LBB219_10
; %bb.9:
	s_load_dword s21, s[20:21], 0x4
.LBB219_10:
	s_waitcnt lgkmcnt(0)
	s_mov_b32 s34, s21
.LBB219_11:
	s_load_dwordx2 s[0:1], s[4:5], 0x0
	v_and_b32_e32 v15, 15, v0
	v_lshrrev_b32_e32 v2, 4, v0
	v_lshlrev_b32_e32 v0, 3, v15
	v_lshl_or_b32 v11, v2, 8, v0
	v_lshlrev_b32_e32 v0, 7, v2
	v_lshlrev_b32_e32 v1, 2, v15
	s_movk_i32 s4, 0x1000
	v_or_b32_e32 v10, -16, v15
	v_or3_b32 v12, v0, v1, s4
	v_mov_b32_e32 v0, 0
	s_mov_b64 s[4:5], 0
	s_waitcnt lgkmcnt(0)
	v_mov_b32_e32 v3, s1
	v_mov_b32_e32 v1, v0
	;; [unrolled: 1-line block ×5, first 2 shown]
.LBB219_12:                             ; =>This Inner Loop Header: Depth=1
	v_add_co_u32_e32 v6, vcc, 16, v6
	s_xor_b64 s[20:21], vcc, -1
	s_and_b64 s[20:21], exec, s[20:21]
	ds_write_b32 v4, v3
	ds_write_b64 v5, v[0:1]
	v_add_u32_e32 v5, 0x80, v5
	s_or_b64 s[4:5], s[20:21], s[4:5]
	v_add_u32_e32 v4, 64, v4
	s_andn2_b64 exec, exec, s[4:5]
	s_cbranch_execnz .LBB219_12
; %bb.13:
	s_or_b64 exec, exec, s[4:5]
	s_lshl_b32 s4, s6, 4
	s_and_b32 s4, s4, 0xffffff0
	v_or_b32_e32 v0, s4, v2
	v_cmp_gt_i32_e32 vcc, s0, v0
	s_waitcnt lgkmcnt(0)
	s_and_saveexec_b64 s[4:5], vcc
	s_cbranch_execz .LBB219_57
; %bb.14:
	s_cmp_eq_u64 s[42:43], 0
	s_cbranch_scc1 .LBB219_16
; %bb.15:
	s_load_dword s0, s[40:41], 0x0
	v_mov_b32_e32 v3, s43
	s_waitcnt lgkmcnt(0)
	v_add_u32_e32 v0, s0, v0
	v_ashrrev_i32_e32 v1, 31, v0
	v_lshlrev_b64 v[0:1], 2, v[0:1]
	v_add_co_u32_e32 v0, vcc, s42, v0
	v_addc_co_u32_e32 v1, vcc, v3, v1, vcc
	global_load_dword v0, v[0:1], off
.LBB219_16:
	v_mov_b32_e32 v1, 0x1000
	v_lshl_or_b32 v13, v2, 7, v1
	s_waitcnt vmcnt(0)
	v_ashrrev_i32_e32 v1, 31, v0
	v_lshlrev_b32_e32 v14, 8, v2
	s_andn2_b64 vcc, exec, s[46:47]
	v_lshlrev_b64 v[4:5], 3, v[0:1]
	s_cbranch_vccnz .LBB219_36
; %bb.17:
	v_mov_b32_e32 v1, s25
	v_add_co_u32_e32 v0, vcc, s24, v4
	v_addc_co_u32_e32 v1, vcc, v1, v5, vcc
	global_load_dwordx4 v[0:3], v[0:1], off
	v_subrev_co_u32_e32 v8, vcc, s36, v15
	v_subb_co_u32_e64 v9, s[4:5], 0, 0, vcc
	s_mov_b32 s0, 0
	s_waitcnt vmcnt(0)
	v_subrev_co_u32_e32 v6, vcc, s36, v2
	v_subbrev_co_u32_e32 v7, vcc, 0, v3, vcc
	v_add_co_u32_e32 v8, vcc, v0, v8
	v_addc_co_u32_e32 v9, vcc, v1, v9, vcc
	v_cmp_lt_i64_e32 vcc, v[8:9], v[6:7]
	s_and_saveexec_b64 s[4:5], vcc
	s_cbranch_execz .LBB219_35
; %bb.18:
	s_mov_b32 s55, s37
	s_mov_b64 s[6:7], 0
	v_mov_b32_e32 v16, s27
	v_mov_b32_e32 v17, s31
	s_branch .LBB219_20
.LBB219_19:                             ;   in Loop: Header=BB219_20 Depth=1
	s_or_b64 exec, exec, s[20:21]
	v_add_co_u32_e32 v8, vcc, 16, v8
	v_addc_co_u32_e32 v9, vcc, 0, v9, vcc
	v_cmp_ge_i64_e32 vcc, v[8:9], v[6:7]
	s_or_b64 s[6:7], vcc, s[6:7]
	s_andn2_b64 exec, exec, s[6:7]
	s_cbranch_execz .LBB219_35
.LBB219_20:                             ; =>This Loop Header: Depth=1
                                        ;     Child Loop BB219_23 Depth 2
                                        ;       Child Loop BB219_25 Depth 3
	v_lshlrev_b64 v[0:1], 2, v[8:9]
	v_add_co_u32_e32 v0, vcc, s26, v0
	v_addc_co_u32_e32 v1, vcc, v16, v1, vcc
	global_load_dword v0, v[0:1], off
	s_waitcnt vmcnt(0)
	v_subrev_u32_e32 v0, s36, v0
	v_ashrrev_i32_e32 v1, 31, v0
	v_lshlrev_b64 v[0:1], 3, v[0:1]
	v_add_co_u32_e32 v0, vcc, s30, v0
	v_addc_co_u32_e32 v1, vcc, v17, v1, vcc
	global_load_dwordx4 v[0:3], v[0:1], off
	s_waitcnt vmcnt(0)
	v_cmp_lt_i64_e32 vcc, v[0:1], v[2:3]
	s_and_saveexec_b64 s[20:21], vcc
	s_cbranch_execz .LBB219_19
; %bb.21:                               ;   in Loop: Header=BB219_20 Depth=1
	v_lshlrev_b64 v[18:19], 3, v[8:9]
	v_mov_b32_e32 v20, s29
	v_add_co_u32_e32 v18, vcc, s28, v18
	v_addc_co_u32_e32 v19, vcc, v20, v19, vcc
	global_load_dwordx2 v[20:21], v[18:19], off
	v_mov_b32_e32 v18, s0
	v_subrev_co_u32_e32 v2, vcc, s55, v2
	v_subb_co_u32_e32 v3, vcc, v3, v18, vcc
	v_subrev_co_u32_e32 v0, vcc, s55, v0
	v_subb_co_u32_e32 v1, vcc, v1, v18, vcc
	s_mov_b64 s[24:25], 0
	s_waitcnt vmcnt(0)
	v_mul_f32_e64 v18, v21, -s35
	v_mul_f32_e32 v19, s54, v21
	v_fmac_f32_e32 v18, s54, v20
	v_fmac_f32_e32 v19, s35, v20
	s_branch .LBB219_23
.LBB219_22:                             ;   in Loop: Header=BB219_23 Depth=2
	s_or_b64 exec, exec, s[40:41]
	v_add_co_u32_e32 v0, vcc, 1, v0
	v_addc_co_u32_e32 v1, vcc, 0, v1, vcc
	v_cmp_ge_i64_e32 vcc, v[0:1], v[2:3]
	s_or_b64 s[24:25], vcc, s[24:25]
	s_andn2_b64 exec, exec, s[24:25]
	s_cbranch_execz .LBB219_19
.LBB219_23:                             ;   Parent Loop BB219_20 Depth=1
                                        ; =>  This Loop Header: Depth=2
                                        ;       Child Loop BB219_25 Depth 3
	v_lshlrev_b64 v[20:21], 2, v[0:1]
	v_mov_b32_e32 v22, s17
	v_add_co_u32_e32 v20, vcc, s16, v20
	v_addc_co_u32_e32 v21, vcc, v22, v21, vcc
	global_load_dword v22, v[20:21], off
	v_lshlrev_b64 v[20:21], 3, v[0:1]
	v_mov_b32_e32 v23, s19
	v_add_co_u32_e32 v20, vcc, s18, v20
	v_addc_co_u32_e32 v21, vcc, v23, v21, vcc
	global_load_dwordx2 v[24:25], v[20:21], off
	s_mov_b64 s[40:41], 0
	s_waitcnt vmcnt(1)
	v_subrev_u32_e32 v20, s37, v22
	v_lshl_add_u32 v23, v20, 3, v20
	v_and_b32_e32 v23, 31, v23
	s_waitcnt vmcnt(0)
	v_mul_f32_e64 v21, v25, -v19
	v_mul_f32_e32 v22, v18, v25
	v_fmac_f32_e32 v21, v18, v24
	v_fmac_f32_e32 v22, v19, v24
	s_branch .LBB219_25
.LBB219_24:                             ;   in Loop: Header=BB219_25 Depth=3
	s_or_b64 exec, exec, s[42:43]
	s_xor_b64 s[42:43], s[46:47], -1
	s_and_b64 s[42:43], exec, s[42:43]
	s_or_b64 s[40:41], s[42:43], s[40:41]
	s_andn2_b64 exec, exec, s[40:41]
	s_cbranch_execz .LBB219_22
.LBB219_25:                             ;   Parent Loop BB219_20 Depth=1
                                        ;     Parent Loop BB219_23 Depth=2
                                        ; =>    This Inner Loop Header: Depth=3
	v_lshl_add_u32 v24, v23, 2, v13
	ds_read_b32 v25, v24
                                        ; implicit-def: $sgpr46_sgpr47
	s_waitcnt lgkmcnt(0)
	v_cmp_ne_u32_e32 vcc, v25, v20
	s_and_saveexec_b64 s[42:43], vcc
	s_xor_b64 s[42:43], exec, s[42:43]
	s_cbranch_execz .LBB219_33
; %bb.26:                               ;   in Loop: Header=BB219_25 Depth=3
	v_cmp_ne_u32_e32 vcc, s1, v25
                                        ; implicit-def: $sgpr46_sgpr47
	s_and_saveexec_b64 s[48:49], vcc
	s_xor_b64 s[48:49], exec, s[48:49]
; %bb.27:                               ;   in Loop: Header=BB219_25 Depth=3
	v_add_u32_e32 v23, 1, v23
	v_and_b32_e32 v23, 31, v23
	s_mov_b64 s[46:47], -1
                                        ; implicit-def: $vgpr24
; %bb.28:                               ;   in Loop: Header=BB219_25 Depth=3
	s_andn2_saveexec_b64 s[48:49], s[48:49]
	s_cbranch_execz .LBB219_32
; %bb.29:                               ;   in Loop: Header=BB219_25 Depth=3
	v_mov_b32_e32 v25, s1
	ds_cmpst_rtn_b32 v24, v24, v25, v20
	s_mov_b64 s[50:51], -1
	s_waitcnt lgkmcnt(0)
	v_cmp_eq_u32_e32 vcc, s1, v24
	s_and_saveexec_b64 s[52:53], vcc
	s_cbranch_execz .LBB219_31
; %bb.30:                               ;   in Loop: Header=BB219_25 Depth=3
	v_lshl_add_u32 v24, v23, 3, v14
	ds_add_f32 v24, v21
	ds_add_f32 v24, v22 offset:4
	s_xor_b64 s[50:51], exec, -1
.LBB219_31:                             ;   in Loop: Header=BB219_25 Depth=3
	s_or_b64 exec, exec, s[52:53]
	s_andn2_b64 s[46:47], s[46:47], exec
	s_and_b64 s[50:51], s[50:51], exec
	s_or_b64 s[46:47], s[46:47], s[50:51]
.LBB219_32:                             ;   in Loop: Header=BB219_25 Depth=3
	s_or_b64 exec, exec, s[48:49]
	s_and_b64 s[46:47], s[46:47], exec
.LBB219_33:                             ;   in Loop: Header=BB219_25 Depth=3
	s_andn2_saveexec_b64 s[42:43], s[42:43]
	s_cbranch_execz .LBB219_24
; %bb.34:                               ;   in Loop: Header=BB219_25 Depth=3
	v_lshl_add_u32 v24, v23, 3, v14
	ds_add_f32 v24, v21
	ds_add_f32 v24, v22 offset:4
	s_andn2_b64 s[46:47], s[46:47], exec
	s_branch .LBB219_24
.LBB219_35:
	s_or_b64 exec, exec, s[4:5]
.LBB219_36:
	s_andn2_b64 vcc, exec, s[44:45]
	s_cbranch_vccnz .LBB219_53
; %bb.37:
	v_mov_b32_e32 v1, s23
	v_add_co_u32_e32 v0, vcc, s22, v4
	v_addc_co_u32_e32 v1, vcc, v1, v5, vcc
	global_load_dwordx4 v[6:9], v[0:1], off
	v_subrev_co_u32_e32 v2, vcc, s39, v15
	v_subb_co_u32_e64 v3, s[4:5], 0, 0, vcc
	s_waitcnt vmcnt(0)
	v_subrev_co_u32_e32 v0, vcc, s39, v8
	v_subbrev_co_u32_e32 v1, vcc, 0, v9, vcc
	v_add_co_u32_e32 v2, vcc, v6, v2
	v_addc_co_u32_e32 v3, vcc, v7, v3, vcc
	v_cmp_lt_i64_e32 vcc, v[2:3], v[0:1]
	s_and_saveexec_b64 s[4:5], vcc
	s_cbranch_execz .LBB219_52
; %bb.38:
	s_mov_b64 s[6:7], 0
	v_mov_b32_e32 v6, s9
	v_mov_b32_e32 v7, s11
	s_branch .LBB219_40
.LBB219_39:                             ;   in Loop: Header=BB219_40 Depth=1
	s_or_b64 exec, exec, s[16:17]
	v_add_co_u32_e32 v2, vcc, 16, v2
	v_addc_co_u32_e32 v3, vcc, 0, v3, vcc
	v_cmp_ge_i64_e32 vcc, v[2:3], v[0:1]
	s_or_b64 s[6:7], vcc, s[6:7]
	s_andn2_b64 exec, exec, s[6:7]
	s_cbranch_execz .LBB219_52
.LBB219_40:                             ; =>This Loop Header: Depth=1
                                        ;     Child Loop BB219_42 Depth 2
	v_lshlrev_b64 v[8:9], 2, v[2:3]
	v_add_co_u32_e32 v8, vcc, s8, v8
	v_addc_co_u32_e32 v9, vcc, v6, v9, vcc
	global_load_dword v15, v[8:9], off
	v_lshlrev_b64 v[8:9], 3, v[2:3]
	v_add_co_u32_e32 v8, vcc, s10, v8
	v_addc_co_u32_e32 v9, vcc, v7, v9, vcc
	global_load_dwordx2 v[16:17], v[8:9], off
	s_mov_b64 s[16:17], 0
	s_waitcnt vmcnt(1)
	v_subrev_u32_e32 v8, s39, v15
	s_waitcnt vmcnt(0)
	v_mul_f32_e64 v9, v17, -s34
	v_mul_f32_e32 v15, s33, v17
	v_fmac_f32_e32 v9, s33, v16
	v_fmac_f32_e32 v15, s34, v16
	v_lshl_add_u32 v16, v8, 3, v8
	v_and_b32_e32 v16, 31, v16
	s_branch .LBB219_42
.LBB219_41:                             ;   in Loop: Header=BB219_42 Depth=2
	s_or_b64 exec, exec, s[18:19]
	s_xor_b64 s[18:19], s[20:21], -1
	s_and_b64 s[18:19], exec, s[18:19]
	s_or_b64 s[16:17], s[18:19], s[16:17]
	s_andn2_b64 exec, exec, s[16:17]
	s_cbranch_execz .LBB219_39
.LBB219_42:                             ;   Parent Loop BB219_40 Depth=1
                                        ; =>  This Inner Loop Header: Depth=2
	v_lshl_add_u32 v17, v16, 2, v13
	ds_read_b32 v18, v17
                                        ; implicit-def: $sgpr20_sgpr21
	s_waitcnt lgkmcnt(0)
	v_cmp_ne_u32_e32 vcc, v18, v8
	s_and_saveexec_b64 s[18:19], vcc
	s_xor_b64 s[18:19], exec, s[18:19]
	s_cbranch_execz .LBB219_50
; %bb.43:                               ;   in Loop: Header=BB219_42 Depth=2
	v_cmp_ne_u32_e32 vcc, s1, v18
                                        ; implicit-def: $sgpr20_sgpr21
	s_and_saveexec_b64 s[22:23], vcc
	s_xor_b64 s[22:23], exec, s[22:23]
; %bb.44:                               ;   in Loop: Header=BB219_42 Depth=2
	v_add_u32_e32 v16, 1, v16
	v_and_b32_e32 v16, 31, v16
	s_mov_b64 s[20:21], -1
                                        ; implicit-def: $vgpr17
; %bb.45:                               ;   in Loop: Header=BB219_42 Depth=2
	s_andn2_saveexec_b64 s[22:23], s[22:23]
	s_cbranch_execz .LBB219_49
; %bb.46:                               ;   in Loop: Header=BB219_42 Depth=2
	v_mov_b32_e32 v18, s1
	ds_cmpst_rtn_b32 v17, v17, v18, v8
	s_mov_b64 s[24:25], -1
	s_waitcnt lgkmcnt(0)
	v_cmp_eq_u32_e32 vcc, s1, v17
	s_and_saveexec_b64 s[26:27], vcc
	s_cbranch_execz .LBB219_48
; %bb.47:                               ;   in Loop: Header=BB219_42 Depth=2
	v_lshl_add_u32 v17, v16, 3, v14
	ds_add_f32 v17, v9
	ds_add_f32 v17, v15 offset:4
	s_xor_b64 s[24:25], exec, -1
.LBB219_48:                             ;   in Loop: Header=BB219_42 Depth=2
	s_or_b64 exec, exec, s[26:27]
	s_andn2_b64 s[20:21], s[20:21], exec
	s_and_b64 s[24:25], s[24:25], exec
	s_or_b64 s[20:21], s[20:21], s[24:25]
.LBB219_49:                             ;   in Loop: Header=BB219_42 Depth=2
	s_or_b64 exec, exec, s[22:23]
	s_and_b64 s[20:21], s[20:21], exec
.LBB219_50:                             ;   in Loop: Header=BB219_42 Depth=2
	s_andn2_saveexec_b64 s[18:19], s[18:19]
	s_cbranch_execz .LBB219_41
; %bb.51:                               ;   in Loop: Header=BB219_42 Depth=2
	v_lshl_add_u32 v17, v16, 3, v14
	ds_add_f32 v17, v9
	ds_add_f32 v17, v15 offset:4
	s_andn2_b64 s[20:21], s[20:21], exec
	s_branch .LBB219_41
.LBB219_52:
	s_or_b64 exec, exec, s[4:5]
.LBB219_53:
	v_mov_b32_e32 v1, s13
	v_add_co_u32_e32 v0, vcc, s12, v4
	v_addc_co_u32_e32 v1, vcc, v1, v5, vcc
	s_waitcnt lgkmcnt(0)
	global_load_dwordx2 v[0:1], v[0:1], off
	s_mov_b64 s[4:5], 0
	s_waitcnt vmcnt(0)
	v_subrev_co_u32_e32 v0, vcc, s38, v0
	v_subbrev_co_u32_e32 v1, vcc, 0, v1, vcc
	s_branch .LBB219_55
.LBB219_54:                             ;   in Loop: Header=BB219_55 Depth=1
	s_or_b64 exec, exec, s[6:7]
	v_add_co_u32_e32 v10, vcc, 16, v10
	s_xor_b64 s[6:7], vcc, -1
	s_and_b64 s[6:7], exec, s[6:7]
	v_add_u32_e32 v11, 0x80, v11
	s_or_b64 s[4:5], s[6:7], s[4:5]
	v_add_u32_e32 v12, 64, v12
	s_andn2_b64 exec, exec, s[4:5]
	s_cbranch_execz .LBB219_57
.LBB219_55:                             ; =>This Inner Loop Header: Depth=1
	ds_read_b32 v2, v12
	s_waitcnt lgkmcnt(0)
	v_cmp_gt_i32_e32 vcc, s1, v2
	s_and_saveexec_b64 s[6:7], vcc
	s_cbranch_execz .LBB219_54
; %bb.56:                               ;   in Loop: Header=BB219_55 Depth=1
	ds_read_b128 v[4:7], v13
	ds_read_b128 v[14:17], v13 offset:16
	ds_read_b128 v[18:21], v13 offset:32
	;; [unrolled: 1-line block ×3, first 2 shown]
	s_waitcnt lgkmcnt(3)
	v_cmp_gt_i32_e32 vcc, v2, v4
	v_cndmask_b32_e64 v3, 0, 1, vcc
	v_add_co_u32_e32 v3, vcc, v0, v3
	v_addc_co_u32_e32 v4, vcc, 0, v1, vcc
	v_cmp_gt_i32_e32 vcc, v2, v5
	v_cndmask_b32_e64 v5, 0, 1, vcc
	v_add_co_u32_e32 v3, vcc, v3, v5
	v_addc_co_u32_e32 v4, vcc, 0, v4, vcc
	v_cmp_gt_i32_e32 vcc, v2, v6
	v_cndmask_b32_e64 v5, 0, 1, vcc
	v_add_co_u32_e32 v3, vcc, v3, v5
	v_addc_co_u32_e32 v4, vcc, 0, v4, vcc
	v_cmp_gt_i32_e32 vcc, v2, v7
	v_cndmask_b32_e64 v5, 0, 1, vcc
	v_add_co_u32_e32 v3, vcc, v3, v5
	v_addc_co_u32_e32 v4, vcc, 0, v4, vcc
	s_waitcnt lgkmcnt(2)
	v_cmp_gt_i32_e32 vcc, v2, v14
	v_cndmask_b32_e64 v5, 0, 1, vcc
	v_add_co_u32_e32 v3, vcc, v3, v5
	v_addc_co_u32_e32 v4, vcc, 0, v4, vcc
	v_cmp_gt_i32_e32 vcc, v2, v15
	v_cndmask_b32_e64 v5, 0, 1, vcc
	v_add_co_u32_e32 v3, vcc, v3, v5
	v_addc_co_u32_e32 v4, vcc, 0, v4, vcc
	v_cmp_gt_i32_e32 vcc, v2, v16
	v_cndmask_b32_e64 v5, 0, 1, vcc
	v_add_co_u32_e32 v3, vcc, v3, v5
	v_addc_co_u32_e32 v4, vcc, 0, v4, vcc
	v_cmp_gt_i32_e32 vcc, v2, v17
	v_cndmask_b32_e64 v5, 0, 1, vcc
	v_add_co_u32_e32 v3, vcc, v3, v5
	v_addc_co_u32_e32 v4, vcc, 0, v4, vcc
	;; [unrolled: 17-line block ×3, first 2 shown]
	s_waitcnt lgkmcnt(0)
	v_cmp_gt_i32_e32 vcc, v2, v22
	v_cndmask_b32_e64 v5, 0, 1, vcc
	v_add_co_u32_e32 v3, vcc, v3, v5
	v_addc_co_u32_e32 v4, vcc, 0, v4, vcc
	v_cmp_gt_i32_e32 vcc, v2, v23
	v_cndmask_b32_e64 v5, 0, 1, vcc
	v_add_co_u32_e32 v3, vcc, v3, v5
	v_addc_co_u32_e32 v4, vcc, 0, v4, vcc
	;; [unrolled: 4-line block ×3, first 2 shown]
	ds_read_b128 v[4:7], v13 offset:64
	ds_read_b128 v[14:17], v13 offset:80
	v_cmp_gt_i32_e32 vcc, v2, v25
	v_cndmask_b32_e64 v9, 0, 1, vcc
	v_add_co_u32_e32 v3, vcc, v3, v9
	v_addc_co_u32_e32 v8, vcc, 0, v8, vcc
	s_waitcnt lgkmcnt(1)
	v_cmp_gt_i32_e32 vcc, v2, v4
	v_cndmask_b32_e64 v4, 0, 1, vcc
	v_add_co_u32_e32 v3, vcc, v3, v4
	v_addc_co_u32_e32 v4, vcc, 0, v8, vcc
	v_cmp_gt_i32_e32 vcc, v2, v5
	v_cndmask_b32_e64 v5, 0, 1, vcc
	v_add_co_u32_e32 v3, vcc, v3, v5
	v_addc_co_u32_e32 v4, vcc, 0, v4, vcc
	;; [unrolled: 4-line block ×4, first 2 shown]
	s_waitcnt lgkmcnt(0)
	v_cmp_gt_i32_e32 vcc, v2, v14
	v_cndmask_b32_e64 v5, 0, 1, vcc
	v_add_co_u32_e32 v3, vcc, v3, v5
	v_addc_co_u32_e32 v4, vcc, 0, v4, vcc
	v_cmp_gt_i32_e32 vcc, v2, v15
	v_cndmask_b32_e64 v5, 0, 1, vcc
	v_add_co_u32_e32 v3, vcc, v3, v5
	v_addc_co_u32_e32 v4, vcc, 0, v4, vcc
	v_cmp_gt_i32_e32 vcc, v2, v16
	v_cndmask_b32_e64 v5, 0, 1, vcc
	v_add_co_u32_e32 v3, vcc, v3, v5
	v_addc_co_u32_e32 v8, vcc, 0, v4, vcc
	ds_read_b128 v[4:7], v13 offset:96
	v_cmp_gt_i32_e32 vcc, v2, v17
	ds_read_b128 v[14:17], v13 offset:112
	v_cndmask_b32_e64 v9, 0, 1, vcc
	v_add_co_u32_e32 v3, vcc, v3, v9
	v_addc_co_u32_e32 v8, vcc, 0, v8, vcc
	s_waitcnt lgkmcnt(1)
	v_cmp_gt_i32_e32 vcc, v2, v4
	v_cndmask_b32_e64 v4, 0, 1, vcc
	v_add_co_u32_e32 v3, vcc, v3, v4
	v_addc_co_u32_e32 v4, vcc, 0, v8, vcc
	v_cmp_gt_i32_e32 vcc, v2, v5
	v_cndmask_b32_e64 v5, 0, 1, vcc
	v_add_co_u32_e32 v3, vcc, v3, v5
	v_addc_co_u32_e32 v4, vcc, 0, v4, vcc
	;; [unrolled: 4-line block ×4, first 2 shown]
	s_waitcnt lgkmcnt(0)
	v_cmp_gt_i32_e32 vcc, v2, v14
	v_cndmask_b32_e64 v5, 0, 1, vcc
	v_add_co_u32_e32 v3, vcc, v3, v5
	v_addc_co_u32_e32 v4, vcc, 0, v4, vcc
	v_cmp_gt_i32_e32 vcc, v2, v15
	v_cndmask_b32_e64 v5, 0, 1, vcc
	v_add_co_u32_e32 v3, vcc, v3, v5
	v_addc_co_u32_e32 v4, vcc, 0, v4, vcc
	;; [unrolled: 4-line block ×4, first 2 shown]
	v_add_u32_e32 v6, s38, v2
	v_lshlrev_b64 v[2:3], 2, v[4:5]
	v_mov_b32_e32 v7, s15
	v_add_co_u32_e32 v2, vcc, s14, v2
	v_addc_co_u32_e32 v3, vcc, v7, v3, vcc
	global_store_dword v[2:3], v6, off
	v_lshlrev_b64 v[2:3], 3, v[4:5]
	ds_read_b64 v[4:5], v11
	v_mov_b32_e32 v6, s3
	v_add_co_u32_e32 v2, vcc, s2, v2
	v_addc_co_u32_e32 v3, vcc, v6, v3, vcc
	s_waitcnt lgkmcnt(0)
	global_store_dwordx2 v[2:3], v[4:5], off
	s_branch .LBB219_54
.LBB219_57:
	s_endpgm
	.section	.rodata,"a",@progbits
	.p2align	6, 0x0
	.amdhsa_kernel _ZN9rocsparseL23csrgemm_fill_wf_per_rowILj256ELj16ELj32ELj137Eli21rocsparse_complex_numIfEEEvT4_S3_PKS3_S5_NS_24const_host_device_scalarIT5_EEPKT3_S5_PKS7_SB_S5_SD_S8_SB_S5_SD_SB_PS3_PS7_21rocsparse_index_base_SG_SG_SG_bbb
		.amdhsa_group_segment_fixed_size 6144
		.amdhsa_private_segment_fixed_size 0
		.amdhsa_kernarg_size 156
		.amdhsa_user_sgpr_count 6
		.amdhsa_user_sgpr_private_segment_buffer 1
		.amdhsa_user_sgpr_dispatch_ptr 0
		.amdhsa_user_sgpr_queue_ptr 0
		.amdhsa_user_sgpr_kernarg_segment_ptr 1
		.amdhsa_user_sgpr_dispatch_id 0
		.amdhsa_user_sgpr_flat_scratch_init 0
		.amdhsa_user_sgpr_kernarg_preload_length 0
		.amdhsa_user_sgpr_kernarg_preload_offset 0
		.amdhsa_user_sgpr_private_segment_size 0
		.amdhsa_uses_dynamic_stack 0
		.amdhsa_system_sgpr_private_segment_wavefront_offset 0
		.amdhsa_system_sgpr_workgroup_id_x 1
		.amdhsa_system_sgpr_workgroup_id_y 0
		.amdhsa_system_sgpr_workgroup_id_z 0
		.amdhsa_system_sgpr_workgroup_info 0
		.amdhsa_system_vgpr_workitem_id 0
		.amdhsa_next_free_vgpr 26
		.amdhsa_next_free_sgpr 56
		.amdhsa_accum_offset 28
		.amdhsa_reserve_vcc 1
		.amdhsa_reserve_flat_scratch 0
		.amdhsa_float_round_mode_32 0
		.amdhsa_float_round_mode_16_64 0
		.amdhsa_float_denorm_mode_32 3
		.amdhsa_float_denorm_mode_16_64 3
		.amdhsa_dx10_clamp 1
		.amdhsa_ieee_mode 1
		.amdhsa_fp16_overflow 0
		.amdhsa_tg_split 0
		.amdhsa_exception_fp_ieee_invalid_op 0
		.amdhsa_exception_fp_denorm_src 0
		.amdhsa_exception_fp_ieee_div_zero 0
		.amdhsa_exception_fp_ieee_overflow 0
		.amdhsa_exception_fp_ieee_underflow 0
		.amdhsa_exception_fp_ieee_inexact 0
		.amdhsa_exception_int_div_zero 0
	.end_amdhsa_kernel
	.section	.text._ZN9rocsparseL23csrgemm_fill_wf_per_rowILj256ELj16ELj32ELj137Eli21rocsparse_complex_numIfEEEvT4_S3_PKS3_S5_NS_24const_host_device_scalarIT5_EEPKT3_S5_PKS7_SB_S5_SD_S8_SB_S5_SD_SB_PS3_PS7_21rocsparse_index_base_SG_SG_SG_bbb,"axG",@progbits,_ZN9rocsparseL23csrgemm_fill_wf_per_rowILj256ELj16ELj32ELj137Eli21rocsparse_complex_numIfEEEvT4_S3_PKS3_S5_NS_24const_host_device_scalarIT5_EEPKT3_S5_PKS7_SB_S5_SD_S8_SB_S5_SD_SB_PS3_PS7_21rocsparse_index_base_SG_SG_SG_bbb,comdat
.Lfunc_end219:
	.size	_ZN9rocsparseL23csrgemm_fill_wf_per_rowILj256ELj16ELj32ELj137Eli21rocsparse_complex_numIfEEEvT4_S3_PKS3_S5_NS_24const_host_device_scalarIT5_EEPKT3_S5_PKS7_SB_S5_SD_S8_SB_S5_SD_SB_PS3_PS7_21rocsparse_index_base_SG_SG_SG_bbb, .Lfunc_end219-_ZN9rocsparseL23csrgemm_fill_wf_per_rowILj256ELj16ELj32ELj137Eli21rocsparse_complex_numIfEEEvT4_S3_PKS3_S5_NS_24const_host_device_scalarIT5_EEPKT3_S5_PKS7_SB_S5_SD_S8_SB_S5_SD_SB_PS3_PS7_21rocsparse_index_base_SG_SG_SG_bbb
                                        ; -- End function
	.section	.AMDGPU.csdata,"",@progbits
; Kernel info:
; codeLenInByte = 2496
; NumSgprs: 60
; NumVgprs: 26
; NumAgprs: 0
; TotalNumVgprs: 26
; ScratchSize: 0
; MemoryBound: 0
; FloatMode: 240
; IeeeMode: 1
; LDSByteSize: 6144 bytes/workgroup (compile time only)
; SGPRBlocks: 7
; VGPRBlocks: 3
; NumSGPRsForWavesPerEU: 60
; NumVGPRsForWavesPerEU: 26
; AccumOffset: 28
; Occupancy: 8
; WaveLimiterHint : 1
; COMPUTE_PGM_RSRC2:SCRATCH_EN: 0
; COMPUTE_PGM_RSRC2:USER_SGPR: 6
; COMPUTE_PGM_RSRC2:TRAP_HANDLER: 0
; COMPUTE_PGM_RSRC2:TGID_X_EN: 1
; COMPUTE_PGM_RSRC2:TGID_Y_EN: 0
; COMPUTE_PGM_RSRC2:TGID_Z_EN: 0
; COMPUTE_PGM_RSRC2:TIDIG_COMP_CNT: 0
; COMPUTE_PGM_RSRC3_GFX90A:ACCUM_OFFSET: 6
; COMPUTE_PGM_RSRC3_GFX90A:TG_SPLIT: 0
	.section	.text._ZN9rocsparseL26csrgemm_fill_block_per_rowILj128ELj16ELj256ELj137ELj32Eli21rocsparse_complex_numIfEEEvT5_PKS3_S5_NS_24const_host_device_scalarIT6_EEPKT4_S5_PKS7_SB_S5_SD_S8_SB_S5_SD_SB_PS3_PS7_21rocsparse_index_base_SG_SG_SG_bbb,"axG",@progbits,_ZN9rocsparseL26csrgemm_fill_block_per_rowILj128ELj16ELj256ELj137ELj32Eli21rocsparse_complex_numIfEEEvT5_PKS3_S5_NS_24const_host_device_scalarIT6_EEPKT4_S5_PKS7_SB_S5_SD_S8_SB_S5_SD_SB_PS3_PS7_21rocsparse_index_base_SG_SG_SG_bbb,comdat
	.globl	_ZN9rocsparseL26csrgemm_fill_block_per_rowILj128ELj16ELj256ELj137ELj32Eli21rocsparse_complex_numIfEEEvT5_PKS3_S5_NS_24const_host_device_scalarIT6_EEPKT4_S5_PKS7_SB_S5_SD_S8_SB_S5_SD_SB_PS3_PS7_21rocsparse_index_base_SG_SG_SG_bbb ; -- Begin function _ZN9rocsparseL26csrgemm_fill_block_per_rowILj128ELj16ELj256ELj137ELj32Eli21rocsparse_complex_numIfEEEvT5_PKS3_S5_NS_24const_host_device_scalarIT6_EEPKT4_S5_PKS7_SB_S5_SD_S8_SB_S5_SD_SB_PS3_PS7_21rocsparse_index_base_SG_SG_SG_bbb
	.p2align	8
	.type	_ZN9rocsparseL26csrgemm_fill_block_per_rowILj128ELj16ELj256ELj137ELj32Eli21rocsparse_complex_numIfEEEvT5_PKS3_S5_NS_24const_host_device_scalarIT6_EEPKT4_S5_PKS7_SB_S5_SD_S8_SB_S5_SD_SB_PS3_PS7_21rocsparse_index_base_SG_SG_SG_bbb,@function
_ZN9rocsparseL26csrgemm_fill_block_per_rowILj128ELj16ELj256ELj137ELj32Eli21rocsparse_complex_numIfEEEvT5_PKS3_S5_NS_24const_host_device_scalarIT6_EEPKT4_S5_PKS7_SB_S5_SD_S8_SB_S5_SD_SB_PS3_PS7_21rocsparse_index_base_SG_SG_SG_bbb: ; @_ZN9rocsparseL26csrgemm_fill_block_per_rowILj128ELj16ELj256ELj137ELj32Eli21rocsparse_complex_numIfEEEvT5_PKS3_S5_NS_24const_host_device_scalarIT6_EEPKT4_S5_PKS7_SB_S5_SD_S8_SB_S5_SD_SB_PS3_PS7_21rocsparse_index_base_SG_SG_SG_bbb
; %bb.0:
	s_load_dwordx8 s[8:15], s[4:5], 0x60
	s_load_dwordx8 s[16:23], s[4:5], 0x40
	s_load_dword s7, s[4:5], 0x98
	s_load_dwordx4 s[40:43], s[4:5], 0x8
	s_load_dwordx8 s[24:31], s[4:5], 0x20
	s_load_dwordx2 s[34:35], s[4:5], 0x80
	s_load_dwordx4 s[36:39], s[4:5], 0x88
	s_waitcnt lgkmcnt(0)
	s_bitcmp1_b32 s7, 0
	s_cselect_b64 s[46:47], -1, 0
	s_bitcmp1_b32 s7, 16
	s_cselect_b64 s[0:1], -1, 0
	s_xor_b64 s[0:1], s[0:1], -1
	v_cndmask_b32_e64 v1, 0, 1, s[0:1]
	s_mov_b32 s3, 0
	s_bitcmp0_b32 s7, 0
	v_cmp_ne_u32_e64 s[0:1], 1, v1
	s_mov_b32 s60, 0
	s_cbranch_scc1 .LBB220_5
; %bb.1:
	s_load_dwordx2 s[2:3], s[4:5], 0x18
	s_and_b64 vcc, exec, s[0:1]
	s_waitcnt lgkmcnt(0)
	s_mov_b32 s60, s2
	s_cbranch_vccnz .LBB220_3
; %bb.2:
	s_load_dword s60, s[2:3], 0x0
.LBB220_3:
	s_and_b64 vcc, exec, s[0:1]
	s_cbranch_vccnz .LBB220_5
; %bb.4:
	s_load_dword s3, s[2:3], 0x4
.LBB220_5:
	s_bitcmp1_b32 s7, 8
	s_cselect_b64 s[44:45], -1, 0
	s_bfe_u32 s2, s7, 0x10008
	s_mov_b32 s59, 0
	s_cmp_eq_u32 s2, 0
	s_mov_b32 s58, 0
	s_cbranch_scc1 .LBB220_11
; %bb.6:
	s_and_b64 vcc, exec, s[0:1]
	s_mov_b32 s58, s20
	s_cbranch_vccnz .LBB220_8
; %bb.7:
	s_load_dword s58, s[20:21], 0x0
.LBB220_8:
	s_and_b64 vcc, exec, s[0:1]
	s_cbranch_vccnz .LBB220_10
; %bb.9:
	s_load_dword s21, s[20:21], 0x4
.LBB220_10:
	s_waitcnt lgkmcnt(0)
	s_mov_b32 s59, s21
.LBB220_11:
	s_load_dword s33, s[4:5], 0x0
	s_movk_i32 s0, 0x100
	v_cmp_gt_u32_e64 s[0:1], s0, v0
	v_lshl_add_u32 v8, v0, 3, 0
	v_lshl_add_u32 v1, v0, 2, 0
	s_and_saveexec_b64 s[4:5], s[0:1]
	s_cbranch_execz .LBB220_14
; %bb.12:
	v_add_u32_e32 v2, 0x400, v8
	v_or_b32_e32 v3, 0xffffff80, v0
	v_lshl_add_u32 v4, v0, 2, 0
	s_mov_b64 s[20:21], 0
	s_waitcnt lgkmcnt(0)
	v_mov_b32_e32 v5, s33
	v_mov_b32_e32 v6, 0
.LBB220_13:                             ; =>This Inner Loop Header: Depth=1
	v_add_co_u32_e32 v3, vcc, 0x80, v3
	s_xor_b64 s[48:49], vcc, -1
	s_and_b64 s[48:49], exec, s[48:49]
	ds_write_b32 v4, v5
	ds_write2_b32 v2, v6, v6 offset1:1
	v_add_u32_e32 v2, 0x400, v2
	s_or_b64 s[20:21], s[48:49], s[20:21]
	v_add_u32_e32 v4, 0x200, v4
	s_andn2_b64 exec, exec, s[20:21]
	s_cbranch_execnz .LBB220_13
.LBB220_14:
	s_or_b64 exec, exec, s[4:5]
	s_waitcnt lgkmcnt(0)
	s_barrier
	s_load_dword s2, s[40:41], 0x0
	s_mov_b32 s5, 0
	s_waitcnt lgkmcnt(0)
	s_add_i32 s4, s2, s6
	s_lshl_b64 s[4:5], s[4:5], 2
	s_add_u32 s4, s42, s4
	s_addc_u32 s5, s43, s5
	s_load_dword s20, s[4:5], 0x0
	s_and_b64 vcc, exec, s[46:47]
	s_cbranch_vccz .LBB220_34
; %bb.15:
	s_waitcnt lgkmcnt(0)
	s_ashr_i32 s21, s20, 31
	s_lshl_b64 s[4:5], s[20:21], 3
	s_add_u32 s4, s24, s4
	s_addc_u32 s5, s25, s5
	s_load_dwordx4 s[40:43], s[4:5], 0x0
	v_lshrrev_b32_e32 v2, 4, v0
	v_subrev_co_u32_e32 v2, vcc, s36, v2
	v_subb_co_u32_e64 v3, s[6:7], 0, 0, vcc
	s_waitcnt lgkmcnt(0)
	s_sub_u32 s4, s42, s36
	v_mov_b32_e32 v4, s41
	v_add_co_u32_e32 v2, vcc, s40, v2
	s_subb_u32 s5, s43, 0
	v_addc_co_u32_e32 v3, vcc, v4, v3, vcc
	v_cmp_gt_i64_e32 vcc, s[4:5], v[2:3]
	s_and_saveexec_b64 s[6:7], vcc
	s_cbranch_execz .LBB220_33
; %bb.16:
	v_and_b32_e32 v4, 15, v0
	v_subrev_co_u32_e32 v9, vcc, s37, v4
	s_mov_b32 s21, 0
	v_subb_co_u32_e64 v10, s[24:25], 0, 0, vcc
	s_mov_b32 s2, s37
	s_mov_b64 s[24:25], 0
	v_mov_b32_e32 v11, s27
	v_mov_b32_e32 v12, s31
	v_mov_b32_e32 v13, s21
	s_movk_i32 s21, 0x89
	s_branch .LBB220_18
.LBB220_17:                             ;   in Loop: Header=BB220_18 Depth=1
	s_or_b64 exec, exec, s[40:41]
	v_add_co_u32_e32 v2, vcc, 8, v2
	v_addc_co_u32_e32 v3, vcc, 0, v3, vcc
	v_cmp_le_i64_e32 vcc, s[4:5], v[2:3]
	s_or_b64 s[24:25], vcc, s[24:25]
	s_andn2_b64 exec, exec, s[24:25]
	s_cbranch_execz .LBB220_33
.LBB220_18:                             ; =>This Loop Header: Depth=1
                                        ;     Child Loop BB220_21 Depth 2
                                        ;       Child Loop BB220_23 Depth 3
	v_lshlrev_b64 v[4:5], 2, v[2:3]
	v_add_co_u32_e32 v4, vcc, s26, v4
	v_addc_co_u32_e32 v5, vcc, v11, v5, vcc
	global_load_dword v4, v[4:5], off
	s_waitcnt vmcnt(0)
	v_subrev_u32_e32 v4, s36, v4
	v_ashrrev_i32_e32 v5, 31, v4
	v_lshlrev_b64 v[4:5], 3, v[4:5]
	v_add_co_u32_e32 v4, vcc, s30, v4
	v_addc_co_u32_e32 v5, vcc, v12, v5, vcc
	global_load_dwordx4 v[14:17], v[4:5], off
	s_waitcnt vmcnt(0)
	v_subrev_co_u32_e32 v4, vcc, s2, v16
	v_subb_co_u32_e32 v5, vcc, v17, v13, vcc
	v_add_co_u32_e32 v6, vcc, v14, v9
	v_addc_co_u32_e32 v7, vcc, v15, v10, vcc
	v_cmp_lt_i64_e32 vcc, v[6:7], v[4:5]
	s_and_saveexec_b64 s[40:41], vcc
	s_cbranch_execz .LBB220_17
; %bb.19:                               ;   in Loop: Header=BB220_18 Depth=1
	v_lshlrev_b64 v[14:15], 3, v[2:3]
	v_mov_b32_e32 v16, s29
	v_add_co_u32_e32 v14, vcc, s28, v14
	v_addc_co_u32_e32 v15, vcc, v16, v15, vcc
	global_load_dwordx2 v[16:17], v[14:15], off
	s_mov_b64 s[42:43], 0
	s_waitcnt vmcnt(0)
	v_mul_f32_e64 v14, v17, -s3
	v_mul_f32_e32 v15, s60, v17
	v_fmac_f32_e32 v14, s60, v16
	v_fmac_f32_e32 v15, s3, v16
	s_branch .LBB220_21
.LBB220_20:                             ;   in Loop: Header=BB220_21 Depth=2
	s_or_b64 exec, exec, s[46:47]
	v_add_co_u32_e32 v6, vcc, 16, v6
	v_addc_co_u32_e32 v7, vcc, 0, v7, vcc
	v_cmp_ge_i64_e32 vcc, v[6:7], v[4:5]
	s_or_b64 s[42:43], vcc, s[42:43]
	s_andn2_b64 exec, exec, s[42:43]
	s_cbranch_execz .LBB220_17
.LBB220_21:                             ;   Parent Loop BB220_18 Depth=1
                                        ; =>  This Loop Header: Depth=2
                                        ;       Child Loop BB220_23 Depth 3
	v_lshlrev_b64 v[16:17], 2, v[6:7]
	v_mov_b32_e32 v18, s17
	v_add_co_u32_e32 v16, vcc, s16, v16
	v_addc_co_u32_e32 v17, vcc, v18, v17, vcc
	global_load_dword v18, v[16:17], off
	v_lshlrev_b64 v[16:17], 3, v[6:7]
	v_mov_b32_e32 v19, s19
	v_add_co_u32_e32 v16, vcc, s18, v16
	v_addc_co_u32_e32 v17, vcc, v19, v17, vcc
	global_load_dwordx2 v[20:21], v[16:17], off
	s_mov_b64 s[46:47], 0
	s_waitcnt vmcnt(1)
	v_subrev_u32_e32 v16, s37, v18
	v_mul_lo_u32 v19, v16, s21
	v_and_b32_e32 v19, 0xff, v19
	s_waitcnt vmcnt(0)
	v_mul_f32_e64 v17, v21, -v15
	v_mul_f32_e32 v18, v14, v21
	v_fmac_f32_e32 v17, v14, v20
	v_fmac_f32_e32 v18, v15, v20
	s_branch .LBB220_23
.LBB220_22:                             ;   in Loop: Header=BB220_23 Depth=3
	s_or_b64 exec, exec, s[48:49]
	s_xor_b64 s[48:49], s[50:51], -1
	s_and_b64 s[48:49], exec, s[48:49]
	s_or_b64 s[46:47], s[48:49], s[46:47]
	s_andn2_b64 exec, exec, s[46:47]
	s_cbranch_execz .LBB220_20
.LBB220_23:                             ;   Parent Loop BB220_18 Depth=1
                                        ;     Parent Loop BB220_21 Depth=2
                                        ; =>    This Inner Loop Header: Depth=3
	v_lshl_add_u32 v20, v19, 2, 0
	ds_read_b32 v21, v20
                                        ; implicit-def: $sgpr50_sgpr51
	s_waitcnt lgkmcnt(0)
	v_cmp_ne_u32_e32 vcc, v21, v16
	s_and_saveexec_b64 s[48:49], vcc
	s_xor_b64 s[48:49], exec, s[48:49]
	s_cbranch_execz .LBB220_31
; %bb.24:                               ;   in Loop: Header=BB220_23 Depth=3
	v_cmp_ne_u32_e32 vcc, s33, v21
                                        ; implicit-def: $sgpr50_sgpr51
	s_and_saveexec_b64 s[52:53], vcc
	s_xor_b64 s[52:53], exec, s[52:53]
; %bb.25:                               ;   in Loop: Header=BB220_23 Depth=3
	v_add_u32_e32 v19, 1, v19
	v_and_b32_e32 v19, 0xff, v19
	s_mov_b64 s[50:51], -1
                                        ; implicit-def: $vgpr20
; %bb.26:                               ;   in Loop: Header=BB220_23 Depth=3
	s_andn2_saveexec_b64 s[52:53], s[52:53]
	s_cbranch_execz .LBB220_30
; %bb.27:                               ;   in Loop: Header=BB220_23 Depth=3
	v_mov_b32_e32 v21, s33
	ds_cmpst_rtn_b32 v21, v20, v21, v16
	s_mov_b64 s[54:55], -1
	s_waitcnt lgkmcnt(0)
	v_cmp_eq_u32_e32 vcc, s33, v21
	s_and_saveexec_b64 s[56:57], vcc
	s_cbranch_execz .LBB220_29
; %bb.28:                               ;   in Loop: Header=BB220_23 Depth=3
	v_lshl_add_u32 v20, v19, 2, v20
	ds_add_f32 v20, v17 offset:1024
	ds_add_f32 v20, v18 offset:1028
	s_xor_b64 s[54:55], exec, -1
.LBB220_29:                             ;   in Loop: Header=BB220_23 Depth=3
	s_or_b64 exec, exec, s[56:57]
	s_andn2_b64 s[50:51], s[50:51], exec
	s_and_b64 s[54:55], s[54:55], exec
	s_or_b64 s[50:51], s[50:51], s[54:55]
.LBB220_30:                             ;   in Loop: Header=BB220_23 Depth=3
	s_or_b64 exec, exec, s[52:53]
	s_and_b64 s[50:51], s[50:51], exec
                                        ; implicit-def: $vgpr20
.LBB220_31:                             ;   in Loop: Header=BB220_23 Depth=3
	s_andn2_saveexec_b64 s[48:49], s[48:49]
	s_cbranch_execz .LBB220_22
; %bb.32:                               ;   in Loop: Header=BB220_23 Depth=3
	v_lshl_add_u32 v20, v19, 2, v20
	ds_add_f32 v20, v17 offset:1024
	ds_add_f32 v20, v18 offset:1028
	s_andn2_b64 s[50:51], s[50:51], exec
	s_branch .LBB220_22
.LBB220_33:
	s_or_b64 exec, exec, s[6:7]
.LBB220_34:
	s_andn2_b64 vcc, exec, s[44:45]
	s_cbranch_vccnz .LBB220_51
; %bb.35:
	s_waitcnt lgkmcnt(0)
	s_ashr_i32 s21, s20, 31
	s_lshl_b64 s[2:3], s[20:21], 3
	s_add_u32 s2, s22, s2
	s_addc_u32 s3, s23, s3
	s_load_dwordx4 s[4:7], s[2:3], 0x0
	v_subrev_co_u32_e32 v2, vcc, s39, v0
	v_subb_co_u32_e64 v3, s[2:3], 0, 0, vcc
	s_waitcnt lgkmcnt(0)
	s_sub_u32 s2, s6, s39
	v_mov_b32_e32 v4, s5
	v_add_co_u32_e32 v2, vcc, s4, v2
	s_subb_u32 s3, s7, 0
	v_addc_co_u32_e32 v3, vcc, v4, v3, vcc
	v_cmp_gt_i64_e32 vcc, s[2:3], v[2:3]
	s_and_saveexec_b64 s[4:5], vcc
	s_cbranch_execz .LBB220_50
; %bb.36:
	s_mov_b64 s[6:7], 0
	v_mov_b32_e32 v4, s9
	v_mov_b32_e32 v5, s11
	s_movk_i32 s9, 0x89
	s_branch .LBB220_38
.LBB220_37:                             ;   in Loop: Header=BB220_38 Depth=1
	s_or_b64 exec, exec, s[16:17]
	v_add_co_u32_e32 v2, vcc, 0x80, v2
	v_addc_co_u32_e32 v3, vcc, 0, v3, vcc
	v_cmp_le_i64_e32 vcc, s[2:3], v[2:3]
	s_or_b64 s[6:7], vcc, s[6:7]
	s_andn2_b64 exec, exec, s[6:7]
	s_cbranch_execz .LBB220_50
.LBB220_38:                             ; =>This Loop Header: Depth=1
                                        ;     Child Loop BB220_40 Depth 2
	v_lshlrev_b64 v[6:7], 2, v[2:3]
	v_add_co_u32_e32 v6, vcc, s8, v6
	v_addc_co_u32_e32 v7, vcc, v4, v7, vcc
	global_load_dword v9, v[6:7], off
	v_lshlrev_b64 v[6:7], 3, v[2:3]
	v_add_co_u32_e32 v6, vcc, s10, v6
	v_addc_co_u32_e32 v7, vcc, v5, v7, vcc
	global_load_dwordx2 v[10:11], v[6:7], off
	s_mov_b64 s[16:17], 0
	s_waitcnt vmcnt(1)
	v_subrev_u32_e32 v6, s39, v9
	s_waitcnt vmcnt(0)
	v_mul_f32_e64 v7, v11, -s59
	v_mul_f32_e32 v9, s58, v11
	v_fmac_f32_e32 v7, s58, v10
	v_fmac_f32_e32 v9, s59, v10
	v_mul_lo_u32 v10, v6, s9
	v_and_b32_e32 v10, 0xff, v10
	s_branch .LBB220_40
.LBB220_39:                             ;   in Loop: Header=BB220_40 Depth=2
	s_or_b64 exec, exec, s[18:19]
	s_xor_b64 s[18:19], s[22:23], -1
	s_and_b64 s[18:19], exec, s[18:19]
	s_or_b64 s[16:17], s[18:19], s[16:17]
	s_andn2_b64 exec, exec, s[16:17]
	s_cbranch_execz .LBB220_37
.LBB220_40:                             ;   Parent Loop BB220_38 Depth=1
                                        ; =>  This Inner Loop Header: Depth=2
	v_lshl_add_u32 v11, v10, 2, 0
	ds_read_b32 v12, v11
                                        ; implicit-def: $sgpr22_sgpr23
	s_waitcnt lgkmcnt(0)
	v_cmp_ne_u32_e32 vcc, v12, v6
	s_and_saveexec_b64 s[18:19], vcc
	s_xor_b64 s[18:19], exec, s[18:19]
	s_cbranch_execz .LBB220_48
; %bb.41:                               ;   in Loop: Header=BB220_40 Depth=2
	v_cmp_ne_u32_e32 vcc, s33, v12
                                        ; implicit-def: $sgpr22_sgpr23
	s_and_saveexec_b64 s[24:25], vcc
	s_xor_b64 s[24:25], exec, s[24:25]
; %bb.42:                               ;   in Loop: Header=BB220_40 Depth=2
	v_add_u32_e32 v10, 1, v10
	v_and_b32_e32 v10, 0xff, v10
	s_mov_b64 s[22:23], -1
                                        ; implicit-def: $vgpr11
; %bb.43:                               ;   in Loop: Header=BB220_40 Depth=2
	s_andn2_saveexec_b64 s[24:25], s[24:25]
	s_cbranch_execz .LBB220_47
; %bb.44:                               ;   in Loop: Header=BB220_40 Depth=2
	v_mov_b32_e32 v12, s33
	ds_cmpst_rtn_b32 v12, v11, v12, v6
	s_mov_b64 s[26:27], -1
	s_waitcnt lgkmcnt(0)
	v_cmp_eq_u32_e32 vcc, s33, v12
	s_and_saveexec_b64 s[28:29], vcc
	s_cbranch_execz .LBB220_46
; %bb.45:                               ;   in Loop: Header=BB220_40 Depth=2
	v_lshl_add_u32 v11, v10, 2, v11
	ds_add_f32 v11, v7 offset:1024
	ds_add_f32 v11, v9 offset:1028
	s_xor_b64 s[26:27], exec, -1
.LBB220_46:                             ;   in Loop: Header=BB220_40 Depth=2
	s_or_b64 exec, exec, s[28:29]
	s_andn2_b64 s[22:23], s[22:23], exec
	s_and_b64 s[26:27], s[26:27], exec
	s_or_b64 s[22:23], s[22:23], s[26:27]
.LBB220_47:                             ;   in Loop: Header=BB220_40 Depth=2
	s_or_b64 exec, exec, s[24:25]
	s_and_b64 s[22:23], s[22:23], exec
                                        ; implicit-def: $vgpr11
.LBB220_48:                             ;   in Loop: Header=BB220_40 Depth=2
	s_andn2_saveexec_b64 s[18:19], s[18:19]
	s_cbranch_execz .LBB220_39
; %bb.49:                               ;   in Loop: Header=BB220_40 Depth=2
	v_lshl_add_u32 v11, v10, 2, v11
	ds_add_f32 v11, v7 offset:1024
	ds_add_f32 v11, v9 offset:1028
	s_andn2_b64 s[22:23], s[22:23], exec
	s_branch .LBB220_39
.LBB220_50:
	s_or_b64 exec, exec, s[4:5]
.LBB220_51:
	s_waitcnt lgkmcnt(0)
	s_barrier
	s_and_saveexec_b64 s[8:9], s[0:1]
	s_cbranch_execz .LBB220_64
; %bb.52:
	v_mbcnt_lo_u32_b32 v2, -1, 0
	v_mbcnt_hi_u32_b32 v2, -1, v2
	v_lshrrev_b32_e32 v4, 3, v0
	v_sub_u32_e32 v2, 63, v2
	v_and_b32_e32 v4, 12, v4
	s_movk_i32 s0, 0x7f
	s_movk_i32 s6, 0x5f
	v_mov_b32_e32 v6, 0
	v_lshrrev_b64 v[2:3], v2, -1
	v_add_u32_e32 v7, 0, v4
	v_cmp_eq_u32_e64 s[0:1], s0, v0
	v_cmp_lt_u32_e64 s[2:3], 31, v0
	v_cmp_lt_u32_e64 s[4:5], 63, v0
	;; [unrolled: 1-line block ×3, first 2 shown]
	v_add_u32_e32 v8, 0x400, v8
	v_or_b32_e32 v9, 0xffffff80, v0
	s_mov_b64 s[10:11], 0
	v_mov_b32_e32 v10, 0
	s_branch .LBB220_54
.LBB220_53:                             ;   in Loop: Header=BB220_54 Depth=1
	s_or_b64 exec, exec, s[16:17]
	s_waitcnt lgkmcnt(0)
	s_barrier
	ds_read_b32 v4, v6 offset:3084
	v_add_co_u32_e32 v9, vcc, 0x80, v9
	s_xor_b64 s[16:17], vcc, -1
	s_and_b64 s[16:17], exec, s[16:17]
	v_add_u32_e32 v8, 0x400, v8
	s_waitcnt lgkmcnt(0)
	v_add_u32_e32 v10, v4, v10
	s_or_b64 s[10:11], s[16:17], s[10:11]
	v_add_u32_e32 v1, 0x200, v1
	s_andn2_b64 exec, exec, s[10:11]
	s_cbranch_execz .LBB220_64
.LBB220_54:                             ; =>This Inner Loop Header: Depth=1
	ds_read_b32 v11, v1
	ds_read2_b32 v[4:5], v8 offset1:1
	s_waitcnt lgkmcnt(0)
	s_barrier
	v_cmp_gt_i32_e32 vcc, s33, v11
	v_and_b32_e32 v13, vcc_lo, v2
	s_bcnt1_i32_b64 s16, vcc
	v_and_b32_e32 v12, vcc_hi, v3
	v_bcnt_u32_b32 v13, v13, 0
	v_bcnt_u32_b32 v12, v12, v13
	v_mov_b32_e32 v13, s16
	ds_write_b32 v7, v13 offset:3072
	s_waitcnt lgkmcnt(0)
	s_barrier
	s_and_saveexec_b64 s[16:17], s[2:3]
	s_cbranch_execnz .LBB220_59
; %bb.55:                               ;   in Loop: Header=BB220_54 Depth=1
	s_or_b64 exec, exec, s[16:17]
	s_and_saveexec_b64 s[16:17], s[4:5]
	s_cbranch_execnz .LBB220_60
.LBB220_56:                             ;   in Loop: Header=BB220_54 Depth=1
	s_or_b64 exec, exec, s[16:17]
	s_and_saveexec_b64 s[16:17], s[6:7]
	s_cbranch_execnz .LBB220_61
.LBB220_57:                             ;   in Loop: Header=BB220_54 Depth=1
	s_or_b64 exec, exec, s[16:17]
	s_and_saveexec_b64 s[16:17], vcc
	s_cbranch_execnz .LBB220_62
.LBB220_58:                             ;   in Loop: Header=BB220_54 Depth=1
	s_or_b64 exec, exec, s[16:17]
	s_and_saveexec_b64 s[16:17], s[0:1]
	s_cbranch_execz .LBB220_53
	s_branch .LBB220_63
.LBB220_59:                             ;   in Loop: Header=BB220_54 Depth=1
	ds_read_b32 v13, v6 offset:3072
	s_waitcnt lgkmcnt(0)
	v_add_u32_e32 v12, v13, v12
	s_or_b64 exec, exec, s[16:17]
	s_and_saveexec_b64 s[16:17], s[4:5]
	s_cbranch_execz .LBB220_56
.LBB220_60:                             ;   in Loop: Header=BB220_54 Depth=1
	ds_read_b32 v13, v6 offset:3076
	s_waitcnt lgkmcnt(0)
	v_add_u32_e32 v12, v13, v12
	s_or_b64 exec, exec, s[16:17]
	s_and_saveexec_b64 s[16:17], s[6:7]
	s_cbranch_execz .LBB220_57
.LBB220_61:                             ;   in Loop: Header=BB220_54 Depth=1
	ds_read_b32 v13, v6 offset:3080
	s_waitcnt lgkmcnt(0)
	v_add_u32_e32 v12, v13, v12
	s_or_b64 exec, exec, s[16:17]
	s_and_saveexec_b64 s[16:17], vcc
	s_cbranch_execz .LBB220_58
.LBB220_62:                             ;   in Loop: Header=BB220_54 Depth=1
	v_add3_u32 v13, v10, -1, v12
	v_lshl_add_u32 v14, v13, 2, 0
	v_lshl_add_u32 v13, v13, 3, 0
	v_add_u32_e32 v13, 0x400, v13
	ds_write_b32 v14, v11
	ds_write2_b32 v13, v4, v5 offset1:1
	s_or_b64 exec, exec, s[16:17]
	s_and_saveexec_b64 s[16:17], s[0:1]
	s_cbranch_execz .LBB220_53
.LBB220_63:                             ;   in Loop: Header=BB220_54 Depth=1
	ds_write_b32 v6, v12 offset:3084
	s_branch .LBB220_53
.LBB220_64:
	s_or_b64 exec, exec, s[8:9]
	s_ashr_i32 s21, s20, 31
	s_lshl_b64 s[0:1], s[20:21], 3
	s_add_u32 s0, s12, s0
	s_addc_u32 s1, s13, s1
	s_load_dwordx4 s[0:3], s[0:1], 0x0
	s_waitcnt lgkmcnt(0)
	s_sub_i32 s8, s2, s0
	v_cmp_gt_i32_e32 vcc, s8, v0
	s_and_saveexec_b64 s[4:5], vcc
	s_cbranch_execz .LBB220_74
; %bb.65:
	s_sub_u32 s4, s0, s38
	s_subb_u32 s5, s1, 0
	s_and_b32 s9, s8, 7
	s_sub_i32 s0, s0, s2
	s_cmp_lt_u32 s0, -7
	s_cselect_b64 s[0:1], -1, 0
	s_and_b32 s10, s8, -8
	s_cmp_lg_u32 s9, 0
	v_cndmask_b32_e64 v1, 0, 1, s[0:1]
	s_cselect_b64 s[2:3], -1, 0
	v_cmp_ne_u32_e64 s[0:1], 1, v1
	v_cndmask_b32_e64 v1, 0, 1, s[2:3]
	s_mov_b64 s[6:7], 0
	s_movk_i32 s11, 0x400
	v_cmp_ne_u32_e64 s[2:3], 1, v1
	s_branch .LBB220_67
.LBB220_66:                             ;   in Loop: Header=BB220_67 Depth=1
	v_lshlrev_b64 v[6:7], 2, v[4:5]
	v_mov_b32_e32 v8, s15
	v_add_co_u32_e32 v6, vcc, s14, v6
	s_waitcnt lgkmcnt(1)
	v_add_u32_e32 v1, s38, v1
	v_addc_co_u32_e32 v7, vcc, v8, v7, vcc
	v_lshlrev_b64 v[4:5], 3, v[4:5]
	global_store_dword v[6:7], v1, off
	v_mov_b32_e32 v1, s35
	v_add_co_u32_e32 v4, vcc, s34, v4
	v_addc_co_u32_e32 v5, vcc, v1, v5, vcc
	v_add_u32_e32 v0, 0x80, v0
	v_cmp_le_i32_e32 vcc, s8, v0
	s_or_b64 s[6:7], vcc, s[6:7]
	s_waitcnt lgkmcnt(0)
	global_store_dwordx2 v[4:5], v[2:3], off
	s_andn2_b64 exec, exec, s[6:7]
	s_cbranch_execz .LBB220_74
.LBB220_67:                             ; =>This Loop Header: Depth=1
                                        ;     Child Loop BB220_69 Depth 2
                                        ;     Child Loop BB220_73 Depth 2
	v_lshlrev_b32_e32 v1, 2, v0
	v_add_u32_e32 v2, 0, v1
	v_add3_u32 v3, v2, v1, s11
	ds_read_b32 v1, v2
	ds_read2_b32 v[2:3], v3 offset1:1
	s_and_b64 vcc, exec, s[0:1]
	v_pk_mov_b32 v[4:5], s[4:5], s[4:5] op_sel:[0,1]
	s_mov_b32 s12, 0
	s_cbranch_vccnz .LBB220_71
; %bb.68:                               ;   in Loop: Header=BB220_67 Depth=1
	s_mov_b32 s13, 0
	v_pk_mov_b32 v[4:5], s[4:5], s[4:5] op_sel:[0,1]
.LBB220_69:                             ;   Parent Loop BB220_67 Depth=1
                                        ; =>  This Inner Loop Header: Depth=2
	v_mov_b32_e32 v12, s13
	ds_read2_b32 v[6:7], v12 offset1:1
	ds_read2_b32 v[8:9], v12 offset0:2 offset1:3
	ds_read2_b32 v[10:11], v12 offset0:4 offset1:5
	;; [unrolled: 1-line block ×3, first 2 shown]
	s_add_i32 s12, s12, 8
	s_waitcnt lgkmcnt(3)
	v_cmp_gt_i32_e32 vcc, v1, v6
	v_cndmask_b32_e64 v6, 0, 1, vcc
	v_cmp_gt_i32_e32 vcc, v1, v7
	v_cndmask_b32_e64 v7, 0, 1, vcc
	s_waitcnt lgkmcnt(2)
	v_cmp_gt_i32_e32 vcc, v1, v8
	v_cndmask_b32_e64 v8, 0, 1, vcc
	v_cmp_gt_i32_e32 vcc, v1, v9
	v_cndmask_b32_e64 v9, 0, 1, vcc
	;; [unrolled: 5-line block ×4, first 2 shown]
	v_add_co_u32_e32 v4, vcc, v4, v6
	v_addc_co_u32_e32 v5, vcc, 0, v5, vcc
	v_add_co_u32_e32 v4, vcc, v4, v7
	v_addc_co_u32_e32 v5, vcc, 0, v5, vcc
	;; [unrolled: 2-line block ×7, first 2 shown]
	s_add_i32 s13, s13, 32
	v_add_co_u32_e32 v4, vcc, v4, v13
	s_cmp_eq_u32 s10, s12
	v_addc_co_u32_e32 v5, vcc, 0, v5, vcc
	s_cbranch_scc0 .LBB220_69
; %bb.70:                               ;   in Loop: Header=BB220_67 Depth=1
	s_mov_b32 s12, s10
.LBB220_71:                             ;   in Loop: Header=BB220_67 Depth=1
	s_and_b64 vcc, exec, s[2:3]
	s_cbranch_vccnz .LBB220_66
; %bb.72:                               ;   in Loop: Header=BB220_67 Depth=1
	s_lshl_b32 s12, s12, 2
	s_add_i32 s12, s12, 0
	s_mov_b32 s13, s9
.LBB220_73:                             ;   Parent Loop BB220_67 Depth=1
                                        ; =>  This Inner Loop Header: Depth=2
	v_mov_b32_e32 v6, s12
	ds_read_b32 v6, v6
	s_add_i32 s12, s12, 4
	s_add_i32 s13, s13, -1
	s_cmp_lg_u32 s13, 0
	s_waitcnt lgkmcnt(0)
	v_cmp_gt_i32_e32 vcc, v1, v6
	v_cndmask_b32_e64 v6, 0, 1, vcc
	v_add_co_u32_e32 v4, vcc, v4, v6
	v_addc_co_u32_e32 v5, vcc, 0, v5, vcc
	s_cbranch_scc1 .LBB220_73
	s_branch .LBB220_66
.LBB220_74:
	s_endpgm
	.section	.rodata,"a",@progbits
	.p2align	6, 0x0
	.amdhsa_kernel _ZN9rocsparseL26csrgemm_fill_block_per_rowILj128ELj16ELj256ELj137ELj32Eli21rocsparse_complex_numIfEEEvT5_PKS3_S5_NS_24const_host_device_scalarIT6_EEPKT4_S5_PKS7_SB_S5_SD_S8_SB_S5_SD_SB_PS3_PS7_21rocsparse_index_base_SG_SG_SG_bbb
		.amdhsa_group_segment_fixed_size 0
		.amdhsa_private_segment_fixed_size 0
		.amdhsa_kernarg_size 156
		.amdhsa_user_sgpr_count 6
		.amdhsa_user_sgpr_private_segment_buffer 1
		.amdhsa_user_sgpr_dispatch_ptr 0
		.amdhsa_user_sgpr_queue_ptr 0
		.amdhsa_user_sgpr_kernarg_segment_ptr 1
		.amdhsa_user_sgpr_dispatch_id 0
		.amdhsa_user_sgpr_flat_scratch_init 0
		.amdhsa_user_sgpr_kernarg_preload_length 0
		.amdhsa_user_sgpr_kernarg_preload_offset 0
		.amdhsa_user_sgpr_private_segment_size 0
		.amdhsa_uses_dynamic_stack 0
		.amdhsa_system_sgpr_private_segment_wavefront_offset 0
		.amdhsa_system_sgpr_workgroup_id_x 1
		.amdhsa_system_sgpr_workgroup_id_y 0
		.amdhsa_system_sgpr_workgroup_id_z 0
		.amdhsa_system_sgpr_workgroup_info 0
		.amdhsa_system_vgpr_workitem_id 0
		.amdhsa_next_free_vgpr 22
		.amdhsa_next_free_sgpr 61
		.amdhsa_accum_offset 24
		.amdhsa_reserve_vcc 1
		.amdhsa_reserve_flat_scratch 0
		.amdhsa_float_round_mode_32 0
		.amdhsa_float_round_mode_16_64 0
		.amdhsa_float_denorm_mode_32 3
		.amdhsa_float_denorm_mode_16_64 3
		.amdhsa_dx10_clamp 1
		.amdhsa_ieee_mode 1
		.amdhsa_fp16_overflow 0
		.amdhsa_tg_split 0
		.amdhsa_exception_fp_ieee_invalid_op 0
		.amdhsa_exception_fp_denorm_src 0
		.amdhsa_exception_fp_ieee_div_zero 0
		.amdhsa_exception_fp_ieee_overflow 0
		.amdhsa_exception_fp_ieee_underflow 0
		.amdhsa_exception_fp_ieee_inexact 0
		.amdhsa_exception_int_div_zero 0
	.end_amdhsa_kernel
	.section	.text._ZN9rocsparseL26csrgemm_fill_block_per_rowILj128ELj16ELj256ELj137ELj32Eli21rocsparse_complex_numIfEEEvT5_PKS3_S5_NS_24const_host_device_scalarIT6_EEPKT4_S5_PKS7_SB_S5_SD_S8_SB_S5_SD_SB_PS3_PS7_21rocsparse_index_base_SG_SG_SG_bbb,"axG",@progbits,_ZN9rocsparseL26csrgemm_fill_block_per_rowILj128ELj16ELj256ELj137ELj32Eli21rocsparse_complex_numIfEEEvT5_PKS3_S5_NS_24const_host_device_scalarIT6_EEPKT4_S5_PKS7_SB_S5_SD_S8_SB_S5_SD_SB_PS3_PS7_21rocsparse_index_base_SG_SG_SG_bbb,comdat
.Lfunc_end220:
	.size	_ZN9rocsparseL26csrgemm_fill_block_per_rowILj128ELj16ELj256ELj137ELj32Eli21rocsparse_complex_numIfEEEvT5_PKS3_S5_NS_24const_host_device_scalarIT6_EEPKT4_S5_PKS7_SB_S5_SD_S8_SB_S5_SD_SB_PS3_PS7_21rocsparse_index_base_SG_SG_SG_bbb, .Lfunc_end220-_ZN9rocsparseL26csrgemm_fill_block_per_rowILj128ELj16ELj256ELj137ELj32Eli21rocsparse_complex_numIfEEEvT5_PKS3_S5_NS_24const_host_device_scalarIT6_EEPKT4_S5_PKS7_SB_S5_SD_S8_SB_S5_SD_SB_PS3_PS7_21rocsparse_index_base_SG_SG_SG_bbb
                                        ; -- End function
	.section	.AMDGPU.csdata,"",@progbits
; Kernel info:
; codeLenInByte = 2664
; NumSgprs: 65
; NumVgprs: 22
; NumAgprs: 0
; TotalNumVgprs: 22
; ScratchSize: 0
; MemoryBound: 0
; FloatMode: 240
; IeeeMode: 1
; LDSByteSize: 0 bytes/workgroup (compile time only)
; SGPRBlocks: 8
; VGPRBlocks: 2
; NumSGPRsForWavesPerEU: 65
; NumVGPRsForWavesPerEU: 22
; AccumOffset: 24
; Occupancy: 8
; WaveLimiterHint : 1
; COMPUTE_PGM_RSRC2:SCRATCH_EN: 0
; COMPUTE_PGM_RSRC2:USER_SGPR: 6
; COMPUTE_PGM_RSRC2:TRAP_HANDLER: 0
; COMPUTE_PGM_RSRC2:TGID_X_EN: 1
; COMPUTE_PGM_RSRC2:TGID_Y_EN: 0
; COMPUTE_PGM_RSRC2:TGID_Z_EN: 0
; COMPUTE_PGM_RSRC2:TIDIG_COMP_CNT: 0
; COMPUTE_PGM_RSRC3_GFX90A:ACCUM_OFFSET: 5
; COMPUTE_PGM_RSRC3_GFX90A:TG_SPLIT: 0
	.section	.text._ZN9rocsparseL26csrgemm_fill_block_per_rowILj128ELj16ELj256ELj137ELj64Eli21rocsparse_complex_numIfEEEvT5_PKS3_S5_NS_24const_host_device_scalarIT6_EEPKT4_S5_PKS7_SB_S5_SD_S8_SB_S5_SD_SB_PS3_PS7_21rocsparse_index_base_SG_SG_SG_bbb,"axG",@progbits,_ZN9rocsparseL26csrgemm_fill_block_per_rowILj128ELj16ELj256ELj137ELj64Eli21rocsparse_complex_numIfEEEvT5_PKS3_S5_NS_24const_host_device_scalarIT6_EEPKT4_S5_PKS7_SB_S5_SD_S8_SB_S5_SD_SB_PS3_PS7_21rocsparse_index_base_SG_SG_SG_bbb,comdat
	.globl	_ZN9rocsparseL26csrgemm_fill_block_per_rowILj128ELj16ELj256ELj137ELj64Eli21rocsparse_complex_numIfEEEvT5_PKS3_S5_NS_24const_host_device_scalarIT6_EEPKT4_S5_PKS7_SB_S5_SD_S8_SB_S5_SD_SB_PS3_PS7_21rocsparse_index_base_SG_SG_SG_bbb ; -- Begin function _ZN9rocsparseL26csrgemm_fill_block_per_rowILj128ELj16ELj256ELj137ELj64Eli21rocsparse_complex_numIfEEEvT5_PKS3_S5_NS_24const_host_device_scalarIT6_EEPKT4_S5_PKS7_SB_S5_SD_S8_SB_S5_SD_SB_PS3_PS7_21rocsparse_index_base_SG_SG_SG_bbb
	.p2align	8
	.type	_ZN9rocsparseL26csrgemm_fill_block_per_rowILj128ELj16ELj256ELj137ELj64Eli21rocsparse_complex_numIfEEEvT5_PKS3_S5_NS_24const_host_device_scalarIT6_EEPKT4_S5_PKS7_SB_S5_SD_S8_SB_S5_SD_SB_PS3_PS7_21rocsparse_index_base_SG_SG_SG_bbb,@function
_ZN9rocsparseL26csrgemm_fill_block_per_rowILj128ELj16ELj256ELj137ELj64Eli21rocsparse_complex_numIfEEEvT5_PKS3_S5_NS_24const_host_device_scalarIT6_EEPKT4_S5_PKS7_SB_S5_SD_S8_SB_S5_SD_SB_PS3_PS7_21rocsparse_index_base_SG_SG_SG_bbb: ; @_ZN9rocsparseL26csrgemm_fill_block_per_rowILj128ELj16ELj256ELj137ELj64Eli21rocsparse_complex_numIfEEEvT5_PKS3_S5_NS_24const_host_device_scalarIT6_EEPKT4_S5_PKS7_SB_S5_SD_S8_SB_S5_SD_SB_PS3_PS7_21rocsparse_index_base_SG_SG_SG_bbb
; %bb.0:
	s_load_dwordx8 s[8:15], s[4:5], 0x60
	s_load_dwordx8 s[16:23], s[4:5], 0x40
	s_load_dword s7, s[4:5], 0x98
	s_load_dwordx4 s[40:43], s[4:5], 0x8
	s_load_dwordx8 s[24:31], s[4:5], 0x20
	s_load_dwordx2 s[34:35], s[4:5], 0x80
	s_load_dwordx4 s[36:39], s[4:5], 0x88
	s_waitcnt lgkmcnt(0)
	s_bitcmp1_b32 s7, 0
	s_cselect_b64 s[46:47], -1, 0
	s_bitcmp1_b32 s7, 16
	s_cselect_b64 s[0:1], -1, 0
	s_xor_b64 s[0:1], s[0:1], -1
	v_cndmask_b32_e64 v1, 0, 1, s[0:1]
	s_mov_b32 s3, 0
	s_bitcmp0_b32 s7, 0
	v_cmp_ne_u32_e64 s[0:1], 1, v1
	s_mov_b32 s60, 0
	s_cbranch_scc1 .LBB221_5
; %bb.1:
	s_load_dwordx2 s[2:3], s[4:5], 0x18
	s_and_b64 vcc, exec, s[0:1]
	s_waitcnt lgkmcnt(0)
	s_mov_b32 s60, s2
	s_cbranch_vccnz .LBB221_3
; %bb.2:
	s_load_dword s60, s[2:3], 0x0
.LBB221_3:
	s_and_b64 vcc, exec, s[0:1]
	s_cbranch_vccnz .LBB221_5
; %bb.4:
	s_load_dword s3, s[2:3], 0x4
.LBB221_5:
	s_bitcmp1_b32 s7, 8
	s_cselect_b64 s[44:45], -1, 0
	s_bfe_u32 s2, s7, 0x10008
	s_mov_b32 s59, 0
	s_cmp_eq_u32 s2, 0
	s_mov_b32 s58, 0
	s_cbranch_scc1 .LBB221_11
; %bb.6:
	s_and_b64 vcc, exec, s[0:1]
	s_mov_b32 s58, s20
	s_cbranch_vccnz .LBB221_8
; %bb.7:
	s_load_dword s58, s[20:21], 0x0
.LBB221_8:
	s_and_b64 vcc, exec, s[0:1]
	s_cbranch_vccnz .LBB221_10
; %bb.9:
	s_load_dword s21, s[20:21], 0x4
.LBB221_10:
	s_waitcnt lgkmcnt(0)
	s_mov_b32 s59, s21
.LBB221_11:
	s_load_dword s33, s[4:5], 0x0
	s_movk_i32 s0, 0x100
	v_cmp_gt_u32_e64 s[0:1], s0, v0
	v_lshl_add_u32 v8, v0, 3, 0
	v_lshl_add_u32 v1, v0, 2, 0
	s_and_saveexec_b64 s[4:5], s[0:1]
	s_cbranch_execz .LBB221_14
; %bb.12:
	v_add_u32_e32 v2, 0x400, v8
	v_or_b32_e32 v3, 0xffffff80, v0
	v_lshl_add_u32 v4, v0, 2, 0
	s_mov_b64 s[20:21], 0
	s_waitcnt lgkmcnt(0)
	v_mov_b32_e32 v5, s33
	v_mov_b32_e32 v6, 0
.LBB221_13:                             ; =>This Inner Loop Header: Depth=1
	v_add_co_u32_e32 v3, vcc, 0x80, v3
	s_xor_b64 s[48:49], vcc, -1
	s_and_b64 s[48:49], exec, s[48:49]
	ds_write_b32 v4, v5
	ds_write2_b32 v2, v6, v6 offset1:1
	v_add_u32_e32 v2, 0x400, v2
	s_or_b64 s[20:21], s[48:49], s[20:21]
	v_add_u32_e32 v4, 0x200, v4
	s_andn2_b64 exec, exec, s[20:21]
	s_cbranch_execnz .LBB221_13
.LBB221_14:
	s_or_b64 exec, exec, s[4:5]
	s_waitcnt lgkmcnt(0)
	s_barrier
	s_load_dword s2, s[40:41], 0x0
	s_mov_b32 s5, 0
	v_lshrrev_b32_e32 v9, 4, v0
	s_waitcnt lgkmcnt(0)
	s_add_i32 s4, s2, s6
	s_lshl_b64 s[4:5], s[4:5], 2
	s_add_u32 s4, s42, s4
	s_addc_u32 s5, s43, s5
	s_load_dword s4, s[4:5], 0x0
	s_and_b64 vcc, exec, s[46:47]
	s_cbranch_vccz .LBB221_34
; %bb.15:
	s_waitcnt lgkmcnt(0)
	s_ashr_i32 s5, s4, 31
	s_lshl_b64 s[6:7], s[4:5], 3
	s_add_u32 s6, s24, s6
	s_addc_u32 s7, s25, s7
	s_load_dwordx4 s[40:43], s[6:7], 0x0
	v_subrev_co_u32_e32 v2, vcc, s36, v9
	v_subb_co_u32_e64 v3, s[6:7], 0, 0, vcc
	s_waitcnt lgkmcnt(0)
	s_sub_u32 s6, s42, s36
	v_mov_b32_e32 v4, s41
	v_add_co_u32_e32 v2, vcc, s40, v2
	s_subb_u32 s7, s43, 0
	v_addc_co_u32_e32 v3, vcc, v4, v3, vcc
	v_cmp_gt_i64_e32 vcc, s[6:7], v[2:3]
	s_and_saveexec_b64 s[20:21], vcc
	s_cbranch_execz .LBB221_33
; %bb.16:
	v_and_b32_e32 v4, 15, v0
	v_subrev_co_u32_e32 v10, vcc, s37, v4
	s_mov_b32 s5, 0
	v_subb_co_u32_e64 v11, s[24:25], 0, 0, vcc
	s_mov_b32 s2, s37
	s_mov_b64 s[24:25], 0
	v_mov_b32_e32 v12, s27
	v_mov_b32_e32 v13, s31
	;; [unrolled: 1-line block ×3, first 2 shown]
	s_movk_i32 s5, 0x89
	s_branch .LBB221_18
.LBB221_17:                             ;   in Loop: Header=BB221_18 Depth=1
	s_or_b64 exec, exec, s[40:41]
	v_add_co_u32_e32 v2, vcc, 8, v2
	v_addc_co_u32_e32 v3, vcc, 0, v3, vcc
	v_cmp_le_i64_e32 vcc, s[6:7], v[2:3]
	s_or_b64 s[24:25], vcc, s[24:25]
	s_andn2_b64 exec, exec, s[24:25]
	s_cbranch_execz .LBB221_33
.LBB221_18:                             ; =>This Loop Header: Depth=1
                                        ;     Child Loop BB221_21 Depth 2
                                        ;       Child Loop BB221_23 Depth 3
	v_lshlrev_b64 v[4:5], 2, v[2:3]
	v_add_co_u32_e32 v4, vcc, s26, v4
	v_addc_co_u32_e32 v5, vcc, v12, v5, vcc
	global_load_dword v4, v[4:5], off
	s_waitcnt vmcnt(0)
	v_subrev_u32_e32 v4, s36, v4
	v_ashrrev_i32_e32 v5, 31, v4
	v_lshlrev_b64 v[4:5], 3, v[4:5]
	v_add_co_u32_e32 v4, vcc, s30, v4
	v_addc_co_u32_e32 v5, vcc, v13, v5, vcc
	global_load_dwordx4 v[16:19], v[4:5], off
	s_waitcnt vmcnt(0)
	v_subrev_co_u32_e32 v4, vcc, s2, v18
	v_subb_co_u32_e32 v5, vcc, v19, v14, vcc
	v_add_co_u32_e32 v6, vcc, v16, v10
	v_addc_co_u32_e32 v7, vcc, v17, v11, vcc
	v_cmp_lt_i64_e32 vcc, v[6:7], v[4:5]
	s_and_saveexec_b64 s[40:41], vcc
	s_cbranch_execz .LBB221_17
; %bb.19:                               ;   in Loop: Header=BB221_18 Depth=1
	v_lshlrev_b64 v[16:17], 3, v[2:3]
	v_mov_b32_e32 v15, s29
	v_add_co_u32_e32 v16, vcc, s28, v16
	v_addc_co_u32_e32 v17, vcc, v15, v17, vcc
	global_load_dwordx2 v[18:19], v[16:17], off
	s_mov_b64 s[42:43], 0
	s_waitcnt vmcnt(0)
	v_mul_f32_e64 v15, v19, -s3
	v_mul_f32_e32 v16, s60, v19
	v_fmac_f32_e32 v15, s60, v18
	v_fmac_f32_e32 v16, s3, v18
	s_branch .LBB221_21
.LBB221_20:                             ;   in Loop: Header=BB221_21 Depth=2
	s_or_b64 exec, exec, s[46:47]
	v_add_co_u32_e32 v6, vcc, 16, v6
	v_addc_co_u32_e32 v7, vcc, 0, v7, vcc
	v_cmp_ge_i64_e32 vcc, v[6:7], v[4:5]
	s_or_b64 s[42:43], vcc, s[42:43]
	s_andn2_b64 exec, exec, s[42:43]
	s_cbranch_execz .LBB221_17
.LBB221_21:                             ;   Parent Loop BB221_18 Depth=1
                                        ; =>  This Loop Header: Depth=2
                                        ;       Child Loop BB221_23 Depth 3
	v_lshlrev_b64 v[18:19], 2, v[6:7]
	v_mov_b32_e32 v17, s17
	v_add_co_u32_e32 v18, vcc, s16, v18
	v_addc_co_u32_e32 v19, vcc, v17, v19, vcc
	global_load_dword v17, v[18:19], off
	v_lshlrev_b64 v[18:19], 3, v[6:7]
	v_mov_b32_e32 v20, s19
	v_add_co_u32_e32 v18, vcc, s18, v18
	v_addc_co_u32_e32 v19, vcc, v20, v19, vcc
	global_load_dwordx2 v[20:21], v[18:19], off
	s_mov_b64 s[46:47], 0
	s_waitcnt vmcnt(1)
	v_subrev_u32_e32 v17, s37, v17
	s_waitcnt vmcnt(0)
	v_mul_f32_e64 v18, v21, -v16
	v_mul_f32_e32 v19, v15, v21
	v_fmac_f32_e32 v18, v15, v20
	v_fmac_f32_e32 v19, v16, v20
	v_mul_lo_u32 v20, v17, s5
	v_and_b32_e32 v20, 0xff, v20
	s_branch .LBB221_23
.LBB221_22:                             ;   in Loop: Header=BB221_23 Depth=3
	s_or_b64 exec, exec, s[48:49]
	s_xor_b64 s[48:49], s[50:51], -1
	s_and_b64 s[48:49], exec, s[48:49]
	s_or_b64 s[46:47], s[48:49], s[46:47]
	s_andn2_b64 exec, exec, s[46:47]
	s_cbranch_execz .LBB221_20
.LBB221_23:                             ;   Parent Loop BB221_18 Depth=1
                                        ;     Parent Loop BB221_21 Depth=2
                                        ; =>    This Inner Loop Header: Depth=3
	v_lshl_add_u32 v21, v20, 2, 0
	ds_read_b32 v22, v21
                                        ; implicit-def: $sgpr50_sgpr51
	s_waitcnt lgkmcnt(0)
	v_cmp_ne_u32_e32 vcc, v22, v17
	s_and_saveexec_b64 s[48:49], vcc
	s_xor_b64 s[48:49], exec, s[48:49]
	s_cbranch_execz .LBB221_31
; %bb.24:                               ;   in Loop: Header=BB221_23 Depth=3
	v_cmp_ne_u32_e32 vcc, s33, v22
                                        ; implicit-def: $sgpr50_sgpr51
	s_and_saveexec_b64 s[52:53], vcc
	s_xor_b64 s[52:53], exec, s[52:53]
; %bb.25:                               ;   in Loop: Header=BB221_23 Depth=3
	v_add_u32_e32 v20, 1, v20
	v_and_b32_e32 v20, 0xff, v20
	s_mov_b64 s[50:51], -1
                                        ; implicit-def: $vgpr21
; %bb.26:                               ;   in Loop: Header=BB221_23 Depth=3
	s_andn2_saveexec_b64 s[52:53], s[52:53]
	s_cbranch_execz .LBB221_30
; %bb.27:                               ;   in Loop: Header=BB221_23 Depth=3
	v_mov_b32_e32 v22, s33
	ds_cmpst_rtn_b32 v22, v21, v22, v17
	s_mov_b64 s[54:55], -1
	s_waitcnt lgkmcnt(0)
	v_cmp_eq_u32_e32 vcc, s33, v22
	s_and_saveexec_b64 s[56:57], vcc
	s_cbranch_execz .LBB221_29
; %bb.28:                               ;   in Loop: Header=BB221_23 Depth=3
	v_lshl_add_u32 v21, v20, 2, v21
	ds_add_f32 v21, v18 offset:1024
	ds_add_f32 v21, v19 offset:1028
	s_xor_b64 s[54:55], exec, -1
.LBB221_29:                             ;   in Loop: Header=BB221_23 Depth=3
	s_or_b64 exec, exec, s[56:57]
	s_andn2_b64 s[50:51], s[50:51], exec
	s_and_b64 s[54:55], s[54:55], exec
	s_or_b64 s[50:51], s[50:51], s[54:55]
.LBB221_30:                             ;   in Loop: Header=BB221_23 Depth=3
	s_or_b64 exec, exec, s[52:53]
	s_and_b64 s[50:51], s[50:51], exec
                                        ; implicit-def: $vgpr21
.LBB221_31:                             ;   in Loop: Header=BB221_23 Depth=3
	s_andn2_saveexec_b64 s[48:49], s[48:49]
	s_cbranch_execz .LBB221_22
; %bb.32:                               ;   in Loop: Header=BB221_23 Depth=3
	v_lshl_add_u32 v21, v20, 2, v21
	ds_add_f32 v21, v18 offset:1024
	ds_add_f32 v21, v19 offset:1028
	s_andn2_b64 s[50:51], s[50:51], exec
	s_branch .LBB221_22
.LBB221_33:
	s_or_b64 exec, exec, s[20:21]
.LBB221_34:
	s_andn2_b64 vcc, exec, s[44:45]
	s_cbranch_vccnz .LBB221_51
; %bb.35:
	s_waitcnt lgkmcnt(0)
	s_ashr_i32 s5, s4, 31
	s_lshl_b64 s[2:3], s[4:5], 3
	s_add_u32 s2, s22, s2
	s_addc_u32 s3, s23, s3
	s_load_dwordx4 s[16:19], s[2:3], 0x0
	v_subrev_co_u32_e32 v2, vcc, s39, v0
	v_subb_co_u32_e64 v3, s[2:3], 0, 0, vcc
	s_waitcnt lgkmcnt(0)
	s_sub_u32 s2, s18, s39
	v_mov_b32_e32 v4, s17
	v_add_co_u32_e32 v2, vcc, s16, v2
	s_subb_u32 s3, s19, 0
	v_addc_co_u32_e32 v3, vcc, v4, v3, vcc
	v_cmp_gt_i64_e32 vcc, s[2:3], v[2:3]
	s_and_saveexec_b64 s[6:7], vcc
	s_cbranch_execz .LBB221_50
; %bb.36:
	s_mov_b64 s[16:17], 0
	v_mov_b32_e32 v4, s9
	v_mov_b32_e32 v5, s11
	s_movk_i32 s5, 0x89
	s_branch .LBB221_38
.LBB221_37:                             ;   in Loop: Header=BB221_38 Depth=1
	s_or_b64 exec, exec, s[18:19]
	v_add_co_u32_e32 v2, vcc, 0x80, v2
	v_addc_co_u32_e32 v3, vcc, 0, v3, vcc
	v_cmp_le_i64_e32 vcc, s[2:3], v[2:3]
	s_or_b64 s[16:17], vcc, s[16:17]
	s_andn2_b64 exec, exec, s[16:17]
	s_cbranch_execz .LBB221_50
.LBB221_38:                             ; =>This Loop Header: Depth=1
                                        ;     Child Loop BB221_40 Depth 2
	v_lshlrev_b64 v[6:7], 2, v[2:3]
	v_add_co_u32_e32 v6, vcc, s8, v6
	v_addc_co_u32_e32 v7, vcc, v4, v7, vcc
	global_load_dword v10, v[6:7], off
	v_lshlrev_b64 v[6:7], 3, v[2:3]
	v_add_co_u32_e32 v6, vcc, s10, v6
	v_addc_co_u32_e32 v7, vcc, v5, v7, vcc
	global_load_dwordx2 v[12:13], v[6:7], off
	s_mov_b64 s[18:19], 0
	s_waitcnt vmcnt(1)
	v_subrev_u32_e32 v6, s39, v10
	v_mul_lo_u32 v11, v6, s5
	v_and_b32_e32 v11, 0xff, v11
	s_waitcnt vmcnt(0)
	v_mul_f32_e64 v7, v13, -s59
	v_mul_f32_e32 v10, s58, v13
	v_fmac_f32_e32 v7, s58, v12
	v_fmac_f32_e32 v10, s59, v12
	s_branch .LBB221_40
.LBB221_39:                             ;   in Loop: Header=BB221_40 Depth=2
	s_or_b64 exec, exec, s[20:21]
	s_xor_b64 s[20:21], s[22:23], -1
	s_and_b64 s[20:21], exec, s[20:21]
	s_or_b64 s[18:19], s[20:21], s[18:19]
	s_andn2_b64 exec, exec, s[18:19]
	s_cbranch_execz .LBB221_37
.LBB221_40:                             ;   Parent Loop BB221_38 Depth=1
                                        ; =>  This Inner Loop Header: Depth=2
	v_lshl_add_u32 v12, v11, 2, 0
	ds_read_b32 v13, v12
                                        ; implicit-def: $sgpr22_sgpr23
	s_waitcnt lgkmcnt(0)
	v_cmp_ne_u32_e32 vcc, v13, v6
	s_and_saveexec_b64 s[20:21], vcc
	s_xor_b64 s[20:21], exec, s[20:21]
	s_cbranch_execz .LBB221_48
; %bb.41:                               ;   in Loop: Header=BB221_40 Depth=2
	v_cmp_ne_u32_e32 vcc, s33, v13
                                        ; implicit-def: $sgpr22_sgpr23
	s_and_saveexec_b64 s[24:25], vcc
	s_xor_b64 s[24:25], exec, s[24:25]
; %bb.42:                               ;   in Loop: Header=BB221_40 Depth=2
	v_add_u32_e32 v11, 1, v11
	v_and_b32_e32 v11, 0xff, v11
	s_mov_b64 s[22:23], -1
                                        ; implicit-def: $vgpr12
; %bb.43:                               ;   in Loop: Header=BB221_40 Depth=2
	s_andn2_saveexec_b64 s[24:25], s[24:25]
	s_cbranch_execz .LBB221_47
; %bb.44:                               ;   in Loop: Header=BB221_40 Depth=2
	v_mov_b32_e32 v13, s33
	ds_cmpst_rtn_b32 v13, v12, v13, v6
	s_mov_b64 s[26:27], -1
	s_waitcnt lgkmcnt(0)
	v_cmp_eq_u32_e32 vcc, s33, v13
	s_and_saveexec_b64 s[28:29], vcc
	s_cbranch_execz .LBB221_46
; %bb.45:                               ;   in Loop: Header=BB221_40 Depth=2
	v_lshl_add_u32 v12, v11, 2, v12
	ds_add_f32 v12, v7 offset:1024
	ds_add_f32 v12, v10 offset:1028
	s_xor_b64 s[26:27], exec, -1
.LBB221_46:                             ;   in Loop: Header=BB221_40 Depth=2
	s_or_b64 exec, exec, s[28:29]
	s_andn2_b64 s[22:23], s[22:23], exec
	s_and_b64 s[26:27], s[26:27], exec
	s_or_b64 s[22:23], s[22:23], s[26:27]
.LBB221_47:                             ;   in Loop: Header=BB221_40 Depth=2
	s_or_b64 exec, exec, s[24:25]
	s_and_b64 s[22:23], s[22:23], exec
                                        ; implicit-def: $vgpr12
.LBB221_48:                             ;   in Loop: Header=BB221_40 Depth=2
	s_andn2_saveexec_b64 s[20:21], s[20:21]
	s_cbranch_execz .LBB221_39
; %bb.49:                               ;   in Loop: Header=BB221_40 Depth=2
	v_lshl_add_u32 v12, v11, 2, v12
	ds_add_f32 v12, v7 offset:1024
	ds_add_f32 v12, v10 offset:1028
	s_andn2_b64 s[22:23], s[22:23], exec
	s_branch .LBB221_39
.LBB221_50:
	s_or_b64 exec, exec, s[6:7]
.LBB221_51:
	s_waitcnt lgkmcnt(0)
	s_barrier
	s_and_saveexec_b64 s[6:7], s[0:1]
	s_cbranch_execz .LBB221_60
; %bb.52:
	v_mbcnt_lo_u32_b32 v2, -1, 0
	v_mbcnt_hi_u32_b32 v2, -1, v2
	v_sub_u32_e32 v2, 63, v2
	v_and_b32_e32 v4, 4, v9
	s_movk_i32 s2, 0x7f
	v_mov_b32_e32 v6, 0
	v_lshrrev_b64 v[2:3], v2, -1
	v_add_u32_e32 v7, 0, v4
	v_cmp_lt_u32_e64 s[0:1], 63, v0
	v_cmp_eq_u32_e64 s[2:3], s2, v0
	v_add_u32_e32 v8, 0x400, v8
	v_or_b32_e32 v9, 0xffffff80, v0
	s_mov_b64 s[8:9], 0
	v_mov_b32_e32 v10, 0
	s_branch .LBB221_54
.LBB221_53:                             ;   in Loop: Header=BB221_54 Depth=1
	s_or_b64 exec, exec, s[10:11]
	s_waitcnt lgkmcnt(0)
	s_barrier
	ds_read_b32 v4, v6 offset:3076
	v_add_co_u32_e32 v9, vcc, 0x80, v9
	s_xor_b64 s[10:11], vcc, -1
	s_and_b64 s[10:11], exec, s[10:11]
	v_add_u32_e32 v8, 0x400, v8
	s_waitcnt lgkmcnt(0)
	v_add_u32_e32 v10, v4, v10
	s_or_b64 s[8:9], s[10:11], s[8:9]
	v_add_u32_e32 v1, 0x200, v1
	s_andn2_b64 exec, exec, s[8:9]
	s_cbranch_execz .LBB221_60
.LBB221_54:                             ; =>This Inner Loop Header: Depth=1
	ds_read_b32 v11, v1
	ds_read2_b32 v[4:5], v8 offset1:1
	s_waitcnt lgkmcnt(0)
	s_barrier
	v_cmp_gt_i32_e32 vcc, s33, v11
	v_and_b32_e32 v13, vcc_lo, v2
	s_bcnt1_i32_b64 s5, vcc
	v_and_b32_e32 v12, vcc_hi, v3
	v_bcnt_u32_b32 v13, v13, 0
	v_bcnt_u32_b32 v12, v12, v13
	v_mov_b32_e32 v13, s5
	ds_write_b32 v7, v13 offset:3072
	s_waitcnt lgkmcnt(0)
	s_barrier
	s_and_saveexec_b64 s[10:11], s[0:1]
	s_cbranch_execnz .LBB221_57
; %bb.55:                               ;   in Loop: Header=BB221_54 Depth=1
	s_or_b64 exec, exec, s[10:11]
	s_and_saveexec_b64 s[10:11], vcc
	s_cbranch_execnz .LBB221_58
.LBB221_56:                             ;   in Loop: Header=BB221_54 Depth=1
	s_or_b64 exec, exec, s[10:11]
	s_and_saveexec_b64 s[10:11], s[2:3]
	s_cbranch_execz .LBB221_53
	s_branch .LBB221_59
.LBB221_57:                             ;   in Loop: Header=BB221_54 Depth=1
	ds_read_b32 v13, v6 offset:3072
	s_waitcnt lgkmcnt(0)
	v_add_u32_e32 v12, v13, v12
	s_or_b64 exec, exec, s[10:11]
	s_and_saveexec_b64 s[10:11], vcc
	s_cbranch_execz .LBB221_56
.LBB221_58:                             ;   in Loop: Header=BB221_54 Depth=1
	v_add3_u32 v13, v10, -1, v12
	v_lshl_add_u32 v14, v13, 2, 0
	v_lshl_add_u32 v13, v13, 3, 0
	v_add_u32_e32 v13, 0x400, v13
	ds_write_b32 v14, v11
	ds_write2_b32 v13, v4, v5 offset1:1
	s_or_b64 exec, exec, s[10:11]
	s_and_saveexec_b64 s[10:11], s[2:3]
	s_cbranch_execz .LBB221_53
.LBB221_59:                             ;   in Loop: Header=BB221_54 Depth=1
	ds_write_b32 v6, v12 offset:3076
	s_branch .LBB221_53
.LBB221_60:
	s_or_b64 exec, exec, s[6:7]
	s_ashr_i32 s5, s4, 31
	s_lshl_b64 s[0:1], s[4:5], 3
	s_add_u32 s0, s12, s0
	s_addc_u32 s1, s13, s1
	s_load_dwordx4 s[0:3], s[0:1], 0x0
	s_waitcnt lgkmcnt(0)
	s_sub_i32 s8, s2, s0
	v_cmp_gt_i32_e32 vcc, s8, v0
	s_and_saveexec_b64 s[4:5], vcc
	s_cbranch_execz .LBB221_70
; %bb.61:
	s_sub_u32 s4, s0, s38
	s_subb_u32 s5, s1, 0
	s_and_b32 s9, s8, 7
	s_sub_i32 s0, s0, s2
	s_cmp_lt_u32 s0, -7
	s_cselect_b64 s[0:1], -1, 0
	s_and_b32 s10, s8, -8
	s_cmp_lg_u32 s9, 0
	v_cndmask_b32_e64 v1, 0, 1, s[0:1]
	s_cselect_b64 s[2:3], -1, 0
	v_cmp_ne_u32_e64 s[0:1], 1, v1
	v_cndmask_b32_e64 v1, 0, 1, s[2:3]
	s_mov_b64 s[6:7], 0
	s_movk_i32 s11, 0x400
	v_cmp_ne_u32_e64 s[2:3], 1, v1
	s_branch .LBB221_63
.LBB221_62:                             ;   in Loop: Header=BB221_63 Depth=1
	v_lshlrev_b64 v[6:7], 2, v[4:5]
	v_mov_b32_e32 v8, s15
	v_add_co_u32_e32 v6, vcc, s14, v6
	s_waitcnt lgkmcnt(1)
	v_add_u32_e32 v1, s38, v1
	v_addc_co_u32_e32 v7, vcc, v8, v7, vcc
	v_lshlrev_b64 v[4:5], 3, v[4:5]
	global_store_dword v[6:7], v1, off
	v_mov_b32_e32 v1, s35
	v_add_co_u32_e32 v4, vcc, s34, v4
	v_addc_co_u32_e32 v5, vcc, v1, v5, vcc
	v_add_u32_e32 v0, 0x80, v0
	v_cmp_le_i32_e32 vcc, s8, v0
	s_or_b64 s[6:7], vcc, s[6:7]
	s_waitcnt lgkmcnt(0)
	global_store_dwordx2 v[4:5], v[2:3], off
	s_andn2_b64 exec, exec, s[6:7]
	s_cbranch_execz .LBB221_70
.LBB221_63:                             ; =>This Loop Header: Depth=1
                                        ;     Child Loop BB221_65 Depth 2
                                        ;     Child Loop BB221_69 Depth 2
	v_lshlrev_b32_e32 v1, 2, v0
	v_add_u32_e32 v2, 0, v1
	v_add3_u32 v3, v2, v1, s11
	ds_read_b32 v1, v2
	ds_read2_b32 v[2:3], v3 offset1:1
	s_and_b64 vcc, exec, s[0:1]
	v_pk_mov_b32 v[4:5], s[4:5], s[4:5] op_sel:[0,1]
	s_mov_b32 s12, 0
	s_cbranch_vccnz .LBB221_67
; %bb.64:                               ;   in Loop: Header=BB221_63 Depth=1
	s_mov_b32 s13, 0
	v_pk_mov_b32 v[4:5], s[4:5], s[4:5] op_sel:[0,1]
.LBB221_65:                             ;   Parent Loop BB221_63 Depth=1
                                        ; =>  This Inner Loop Header: Depth=2
	v_mov_b32_e32 v12, s13
	ds_read2_b32 v[6:7], v12 offset1:1
	ds_read2_b32 v[8:9], v12 offset0:2 offset1:3
	ds_read2_b32 v[10:11], v12 offset0:4 offset1:5
	;; [unrolled: 1-line block ×3, first 2 shown]
	s_add_i32 s12, s12, 8
	s_waitcnt lgkmcnt(3)
	v_cmp_gt_i32_e32 vcc, v1, v6
	v_cndmask_b32_e64 v6, 0, 1, vcc
	v_cmp_gt_i32_e32 vcc, v1, v7
	v_cndmask_b32_e64 v7, 0, 1, vcc
	s_waitcnt lgkmcnt(2)
	v_cmp_gt_i32_e32 vcc, v1, v8
	v_cndmask_b32_e64 v8, 0, 1, vcc
	v_cmp_gt_i32_e32 vcc, v1, v9
	v_cndmask_b32_e64 v9, 0, 1, vcc
	;; [unrolled: 5-line block ×4, first 2 shown]
	v_add_co_u32_e32 v4, vcc, v4, v6
	v_addc_co_u32_e32 v5, vcc, 0, v5, vcc
	v_add_co_u32_e32 v4, vcc, v4, v7
	v_addc_co_u32_e32 v5, vcc, 0, v5, vcc
	v_add_co_u32_e32 v4, vcc, v4, v8
	v_addc_co_u32_e32 v5, vcc, 0, v5, vcc
	v_add_co_u32_e32 v4, vcc, v4, v9
	v_addc_co_u32_e32 v5, vcc, 0, v5, vcc
	v_add_co_u32_e32 v4, vcc, v4, v10
	v_addc_co_u32_e32 v5, vcc, 0, v5, vcc
	v_add_co_u32_e32 v4, vcc, v4, v11
	v_addc_co_u32_e32 v5, vcc, 0, v5, vcc
	v_add_co_u32_e32 v4, vcc, v4, v12
	v_addc_co_u32_e32 v5, vcc, 0, v5, vcc
	s_add_i32 s13, s13, 32
	v_add_co_u32_e32 v4, vcc, v4, v13
	s_cmp_eq_u32 s10, s12
	v_addc_co_u32_e32 v5, vcc, 0, v5, vcc
	s_cbranch_scc0 .LBB221_65
; %bb.66:                               ;   in Loop: Header=BB221_63 Depth=1
	s_mov_b32 s12, s10
.LBB221_67:                             ;   in Loop: Header=BB221_63 Depth=1
	s_and_b64 vcc, exec, s[2:3]
	s_cbranch_vccnz .LBB221_62
; %bb.68:                               ;   in Loop: Header=BB221_63 Depth=1
	s_lshl_b32 s12, s12, 2
	s_add_i32 s12, s12, 0
	s_mov_b32 s13, s9
.LBB221_69:                             ;   Parent Loop BB221_63 Depth=1
                                        ; =>  This Inner Loop Header: Depth=2
	v_mov_b32_e32 v6, s12
	ds_read_b32 v6, v6
	s_add_i32 s12, s12, 4
	s_add_i32 s13, s13, -1
	s_cmp_lg_u32 s13, 0
	s_waitcnt lgkmcnt(0)
	v_cmp_gt_i32_e32 vcc, v1, v6
	v_cndmask_b32_e64 v6, 0, 1, vcc
	v_add_co_u32_e32 v4, vcc, v4, v6
	v_addc_co_u32_e32 v5, vcc, 0, v5, vcc
	s_cbranch_scc1 .LBB221_69
	s_branch .LBB221_62
.LBB221_70:
	s_endpgm
	.section	.rodata,"a",@progbits
	.p2align	6, 0x0
	.amdhsa_kernel _ZN9rocsparseL26csrgemm_fill_block_per_rowILj128ELj16ELj256ELj137ELj64Eli21rocsparse_complex_numIfEEEvT5_PKS3_S5_NS_24const_host_device_scalarIT6_EEPKT4_S5_PKS7_SB_S5_SD_S8_SB_S5_SD_SB_PS3_PS7_21rocsparse_index_base_SG_SG_SG_bbb
		.amdhsa_group_segment_fixed_size 0
		.amdhsa_private_segment_fixed_size 0
		.amdhsa_kernarg_size 156
		.amdhsa_user_sgpr_count 6
		.amdhsa_user_sgpr_private_segment_buffer 1
		.amdhsa_user_sgpr_dispatch_ptr 0
		.amdhsa_user_sgpr_queue_ptr 0
		.amdhsa_user_sgpr_kernarg_segment_ptr 1
		.amdhsa_user_sgpr_dispatch_id 0
		.amdhsa_user_sgpr_flat_scratch_init 0
		.amdhsa_user_sgpr_kernarg_preload_length 0
		.amdhsa_user_sgpr_kernarg_preload_offset 0
		.amdhsa_user_sgpr_private_segment_size 0
		.amdhsa_uses_dynamic_stack 0
		.amdhsa_system_sgpr_private_segment_wavefront_offset 0
		.amdhsa_system_sgpr_workgroup_id_x 1
		.amdhsa_system_sgpr_workgroup_id_y 0
		.amdhsa_system_sgpr_workgroup_id_z 0
		.amdhsa_system_sgpr_workgroup_info 0
		.amdhsa_system_vgpr_workitem_id 0
		.amdhsa_next_free_vgpr 23
		.amdhsa_next_free_sgpr 61
		.amdhsa_accum_offset 24
		.amdhsa_reserve_vcc 1
		.amdhsa_reserve_flat_scratch 0
		.amdhsa_float_round_mode_32 0
		.amdhsa_float_round_mode_16_64 0
		.amdhsa_float_denorm_mode_32 3
		.amdhsa_float_denorm_mode_16_64 3
		.amdhsa_dx10_clamp 1
		.amdhsa_ieee_mode 1
		.amdhsa_fp16_overflow 0
		.amdhsa_tg_split 0
		.amdhsa_exception_fp_ieee_invalid_op 0
		.amdhsa_exception_fp_denorm_src 0
		.amdhsa_exception_fp_ieee_div_zero 0
		.amdhsa_exception_fp_ieee_overflow 0
		.amdhsa_exception_fp_ieee_underflow 0
		.amdhsa_exception_fp_ieee_inexact 0
		.amdhsa_exception_int_div_zero 0
	.end_amdhsa_kernel
	.section	.text._ZN9rocsparseL26csrgemm_fill_block_per_rowILj128ELj16ELj256ELj137ELj64Eli21rocsparse_complex_numIfEEEvT5_PKS3_S5_NS_24const_host_device_scalarIT6_EEPKT4_S5_PKS7_SB_S5_SD_S8_SB_S5_SD_SB_PS3_PS7_21rocsparse_index_base_SG_SG_SG_bbb,"axG",@progbits,_ZN9rocsparseL26csrgemm_fill_block_per_rowILj128ELj16ELj256ELj137ELj64Eli21rocsparse_complex_numIfEEEvT5_PKS3_S5_NS_24const_host_device_scalarIT6_EEPKT4_S5_PKS7_SB_S5_SD_S8_SB_S5_SD_SB_PS3_PS7_21rocsparse_index_base_SG_SG_SG_bbb,comdat
.Lfunc_end221:
	.size	_ZN9rocsparseL26csrgemm_fill_block_per_rowILj128ELj16ELj256ELj137ELj64Eli21rocsparse_complex_numIfEEEvT5_PKS3_S5_NS_24const_host_device_scalarIT6_EEPKT4_S5_PKS7_SB_S5_SD_S8_SB_S5_SD_SB_PS3_PS7_21rocsparse_index_base_SG_SG_SG_bbb, .Lfunc_end221-_ZN9rocsparseL26csrgemm_fill_block_per_rowILj128ELj16ELj256ELj137ELj64Eli21rocsparse_complex_numIfEEEvT5_PKS3_S5_NS_24const_host_device_scalarIT6_EEPKT4_S5_PKS7_SB_S5_SD_S8_SB_S5_SD_SB_PS3_PS7_21rocsparse_index_base_SG_SG_SG_bbb
                                        ; -- End function
	.section	.AMDGPU.csdata,"",@progbits
; Kernel info:
; codeLenInByte = 2560
; NumSgprs: 65
; NumVgprs: 23
; NumAgprs: 0
; TotalNumVgprs: 23
; ScratchSize: 0
; MemoryBound: 0
; FloatMode: 240
; IeeeMode: 1
; LDSByteSize: 0 bytes/workgroup (compile time only)
; SGPRBlocks: 8
; VGPRBlocks: 2
; NumSGPRsForWavesPerEU: 65
; NumVGPRsForWavesPerEU: 23
; AccumOffset: 24
; Occupancy: 8
; WaveLimiterHint : 1
; COMPUTE_PGM_RSRC2:SCRATCH_EN: 0
; COMPUTE_PGM_RSRC2:USER_SGPR: 6
; COMPUTE_PGM_RSRC2:TRAP_HANDLER: 0
; COMPUTE_PGM_RSRC2:TGID_X_EN: 1
; COMPUTE_PGM_RSRC2:TGID_Y_EN: 0
; COMPUTE_PGM_RSRC2:TGID_Z_EN: 0
; COMPUTE_PGM_RSRC2:TIDIG_COMP_CNT: 0
; COMPUTE_PGM_RSRC3_GFX90A:ACCUM_OFFSET: 5
; COMPUTE_PGM_RSRC3_GFX90A:TG_SPLIT: 0
	.section	.text._ZN9rocsparseL26csrgemm_fill_block_per_rowILj256ELj32ELj512ELj137ELj32Eli21rocsparse_complex_numIfEEEvT5_PKS3_S5_NS_24const_host_device_scalarIT6_EEPKT4_S5_PKS7_SB_S5_SD_S8_SB_S5_SD_SB_PS3_PS7_21rocsparse_index_base_SG_SG_SG_bbb,"axG",@progbits,_ZN9rocsparseL26csrgemm_fill_block_per_rowILj256ELj32ELj512ELj137ELj32Eli21rocsparse_complex_numIfEEEvT5_PKS3_S5_NS_24const_host_device_scalarIT6_EEPKT4_S5_PKS7_SB_S5_SD_S8_SB_S5_SD_SB_PS3_PS7_21rocsparse_index_base_SG_SG_SG_bbb,comdat
	.globl	_ZN9rocsparseL26csrgemm_fill_block_per_rowILj256ELj32ELj512ELj137ELj32Eli21rocsparse_complex_numIfEEEvT5_PKS3_S5_NS_24const_host_device_scalarIT6_EEPKT4_S5_PKS7_SB_S5_SD_S8_SB_S5_SD_SB_PS3_PS7_21rocsparse_index_base_SG_SG_SG_bbb ; -- Begin function _ZN9rocsparseL26csrgemm_fill_block_per_rowILj256ELj32ELj512ELj137ELj32Eli21rocsparse_complex_numIfEEEvT5_PKS3_S5_NS_24const_host_device_scalarIT6_EEPKT4_S5_PKS7_SB_S5_SD_S8_SB_S5_SD_SB_PS3_PS7_21rocsparse_index_base_SG_SG_SG_bbb
	.p2align	8
	.type	_ZN9rocsparseL26csrgemm_fill_block_per_rowILj256ELj32ELj512ELj137ELj32Eli21rocsparse_complex_numIfEEEvT5_PKS3_S5_NS_24const_host_device_scalarIT6_EEPKT4_S5_PKS7_SB_S5_SD_S8_SB_S5_SD_SB_PS3_PS7_21rocsparse_index_base_SG_SG_SG_bbb,@function
_ZN9rocsparseL26csrgemm_fill_block_per_rowILj256ELj32ELj512ELj137ELj32Eli21rocsparse_complex_numIfEEEvT5_PKS3_S5_NS_24const_host_device_scalarIT6_EEPKT4_S5_PKS7_SB_S5_SD_S8_SB_S5_SD_SB_PS3_PS7_21rocsparse_index_base_SG_SG_SG_bbb: ; @_ZN9rocsparseL26csrgemm_fill_block_per_rowILj256ELj32ELj512ELj137ELj32Eli21rocsparse_complex_numIfEEEvT5_PKS3_S5_NS_24const_host_device_scalarIT6_EEPKT4_S5_PKS7_SB_S5_SD_S8_SB_S5_SD_SB_PS3_PS7_21rocsparse_index_base_SG_SG_SG_bbb
; %bb.0:
	s_load_dwordx8 s[12:19], s[4:5], 0x60
	s_load_dwordx8 s[20:27], s[4:5], 0x40
	s_load_dword s7, s[4:5], 0x98
	s_load_dwordx4 s[8:11], s[4:5], 0x8
	s_load_dwordx8 s[36:43], s[4:5], 0x20
	s_load_dwordx2 s[34:35], s[4:5], 0x80
	s_load_dwordx4 s[28:31], s[4:5], 0x88
	s_waitcnt lgkmcnt(0)
	s_bitcmp1_b32 s7, 0
	s_cselect_b64 s[46:47], -1, 0
	s_bitcmp1_b32 s7, 16
	s_cselect_b64 s[0:1], -1, 0
	s_xor_b64 s[0:1], s[0:1], -1
	v_cndmask_b32_e64 v1, 0, 1, s[0:1]
	s_mov_b32 s3, 0
	s_bitcmp0_b32 s7, 0
	v_cmp_ne_u32_e64 s[0:1], 1, v1
	s_mov_b32 s60, 0
	s_cbranch_scc1 .LBB222_5
; %bb.1:
	s_load_dwordx2 s[2:3], s[4:5], 0x18
	s_and_b64 vcc, exec, s[0:1]
	s_waitcnt lgkmcnt(0)
	s_mov_b32 s60, s2
	s_cbranch_vccnz .LBB222_3
; %bb.2:
	s_load_dword s60, s[2:3], 0x0
.LBB222_3:
	s_and_b64 vcc, exec, s[0:1]
	s_cbranch_vccnz .LBB222_5
; %bb.4:
	s_load_dword s3, s[2:3], 0x4
.LBB222_5:
	s_bitcmp1_b32 s7, 8
	s_cselect_b64 s[44:45], -1, 0
	s_bfe_u32 s2, s7, 0x10008
	s_mov_b32 s59, 0
	s_cmp_eq_u32 s2, 0
	s_mov_b32 s58, 0
	s_cbranch_scc1 .LBB222_11
; %bb.6:
	s_and_b64 vcc, exec, s[0:1]
	s_mov_b32 s58, s24
	s_cbranch_vccnz .LBB222_8
; %bb.7:
	s_load_dword s58, s[24:25], 0x0
.LBB222_8:
	s_and_b64 vcc, exec, s[0:1]
	s_cbranch_vccnz .LBB222_10
; %bb.9:
	s_load_dword s25, s[24:25], 0x4
.LBB222_10:
	s_waitcnt lgkmcnt(0)
	s_mov_b32 s59, s25
.LBB222_11:
	s_load_dword s33, s[4:5], 0x0
	s_movk_i32 s0, 0x200
	v_cmp_gt_u32_e64 s[0:1], s0, v0
	v_lshl_add_u32 v8, v0, 3, 0
	v_lshl_add_u32 v1, v0, 2, 0
	s_and_saveexec_b64 s[4:5], s[0:1]
	s_cbranch_execz .LBB222_14
; %bb.12:
	v_add_u32_e32 v2, 0x800, v8
	v_or_b32_e32 v3, 0xffffff00, v0
	v_lshl_add_u32 v4, v0, 2, 0
	s_mov_b64 s[24:25], 0
	s_waitcnt lgkmcnt(0)
	v_mov_b32_e32 v5, s33
	v_mov_b32_e32 v6, 0
.LBB222_13:                             ; =>This Inner Loop Header: Depth=1
	v_add_co_u32_e32 v3, vcc, 0x100, v3
	s_xor_b64 s[48:49], vcc, -1
	s_and_b64 s[48:49], exec, s[48:49]
	ds_write_b32 v4, v5
	ds_write2_b32 v2, v6, v6 offset1:1
	v_add_u32_e32 v2, 0x800, v2
	s_or_b64 s[24:25], s[48:49], s[24:25]
	v_add_u32_e32 v4, 0x400, v4
	s_andn2_b64 exec, exec, s[24:25]
	s_cbranch_execnz .LBB222_13
.LBB222_14:
	s_or_b64 exec, exec, s[4:5]
	s_waitcnt lgkmcnt(0)
	s_barrier
	s_load_dword s2, s[8:9], 0x0
	s_mov_b32 s5, 0
	v_lshrrev_b32_e32 v9, 5, v0
	s_waitcnt lgkmcnt(0)
	s_add_i32 s4, s2, s6
	s_lshl_b64 s[4:5], s[4:5], 2
	s_add_u32 s4, s10, s4
	s_addc_u32 s5, s11, s5
	s_load_dword s24, s[4:5], 0x0
	s_and_b64 vcc, exec, s[46:47]
	s_cbranch_vccz .LBB222_34
; %bb.15:
	s_waitcnt lgkmcnt(0)
	s_ashr_i32 s25, s24, 31
	s_lshl_b64 s[4:5], s[24:25], 3
	s_add_u32 s4, s36, s4
	s_addc_u32 s5, s37, s5
	s_load_dwordx4 s[8:11], s[4:5], 0x0
	v_subrev_co_u32_e32 v2, vcc, s28, v9
	v_subb_co_u32_e64 v3, s[4:5], 0, 0, vcc
	s_waitcnt lgkmcnt(0)
	s_sub_u32 s4, s10, s28
	v_mov_b32_e32 v4, s9
	v_add_co_u32_e32 v2, vcc, s8, v2
	s_subb_u32 s5, s11, 0
	v_addc_co_u32_e32 v3, vcc, v4, v3, vcc
	v_cmp_gt_i64_e32 vcc, s[4:5], v[2:3]
	s_and_saveexec_b64 s[6:7], vcc
	s_cbranch_execz .LBB222_33
; %bb.16:
	v_and_b32_e32 v4, 31, v0
	v_subrev_co_u32_e32 v10, vcc, s29, v4
	s_mov_b32 s10, 0
	v_subb_co_u32_e64 v11, s[8:9], 0, 0, vcc
	s_mov_b32 s2, s29
	s_mov_b64 s[8:9], 0
	v_mov_b32_e32 v12, s39
	v_mov_b32_e32 v13, s43
	;; [unrolled: 1-line block ×3, first 2 shown]
	s_movk_i32 s25, 0x89
	s_branch .LBB222_18
.LBB222_17:                             ;   in Loop: Header=BB222_18 Depth=1
	s_or_b64 exec, exec, s[10:11]
	v_add_co_u32_e32 v2, vcc, 8, v2
	v_addc_co_u32_e32 v3, vcc, 0, v3, vcc
	v_cmp_le_i64_e32 vcc, s[4:5], v[2:3]
	s_or_b64 s[8:9], vcc, s[8:9]
	s_andn2_b64 exec, exec, s[8:9]
	s_cbranch_execz .LBB222_33
.LBB222_18:                             ; =>This Loop Header: Depth=1
                                        ;     Child Loop BB222_21 Depth 2
                                        ;       Child Loop BB222_23 Depth 3
	v_lshlrev_b64 v[4:5], 2, v[2:3]
	v_add_co_u32_e32 v4, vcc, s38, v4
	v_addc_co_u32_e32 v5, vcc, v12, v5, vcc
	global_load_dword v4, v[4:5], off
	s_waitcnt vmcnt(0)
	v_subrev_u32_e32 v4, s28, v4
	v_ashrrev_i32_e32 v5, 31, v4
	v_lshlrev_b64 v[4:5], 3, v[4:5]
	v_add_co_u32_e32 v4, vcc, s42, v4
	v_addc_co_u32_e32 v5, vcc, v13, v5, vcc
	global_load_dwordx4 v[16:19], v[4:5], off
	s_waitcnt vmcnt(0)
	v_subrev_co_u32_e32 v4, vcc, s2, v18
	v_subb_co_u32_e32 v5, vcc, v19, v14, vcc
	v_add_co_u32_e32 v6, vcc, v16, v10
	v_addc_co_u32_e32 v7, vcc, v17, v11, vcc
	v_cmp_lt_i64_e32 vcc, v[6:7], v[4:5]
	s_and_saveexec_b64 s[10:11], vcc
	s_cbranch_execz .LBB222_17
; %bb.19:                               ;   in Loop: Header=BB222_18 Depth=1
	v_lshlrev_b64 v[16:17], 3, v[2:3]
	v_mov_b32_e32 v15, s41
	v_add_co_u32_e32 v16, vcc, s40, v16
	v_addc_co_u32_e32 v17, vcc, v15, v17, vcc
	global_load_dwordx2 v[18:19], v[16:17], off
	s_mov_b64 s[36:37], 0
	s_waitcnt vmcnt(0)
	v_mul_f32_e64 v15, v19, -s3
	v_mul_f32_e32 v16, s60, v19
	v_fmac_f32_e32 v15, s60, v18
	v_fmac_f32_e32 v16, s3, v18
	s_branch .LBB222_21
.LBB222_20:                             ;   in Loop: Header=BB222_21 Depth=2
	s_or_b64 exec, exec, s[46:47]
	v_add_co_u32_e32 v6, vcc, 32, v6
	v_addc_co_u32_e32 v7, vcc, 0, v7, vcc
	v_cmp_ge_i64_e32 vcc, v[6:7], v[4:5]
	s_or_b64 s[36:37], vcc, s[36:37]
	s_andn2_b64 exec, exec, s[36:37]
	s_cbranch_execz .LBB222_17
.LBB222_21:                             ;   Parent Loop BB222_18 Depth=1
                                        ; =>  This Loop Header: Depth=2
                                        ;       Child Loop BB222_23 Depth 3
	v_lshlrev_b64 v[18:19], 2, v[6:7]
	v_mov_b32_e32 v17, s21
	v_add_co_u32_e32 v18, vcc, s20, v18
	v_addc_co_u32_e32 v19, vcc, v17, v19, vcc
	global_load_dword v17, v[18:19], off
	v_lshlrev_b64 v[18:19], 3, v[6:7]
	v_mov_b32_e32 v20, s23
	v_add_co_u32_e32 v18, vcc, s22, v18
	v_addc_co_u32_e32 v19, vcc, v20, v19, vcc
	global_load_dwordx2 v[20:21], v[18:19], off
	s_mov_b64 s[46:47], 0
	s_waitcnt vmcnt(1)
	v_subrev_u32_e32 v17, s29, v17
	s_waitcnt vmcnt(0)
	v_mul_f32_e64 v18, v21, -v16
	v_mul_f32_e32 v19, v15, v21
	v_fmac_f32_e32 v18, v15, v20
	v_fmac_f32_e32 v19, v16, v20
	v_mul_lo_u32 v20, v17, s25
	v_and_b32_e32 v20, 0x1ff, v20
	s_branch .LBB222_23
.LBB222_22:                             ;   in Loop: Header=BB222_23 Depth=3
	s_or_b64 exec, exec, s[48:49]
	s_xor_b64 s[48:49], s[50:51], -1
	s_and_b64 s[48:49], exec, s[48:49]
	s_or_b64 s[46:47], s[48:49], s[46:47]
	s_andn2_b64 exec, exec, s[46:47]
	s_cbranch_execz .LBB222_20
.LBB222_23:                             ;   Parent Loop BB222_18 Depth=1
                                        ;     Parent Loop BB222_21 Depth=2
                                        ; =>    This Inner Loop Header: Depth=3
	v_lshl_add_u32 v21, v20, 2, 0
	ds_read_b32 v22, v21
                                        ; implicit-def: $sgpr50_sgpr51
	s_waitcnt lgkmcnt(0)
	v_cmp_ne_u32_e32 vcc, v22, v17
	s_and_saveexec_b64 s[48:49], vcc
	s_xor_b64 s[48:49], exec, s[48:49]
	s_cbranch_execz .LBB222_31
; %bb.24:                               ;   in Loop: Header=BB222_23 Depth=3
	v_cmp_ne_u32_e32 vcc, s33, v22
                                        ; implicit-def: $sgpr50_sgpr51
	s_and_saveexec_b64 s[52:53], vcc
	s_xor_b64 s[52:53], exec, s[52:53]
; %bb.25:                               ;   in Loop: Header=BB222_23 Depth=3
	v_add_u32_e32 v20, 1, v20
	v_and_b32_e32 v20, 0x1ff, v20
	s_mov_b64 s[50:51], -1
                                        ; implicit-def: $vgpr21
; %bb.26:                               ;   in Loop: Header=BB222_23 Depth=3
	s_andn2_saveexec_b64 s[52:53], s[52:53]
	s_cbranch_execz .LBB222_30
; %bb.27:                               ;   in Loop: Header=BB222_23 Depth=3
	v_mov_b32_e32 v22, s33
	ds_cmpst_rtn_b32 v22, v21, v22, v17
	s_mov_b64 s[54:55], -1
	s_waitcnt lgkmcnt(0)
	v_cmp_eq_u32_e32 vcc, s33, v22
	s_and_saveexec_b64 s[56:57], vcc
	s_cbranch_execz .LBB222_29
; %bb.28:                               ;   in Loop: Header=BB222_23 Depth=3
	v_lshl_add_u32 v21, v20, 2, v21
	ds_add_f32 v21, v18 offset:2048
	ds_add_f32 v21, v19 offset:2052
	s_xor_b64 s[54:55], exec, -1
.LBB222_29:                             ;   in Loop: Header=BB222_23 Depth=3
	s_or_b64 exec, exec, s[56:57]
	s_andn2_b64 s[50:51], s[50:51], exec
	s_and_b64 s[54:55], s[54:55], exec
	s_or_b64 s[50:51], s[50:51], s[54:55]
.LBB222_30:                             ;   in Loop: Header=BB222_23 Depth=3
	s_or_b64 exec, exec, s[52:53]
	s_and_b64 s[50:51], s[50:51], exec
                                        ; implicit-def: $vgpr21
.LBB222_31:                             ;   in Loop: Header=BB222_23 Depth=3
	s_andn2_saveexec_b64 s[48:49], s[48:49]
	s_cbranch_execz .LBB222_22
; %bb.32:                               ;   in Loop: Header=BB222_23 Depth=3
	v_lshl_add_u32 v21, v20, 2, v21
	ds_add_f32 v21, v18 offset:2048
	ds_add_f32 v21, v19 offset:2052
	s_andn2_b64 s[50:51], s[50:51], exec
	s_branch .LBB222_22
.LBB222_33:
	s_or_b64 exec, exec, s[6:7]
.LBB222_34:
	s_andn2_b64 vcc, exec, s[44:45]
	s_cbranch_vccnz .LBB222_51
; %bb.35:
	s_waitcnt lgkmcnt(0)
	s_ashr_i32 s25, s24, 31
	s_lshl_b64 s[2:3], s[24:25], 3
	s_add_u32 s2, s26, s2
	s_addc_u32 s3, s27, s3
	s_load_dwordx4 s[4:7], s[2:3], 0x0
	v_subrev_co_u32_e32 v2, vcc, s31, v0
	v_subb_co_u32_e64 v3, s[2:3], 0, 0, vcc
	s_waitcnt lgkmcnt(0)
	s_sub_u32 s2, s6, s31
	v_mov_b32_e32 v4, s5
	v_add_co_u32_e32 v2, vcc, s4, v2
	s_subb_u32 s3, s7, 0
	v_addc_co_u32_e32 v3, vcc, v4, v3, vcc
	v_cmp_gt_i64_e32 vcc, s[2:3], v[2:3]
	s_and_saveexec_b64 s[4:5], vcc
	s_cbranch_execz .LBB222_50
; %bb.36:
	s_mov_b64 s[6:7], 0
	v_mov_b32_e32 v4, s13
	v_mov_b32_e32 v5, s15
	s_movk_i32 s13, 0x89
	s_branch .LBB222_38
.LBB222_37:                             ;   in Loop: Header=BB222_38 Depth=1
	s_or_b64 exec, exec, s[8:9]
	v_add_co_u32_e32 v2, vcc, 0x100, v2
	v_addc_co_u32_e32 v3, vcc, 0, v3, vcc
	v_cmp_le_i64_e32 vcc, s[2:3], v[2:3]
	s_or_b64 s[6:7], vcc, s[6:7]
	s_andn2_b64 exec, exec, s[6:7]
	s_cbranch_execz .LBB222_50
.LBB222_38:                             ; =>This Loop Header: Depth=1
                                        ;     Child Loop BB222_40 Depth 2
	v_lshlrev_b64 v[6:7], 2, v[2:3]
	v_add_co_u32_e32 v6, vcc, s12, v6
	v_addc_co_u32_e32 v7, vcc, v4, v7, vcc
	global_load_dword v10, v[6:7], off
	v_lshlrev_b64 v[6:7], 3, v[2:3]
	v_add_co_u32_e32 v6, vcc, s14, v6
	v_addc_co_u32_e32 v7, vcc, v5, v7, vcc
	global_load_dwordx2 v[12:13], v[6:7], off
	s_mov_b64 s[8:9], 0
	s_waitcnt vmcnt(1)
	v_subrev_u32_e32 v6, s31, v10
	v_mul_lo_u32 v11, v6, s13
	v_and_b32_e32 v11, 0x1ff, v11
	s_waitcnt vmcnt(0)
	v_mul_f32_e64 v7, v13, -s59
	v_mul_f32_e32 v10, s58, v13
	v_fmac_f32_e32 v7, s58, v12
	v_fmac_f32_e32 v10, s59, v12
	s_branch .LBB222_40
.LBB222_39:                             ;   in Loop: Header=BB222_40 Depth=2
	s_or_b64 exec, exec, s[10:11]
	s_xor_b64 s[10:11], s[20:21], -1
	s_and_b64 s[10:11], exec, s[10:11]
	s_or_b64 s[8:9], s[10:11], s[8:9]
	s_andn2_b64 exec, exec, s[8:9]
	s_cbranch_execz .LBB222_37
.LBB222_40:                             ;   Parent Loop BB222_38 Depth=1
                                        ; =>  This Inner Loop Header: Depth=2
	v_lshl_add_u32 v12, v11, 2, 0
	ds_read_b32 v13, v12
                                        ; implicit-def: $sgpr20_sgpr21
	s_waitcnt lgkmcnt(0)
	v_cmp_ne_u32_e32 vcc, v13, v6
	s_and_saveexec_b64 s[10:11], vcc
	s_xor_b64 s[10:11], exec, s[10:11]
	s_cbranch_execz .LBB222_48
; %bb.41:                               ;   in Loop: Header=BB222_40 Depth=2
	v_cmp_ne_u32_e32 vcc, s33, v13
                                        ; implicit-def: $sgpr20_sgpr21
	s_and_saveexec_b64 s[22:23], vcc
	s_xor_b64 s[22:23], exec, s[22:23]
; %bb.42:                               ;   in Loop: Header=BB222_40 Depth=2
	v_add_u32_e32 v11, 1, v11
	v_and_b32_e32 v11, 0x1ff, v11
	s_mov_b64 s[20:21], -1
                                        ; implicit-def: $vgpr12
; %bb.43:                               ;   in Loop: Header=BB222_40 Depth=2
	s_andn2_saveexec_b64 s[22:23], s[22:23]
	s_cbranch_execz .LBB222_47
; %bb.44:                               ;   in Loop: Header=BB222_40 Depth=2
	v_mov_b32_e32 v13, s33
	ds_cmpst_rtn_b32 v13, v12, v13, v6
	s_mov_b64 s[26:27], -1
	s_waitcnt lgkmcnt(0)
	v_cmp_eq_u32_e32 vcc, s33, v13
	s_and_saveexec_b64 s[28:29], vcc
	s_cbranch_execz .LBB222_46
; %bb.45:                               ;   in Loop: Header=BB222_40 Depth=2
	v_lshl_add_u32 v12, v11, 2, v12
	ds_add_f32 v12, v7 offset:2048
	ds_add_f32 v12, v10 offset:2052
	s_xor_b64 s[26:27], exec, -1
.LBB222_46:                             ;   in Loop: Header=BB222_40 Depth=2
	s_or_b64 exec, exec, s[28:29]
	s_andn2_b64 s[20:21], s[20:21], exec
	s_and_b64 s[26:27], s[26:27], exec
	s_or_b64 s[20:21], s[20:21], s[26:27]
.LBB222_47:                             ;   in Loop: Header=BB222_40 Depth=2
	s_or_b64 exec, exec, s[22:23]
	s_and_b64 s[20:21], s[20:21], exec
                                        ; implicit-def: $vgpr12
.LBB222_48:                             ;   in Loop: Header=BB222_40 Depth=2
	s_andn2_saveexec_b64 s[10:11], s[10:11]
	s_cbranch_execz .LBB222_39
; %bb.49:                               ;   in Loop: Header=BB222_40 Depth=2
	v_lshl_add_u32 v12, v11, 2, v12
	ds_add_f32 v12, v7 offset:2048
	ds_add_f32 v12, v10 offset:2052
	s_andn2_b64 s[20:21], s[20:21], exec
	s_branch .LBB222_39
.LBB222_50:
	s_or_b64 exec, exec, s[4:5]
.LBB222_51:
	s_waitcnt lgkmcnt(0)
	s_barrier
	s_and_saveexec_b64 s[20:21], s[0:1]
	s_cbranch_execz .LBB222_72
; %bb.52:
	v_mbcnt_lo_u32_b32 v2, -1, 0
	v_mbcnt_hi_u32_b32 v2, -1, v2
	v_sub_u32_e32 v2, 63, v2
	s_movk_i32 s0, 0xff
	s_movk_i32 s6, 0x5f
	;; [unrolled: 1-line block ×6, first 2 shown]
	v_mov_b32_e32 v6, 0
	v_lshrrev_b64 v[2:3], v2, -1
	v_lshl_add_u32 v7, v9, 2, 0
	v_cmp_eq_u32_e64 s[0:1], s0, v0
	v_cmp_lt_u32_e64 s[2:3], 31, v0
	v_cmp_lt_u32_e64 s[4:5], 63, v0
	;; [unrolled: 1-line block ×7, first 2 shown]
	v_add_u32_e32 v8, 0x800, v8
	v_or_b32_e32 v9, 0xffffff00, v0
	s_mov_b64 s[22:23], 0
	v_mov_b32_e32 v10, 0
	s_branch .LBB222_54
.LBB222_53:                             ;   in Loop: Header=BB222_54 Depth=1
	s_or_b64 exec, exec, s[26:27]
	s_waitcnt lgkmcnt(0)
	s_barrier
	ds_read_b32 v4, v6 offset:6172
	v_add_co_u32_e32 v9, vcc, 0x100, v9
	s_xor_b64 s[26:27], vcc, -1
	s_and_b64 s[26:27], exec, s[26:27]
	v_add_u32_e32 v8, 0x800, v8
	s_waitcnt lgkmcnt(0)
	v_add_u32_e32 v10, v4, v10
	s_or_b64 s[22:23], s[26:27], s[22:23]
	v_add_u32_e32 v1, 0x400, v1
	s_andn2_b64 exec, exec, s[22:23]
	s_cbranch_execz .LBB222_72
.LBB222_54:                             ; =>This Inner Loop Header: Depth=1
	ds_read_b32 v11, v1
	ds_read2_b32 v[4:5], v8 offset1:1
	s_waitcnt lgkmcnt(0)
	s_barrier
	v_cmp_gt_i32_e32 vcc, s33, v11
	v_and_b32_e32 v13, vcc_lo, v2
	s_bcnt1_i32_b64 s25, vcc
	v_and_b32_e32 v12, vcc_hi, v3
	v_bcnt_u32_b32 v13, v13, 0
	v_bcnt_u32_b32 v12, v12, v13
	v_mov_b32_e32 v13, s25
	ds_write_b32 v7, v13 offset:6144
	s_waitcnt lgkmcnt(0)
	s_barrier
	s_and_saveexec_b64 s[26:27], s[2:3]
	s_cbranch_execnz .LBB222_63
; %bb.55:                               ;   in Loop: Header=BB222_54 Depth=1
	s_or_b64 exec, exec, s[26:27]
	s_and_saveexec_b64 s[26:27], s[4:5]
	s_cbranch_execnz .LBB222_64
.LBB222_56:                             ;   in Loop: Header=BB222_54 Depth=1
	s_or_b64 exec, exec, s[26:27]
	s_and_saveexec_b64 s[26:27], s[6:7]
	s_cbranch_execnz .LBB222_65
.LBB222_57:                             ;   in Loop: Header=BB222_54 Depth=1
	s_or_b64 exec, exec, s[26:27]
	s_and_saveexec_b64 s[26:27], s[8:9]
	s_cbranch_execnz .LBB222_66
.LBB222_58:                             ;   in Loop: Header=BB222_54 Depth=1
	s_or_b64 exec, exec, s[26:27]
	s_and_saveexec_b64 s[26:27], s[10:11]
	s_cbranch_execnz .LBB222_67
.LBB222_59:                             ;   in Loop: Header=BB222_54 Depth=1
	s_or_b64 exec, exec, s[26:27]
	s_and_saveexec_b64 s[26:27], s[12:13]
	s_cbranch_execnz .LBB222_68
.LBB222_60:                             ;   in Loop: Header=BB222_54 Depth=1
	s_or_b64 exec, exec, s[26:27]
	s_and_saveexec_b64 s[26:27], s[14:15]
	s_cbranch_execnz .LBB222_69
.LBB222_61:                             ;   in Loop: Header=BB222_54 Depth=1
	s_or_b64 exec, exec, s[26:27]
	s_and_saveexec_b64 s[26:27], vcc
	s_cbranch_execnz .LBB222_70
.LBB222_62:                             ;   in Loop: Header=BB222_54 Depth=1
	s_or_b64 exec, exec, s[26:27]
	s_and_saveexec_b64 s[26:27], s[0:1]
	s_cbranch_execz .LBB222_53
	s_branch .LBB222_71
.LBB222_63:                             ;   in Loop: Header=BB222_54 Depth=1
	ds_read_b32 v13, v6 offset:6144
	s_waitcnt lgkmcnt(0)
	v_add_u32_e32 v12, v13, v12
	s_or_b64 exec, exec, s[26:27]
	s_and_saveexec_b64 s[26:27], s[4:5]
	s_cbranch_execz .LBB222_56
.LBB222_64:                             ;   in Loop: Header=BB222_54 Depth=1
	ds_read_b32 v13, v6 offset:6148
	s_waitcnt lgkmcnt(0)
	v_add_u32_e32 v12, v13, v12
	s_or_b64 exec, exec, s[26:27]
	s_and_saveexec_b64 s[26:27], s[6:7]
	s_cbranch_execz .LBB222_57
.LBB222_65:                             ;   in Loop: Header=BB222_54 Depth=1
	ds_read_b32 v13, v6 offset:6152
	s_waitcnt lgkmcnt(0)
	v_add_u32_e32 v12, v13, v12
	s_or_b64 exec, exec, s[26:27]
	s_and_saveexec_b64 s[26:27], s[8:9]
	s_cbranch_execz .LBB222_58
.LBB222_66:                             ;   in Loop: Header=BB222_54 Depth=1
	ds_read_b32 v13, v6 offset:6156
	s_waitcnt lgkmcnt(0)
	v_add_u32_e32 v12, v13, v12
	s_or_b64 exec, exec, s[26:27]
	s_and_saveexec_b64 s[26:27], s[10:11]
	s_cbranch_execz .LBB222_59
.LBB222_67:                             ;   in Loop: Header=BB222_54 Depth=1
	ds_read_b32 v13, v6 offset:6160
	s_waitcnt lgkmcnt(0)
	v_add_u32_e32 v12, v13, v12
	s_or_b64 exec, exec, s[26:27]
	s_and_saveexec_b64 s[26:27], s[12:13]
	s_cbranch_execz .LBB222_60
.LBB222_68:                             ;   in Loop: Header=BB222_54 Depth=1
	ds_read_b32 v13, v6 offset:6164
	s_waitcnt lgkmcnt(0)
	v_add_u32_e32 v12, v13, v12
	s_or_b64 exec, exec, s[26:27]
	s_and_saveexec_b64 s[26:27], s[14:15]
	s_cbranch_execz .LBB222_61
.LBB222_69:                             ;   in Loop: Header=BB222_54 Depth=1
	ds_read_b32 v13, v6 offset:6168
	s_waitcnt lgkmcnt(0)
	v_add_u32_e32 v12, v13, v12
	s_or_b64 exec, exec, s[26:27]
	s_and_saveexec_b64 s[26:27], vcc
	s_cbranch_execz .LBB222_62
.LBB222_70:                             ;   in Loop: Header=BB222_54 Depth=1
	v_add3_u32 v13, v10, -1, v12
	v_lshl_add_u32 v14, v13, 2, 0
	v_lshl_add_u32 v13, v13, 3, 0
	v_add_u32_e32 v13, 0x800, v13
	ds_write_b32 v14, v11
	ds_write2_b32 v13, v4, v5 offset1:1
	s_or_b64 exec, exec, s[26:27]
	s_and_saveexec_b64 s[26:27], s[0:1]
	s_cbranch_execz .LBB222_53
.LBB222_71:                             ;   in Loop: Header=BB222_54 Depth=1
	ds_write_b32 v6, v12 offset:6172
	s_branch .LBB222_53
.LBB222_72:
	s_or_b64 exec, exec, s[20:21]
	s_ashr_i32 s25, s24, 31
	s_lshl_b64 s[0:1], s[24:25], 3
	s_add_u32 s0, s16, s0
	s_addc_u32 s1, s17, s1
	s_load_dwordx4 s[0:3], s[0:1], 0x0
	s_waitcnt lgkmcnt(0)
	s_sub_i32 s8, s2, s0
	v_cmp_gt_i32_e32 vcc, s8, v0
	s_and_saveexec_b64 s[4:5], vcc
	s_cbranch_execz .LBB222_82
; %bb.73:
	s_sub_u32 s4, s0, s30
	s_subb_u32 s5, s1, 0
	s_and_b32 s9, s8, 7
	s_sub_i32 s0, s0, s2
	s_cmp_lt_u32 s0, -7
	s_cselect_b64 s[0:1], -1, 0
	s_and_b32 s10, s8, -8
	s_cmp_lg_u32 s9, 0
	v_cndmask_b32_e64 v1, 0, 1, s[0:1]
	s_cselect_b64 s[2:3], -1, 0
	v_cmp_ne_u32_e64 s[0:1], 1, v1
	v_cndmask_b32_e64 v1, 0, 1, s[2:3]
	s_mov_b64 s[6:7], 0
	s_movk_i32 s11, 0x800
	v_cmp_ne_u32_e64 s[2:3], 1, v1
	s_branch .LBB222_75
.LBB222_74:                             ;   in Loop: Header=BB222_75 Depth=1
	v_lshlrev_b64 v[6:7], 2, v[4:5]
	v_mov_b32_e32 v8, s19
	v_add_co_u32_e32 v6, vcc, s18, v6
	s_waitcnt lgkmcnt(1)
	v_add_u32_e32 v1, s30, v1
	v_addc_co_u32_e32 v7, vcc, v8, v7, vcc
	v_lshlrev_b64 v[4:5], 3, v[4:5]
	global_store_dword v[6:7], v1, off
	v_mov_b32_e32 v1, s35
	v_add_co_u32_e32 v4, vcc, s34, v4
	v_addc_co_u32_e32 v5, vcc, v1, v5, vcc
	v_add_u32_e32 v0, 0x100, v0
	v_cmp_le_i32_e32 vcc, s8, v0
	s_or_b64 s[6:7], vcc, s[6:7]
	s_waitcnt lgkmcnt(0)
	global_store_dwordx2 v[4:5], v[2:3], off
	s_andn2_b64 exec, exec, s[6:7]
	s_cbranch_execz .LBB222_82
.LBB222_75:                             ; =>This Loop Header: Depth=1
                                        ;     Child Loop BB222_77 Depth 2
                                        ;     Child Loop BB222_81 Depth 2
	v_lshlrev_b32_e32 v1, 2, v0
	v_add_u32_e32 v2, 0, v1
	v_add3_u32 v3, v2, v1, s11
	ds_read_b32 v1, v2
	ds_read2_b32 v[2:3], v3 offset1:1
	s_and_b64 vcc, exec, s[0:1]
	v_pk_mov_b32 v[4:5], s[4:5], s[4:5] op_sel:[0,1]
	s_mov_b32 s12, 0
	s_cbranch_vccnz .LBB222_79
; %bb.76:                               ;   in Loop: Header=BB222_75 Depth=1
	s_mov_b32 s13, 0
	v_pk_mov_b32 v[4:5], s[4:5], s[4:5] op_sel:[0,1]
.LBB222_77:                             ;   Parent Loop BB222_75 Depth=1
                                        ; =>  This Inner Loop Header: Depth=2
	v_mov_b32_e32 v12, s13
	ds_read2_b32 v[6:7], v12 offset1:1
	ds_read2_b32 v[8:9], v12 offset0:2 offset1:3
	ds_read2_b32 v[10:11], v12 offset0:4 offset1:5
	;; [unrolled: 1-line block ×3, first 2 shown]
	s_add_i32 s12, s12, 8
	s_waitcnt lgkmcnt(3)
	v_cmp_gt_i32_e32 vcc, v1, v6
	v_cndmask_b32_e64 v6, 0, 1, vcc
	v_cmp_gt_i32_e32 vcc, v1, v7
	v_cndmask_b32_e64 v7, 0, 1, vcc
	s_waitcnt lgkmcnt(2)
	v_cmp_gt_i32_e32 vcc, v1, v8
	v_cndmask_b32_e64 v8, 0, 1, vcc
	v_cmp_gt_i32_e32 vcc, v1, v9
	v_cndmask_b32_e64 v9, 0, 1, vcc
	;; [unrolled: 5-line block ×4, first 2 shown]
	v_add_co_u32_e32 v4, vcc, v4, v6
	v_addc_co_u32_e32 v5, vcc, 0, v5, vcc
	v_add_co_u32_e32 v4, vcc, v4, v7
	v_addc_co_u32_e32 v5, vcc, 0, v5, vcc
	v_add_co_u32_e32 v4, vcc, v4, v8
	v_addc_co_u32_e32 v5, vcc, 0, v5, vcc
	v_add_co_u32_e32 v4, vcc, v4, v9
	v_addc_co_u32_e32 v5, vcc, 0, v5, vcc
	v_add_co_u32_e32 v4, vcc, v4, v10
	v_addc_co_u32_e32 v5, vcc, 0, v5, vcc
	v_add_co_u32_e32 v4, vcc, v4, v11
	v_addc_co_u32_e32 v5, vcc, 0, v5, vcc
	v_add_co_u32_e32 v4, vcc, v4, v12
	v_addc_co_u32_e32 v5, vcc, 0, v5, vcc
	s_add_i32 s13, s13, 32
	v_add_co_u32_e32 v4, vcc, v4, v13
	s_cmp_eq_u32 s10, s12
	v_addc_co_u32_e32 v5, vcc, 0, v5, vcc
	s_cbranch_scc0 .LBB222_77
; %bb.78:                               ;   in Loop: Header=BB222_75 Depth=1
	s_mov_b32 s12, s10
.LBB222_79:                             ;   in Loop: Header=BB222_75 Depth=1
	s_and_b64 vcc, exec, s[2:3]
	s_cbranch_vccnz .LBB222_74
; %bb.80:                               ;   in Loop: Header=BB222_75 Depth=1
	s_lshl_b32 s12, s12, 2
	s_add_i32 s12, s12, 0
	s_mov_b32 s13, s9
.LBB222_81:                             ;   Parent Loop BB222_75 Depth=1
                                        ; =>  This Inner Loop Header: Depth=2
	v_mov_b32_e32 v6, s12
	ds_read_b32 v6, v6
	s_add_i32 s12, s12, 4
	s_add_i32 s13, s13, -1
	s_cmp_lg_u32 s13, 0
	s_waitcnt lgkmcnt(0)
	v_cmp_gt_i32_e32 vcc, v1, v6
	v_cndmask_b32_e64 v6, 0, 1, vcc
	v_add_co_u32_e32 v4, vcc, v4, v6
	v_addc_co_u32_e32 v5, vcc, 0, v5, vcc
	s_cbranch_scc1 .LBB222_81
	s_branch .LBB222_74
.LBB222_82:
	s_endpgm
	.section	.rodata,"a",@progbits
	.p2align	6, 0x0
	.amdhsa_kernel _ZN9rocsparseL26csrgemm_fill_block_per_rowILj256ELj32ELj512ELj137ELj32Eli21rocsparse_complex_numIfEEEvT5_PKS3_S5_NS_24const_host_device_scalarIT6_EEPKT4_S5_PKS7_SB_S5_SD_S8_SB_S5_SD_SB_PS3_PS7_21rocsparse_index_base_SG_SG_SG_bbb
		.amdhsa_group_segment_fixed_size 0
		.amdhsa_private_segment_fixed_size 0
		.amdhsa_kernarg_size 156
		.amdhsa_user_sgpr_count 6
		.amdhsa_user_sgpr_private_segment_buffer 1
		.amdhsa_user_sgpr_dispatch_ptr 0
		.amdhsa_user_sgpr_queue_ptr 0
		.amdhsa_user_sgpr_kernarg_segment_ptr 1
		.amdhsa_user_sgpr_dispatch_id 0
		.amdhsa_user_sgpr_flat_scratch_init 0
		.amdhsa_user_sgpr_kernarg_preload_length 0
		.amdhsa_user_sgpr_kernarg_preload_offset 0
		.amdhsa_user_sgpr_private_segment_size 0
		.amdhsa_uses_dynamic_stack 0
		.amdhsa_system_sgpr_private_segment_wavefront_offset 0
		.amdhsa_system_sgpr_workgroup_id_x 1
		.amdhsa_system_sgpr_workgroup_id_y 0
		.amdhsa_system_sgpr_workgroup_id_z 0
		.amdhsa_system_sgpr_workgroup_info 0
		.amdhsa_system_vgpr_workitem_id 0
		.amdhsa_next_free_vgpr 23
		.amdhsa_next_free_sgpr 61
		.amdhsa_accum_offset 24
		.amdhsa_reserve_vcc 1
		.amdhsa_reserve_flat_scratch 0
		.amdhsa_float_round_mode_32 0
		.amdhsa_float_round_mode_16_64 0
		.amdhsa_float_denorm_mode_32 3
		.amdhsa_float_denorm_mode_16_64 3
		.amdhsa_dx10_clamp 1
		.amdhsa_ieee_mode 1
		.amdhsa_fp16_overflow 0
		.amdhsa_tg_split 0
		.amdhsa_exception_fp_ieee_invalid_op 0
		.amdhsa_exception_fp_denorm_src 0
		.amdhsa_exception_fp_ieee_div_zero 0
		.amdhsa_exception_fp_ieee_overflow 0
		.amdhsa_exception_fp_ieee_underflow 0
		.amdhsa_exception_fp_ieee_inexact 0
		.amdhsa_exception_int_div_zero 0
	.end_amdhsa_kernel
	.section	.text._ZN9rocsparseL26csrgemm_fill_block_per_rowILj256ELj32ELj512ELj137ELj32Eli21rocsparse_complex_numIfEEEvT5_PKS3_S5_NS_24const_host_device_scalarIT6_EEPKT4_S5_PKS7_SB_S5_SD_S8_SB_S5_SD_SB_PS3_PS7_21rocsparse_index_base_SG_SG_SG_bbb,"axG",@progbits,_ZN9rocsparseL26csrgemm_fill_block_per_rowILj256ELj32ELj512ELj137ELj32Eli21rocsparse_complex_numIfEEEvT5_PKS3_S5_NS_24const_host_device_scalarIT6_EEPKT4_S5_PKS7_SB_S5_SD_S8_SB_S5_SD_SB_PS3_PS7_21rocsparse_index_base_SG_SG_SG_bbb,comdat
.Lfunc_end222:
	.size	_ZN9rocsparseL26csrgemm_fill_block_per_rowILj256ELj32ELj512ELj137ELj32Eli21rocsparse_complex_numIfEEEvT5_PKS3_S5_NS_24const_host_device_scalarIT6_EEPKT4_S5_PKS7_SB_S5_SD_S8_SB_S5_SD_SB_PS3_PS7_21rocsparse_index_base_SG_SG_SG_bbb, .Lfunc_end222-_ZN9rocsparseL26csrgemm_fill_block_per_rowILj256ELj32ELj512ELj137ELj32Eli21rocsparse_complex_numIfEEEvT5_PKS3_S5_NS_24const_host_device_scalarIT6_EEPKT4_S5_PKS7_SB_S5_SD_S8_SB_S5_SD_SB_PS3_PS7_21rocsparse_index_base_SG_SG_SG_bbb
                                        ; -- End function
	.section	.AMDGPU.csdata,"",@progbits
; Kernel info:
; codeLenInByte = 2868
; NumSgprs: 65
; NumVgprs: 23
; NumAgprs: 0
; TotalNumVgprs: 23
; ScratchSize: 0
; MemoryBound: 0
; FloatMode: 240
; IeeeMode: 1
; LDSByteSize: 0 bytes/workgroup (compile time only)
; SGPRBlocks: 8
; VGPRBlocks: 2
; NumSGPRsForWavesPerEU: 65
; NumVGPRsForWavesPerEU: 23
; AccumOffset: 24
; Occupancy: 8
; WaveLimiterHint : 1
; COMPUTE_PGM_RSRC2:SCRATCH_EN: 0
; COMPUTE_PGM_RSRC2:USER_SGPR: 6
; COMPUTE_PGM_RSRC2:TRAP_HANDLER: 0
; COMPUTE_PGM_RSRC2:TGID_X_EN: 1
; COMPUTE_PGM_RSRC2:TGID_Y_EN: 0
; COMPUTE_PGM_RSRC2:TGID_Z_EN: 0
; COMPUTE_PGM_RSRC2:TIDIG_COMP_CNT: 0
; COMPUTE_PGM_RSRC3_GFX90A:ACCUM_OFFSET: 5
; COMPUTE_PGM_RSRC3_GFX90A:TG_SPLIT: 0
	.section	.text._ZN9rocsparseL26csrgemm_fill_block_per_rowILj256ELj32ELj512ELj137ELj64Eli21rocsparse_complex_numIfEEEvT5_PKS3_S5_NS_24const_host_device_scalarIT6_EEPKT4_S5_PKS7_SB_S5_SD_S8_SB_S5_SD_SB_PS3_PS7_21rocsparse_index_base_SG_SG_SG_bbb,"axG",@progbits,_ZN9rocsparseL26csrgemm_fill_block_per_rowILj256ELj32ELj512ELj137ELj64Eli21rocsparse_complex_numIfEEEvT5_PKS3_S5_NS_24const_host_device_scalarIT6_EEPKT4_S5_PKS7_SB_S5_SD_S8_SB_S5_SD_SB_PS3_PS7_21rocsparse_index_base_SG_SG_SG_bbb,comdat
	.globl	_ZN9rocsparseL26csrgemm_fill_block_per_rowILj256ELj32ELj512ELj137ELj64Eli21rocsparse_complex_numIfEEEvT5_PKS3_S5_NS_24const_host_device_scalarIT6_EEPKT4_S5_PKS7_SB_S5_SD_S8_SB_S5_SD_SB_PS3_PS7_21rocsparse_index_base_SG_SG_SG_bbb ; -- Begin function _ZN9rocsparseL26csrgemm_fill_block_per_rowILj256ELj32ELj512ELj137ELj64Eli21rocsparse_complex_numIfEEEvT5_PKS3_S5_NS_24const_host_device_scalarIT6_EEPKT4_S5_PKS7_SB_S5_SD_S8_SB_S5_SD_SB_PS3_PS7_21rocsparse_index_base_SG_SG_SG_bbb
	.p2align	8
	.type	_ZN9rocsparseL26csrgemm_fill_block_per_rowILj256ELj32ELj512ELj137ELj64Eli21rocsparse_complex_numIfEEEvT5_PKS3_S5_NS_24const_host_device_scalarIT6_EEPKT4_S5_PKS7_SB_S5_SD_S8_SB_S5_SD_SB_PS3_PS7_21rocsparse_index_base_SG_SG_SG_bbb,@function
_ZN9rocsparseL26csrgemm_fill_block_per_rowILj256ELj32ELj512ELj137ELj64Eli21rocsparse_complex_numIfEEEvT5_PKS3_S5_NS_24const_host_device_scalarIT6_EEPKT4_S5_PKS7_SB_S5_SD_S8_SB_S5_SD_SB_PS3_PS7_21rocsparse_index_base_SG_SG_SG_bbb: ; @_ZN9rocsparseL26csrgemm_fill_block_per_rowILj256ELj32ELj512ELj137ELj64Eli21rocsparse_complex_numIfEEEvT5_PKS3_S5_NS_24const_host_device_scalarIT6_EEPKT4_S5_PKS7_SB_S5_SD_S8_SB_S5_SD_SB_PS3_PS7_21rocsparse_index_base_SG_SG_SG_bbb
; %bb.0:
	s_load_dwordx8 s[8:15], s[4:5], 0x60
	s_load_dwordx8 s[16:23], s[4:5], 0x40
	s_load_dword s7, s[4:5], 0x98
	s_load_dwordx4 s[40:43], s[4:5], 0x8
	s_load_dwordx8 s[24:31], s[4:5], 0x20
	s_load_dwordx2 s[34:35], s[4:5], 0x80
	s_load_dwordx4 s[36:39], s[4:5], 0x88
	s_waitcnt lgkmcnt(0)
	s_bitcmp1_b32 s7, 0
	s_cselect_b64 s[46:47], -1, 0
	s_bitcmp1_b32 s7, 16
	s_cselect_b64 s[0:1], -1, 0
	s_xor_b64 s[0:1], s[0:1], -1
	v_cndmask_b32_e64 v1, 0, 1, s[0:1]
	s_mov_b32 s3, 0
	s_bitcmp0_b32 s7, 0
	v_cmp_ne_u32_e64 s[0:1], 1, v1
	s_mov_b32 s60, 0
	s_cbranch_scc1 .LBB223_5
; %bb.1:
	s_load_dwordx2 s[2:3], s[4:5], 0x18
	s_and_b64 vcc, exec, s[0:1]
	s_waitcnt lgkmcnt(0)
	s_mov_b32 s60, s2
	s_cbranch_vccnz .LBB223_3
; %bb.2:
	s_load_dword s60, s[2:3], 0x0
.LBB223_3:
	s_and_b64 vcc, exec, s[0:1]
	s_cbranch_vccnz .LBB223_5
; %bb.4:
	s_load_dword s3, s[2:3], 0x4
.LBB223_5:
	s_bitcmp1_b32 s7, 8
	s_cselect_b64 s[44:45], -1, 0
	s_bfe_u32 s2, s7, 0x10008
	s_mov_b32 s59, 0
	s_cmp_eq_u32 s2, 0
	s_mov_b32 s58, 0
	s_cbranch_scc1 .LBB223_11
; %bb.6:
	s_and_b64 vcc, exec, s[0:1]
	s_mov_b32 s58, s20
	s_cbranch_vccnz .LBB223_8
; %bb.7:
	s_load_dword s58, s[20:21], 0x0
.LBB223_8:
	s_and_b64 vcc, exec, s[0:1]
	s_cbranch_vccnz .LBB223_10
; %bb.9:
	s_load_dword s21, s[20:21], 0x4
.LBB223_10:
	s_waitcnt lgkmcnt(0)
	s_mov_b32 s59, s21
.LBB223_11:
	s_load_dword s33, s[4:5], 0x0
	s_movk_i32 s0, 0x200
	v_cmp_gt_u32_e64 s[0:1], s0, v0
	v_lshl_add_u32 v8, v0, 3, 0
	v_lshl_add_u32 v1, v0, 2, 0
	s_and_saveexec_b64 s[4:5], s[0:1]
	s_cbranch_execz .LBB223_14
; %bb.12:
	v_add_u32_e32 v2, 0x800, v8
	v_or_b32_e32 v3, 0xffffff00, v0
	v_lshl_add_u32 v4, v0, 2, 0
	s_mov_b64 s[20:21], 0
	s_waitcnt lgkmcnt(0)
	v_mov_b32_e32 v5, s33
	v_mov_b32_e32 v6, 0
.LBB223_13:                             ; =>This Inner Loop Header: Depth=1
	v_add_co_u32_e32 v3, vcc, 0x100, v3
	s_xor_b64 s[48:49], vcc, -1
	s_and_b64 s[48:49], exec, s[48:49]
	ds_write_b32 v4, v5
	ds_write2_b32 v2, v6, v6 offset1:1
	v_add_u32_e32 v2, 0x800, v2
	s_or_b64 s[20:21], s[48:49], s[20:21]
	v_add_u32_e32 v4, 0x400, v4
	s_andn2_b64 exec, exec, s[20:21]
	s_cbranch_execnz .LBB223_13
.LBB223_14:
	s_or_b64 exec, exec, s[4:5]
	s_waitcnt lgkmcnt(0)
	s_barrier
	s_load_dword s2, s[40:41], 0x0
	s_mov_b32 s5, 0
	s_waitcnt lgkmcnt(0)
	s_add_i32 s4, s2, s6
	s_lshl_b64 s[4:5], s[4:5], 2
	s_add_u32 s4, s42, s4
	s_addc_u32 s5, s43, s5
	s_load_dword s20, s[4:5], 0x0
	s_and_b64 vcc, exec, s[46:47]
	s_cbranch_vccz .LBB223_34
; %bb.15:
	s_waitcnt lgkmcnt(0)
	s_ashr_i32 s21, s20, 31
	s_lshl_b64 s[4:5], s[20:21], 3
	s_add_u32 s4, s24, s4
	s_addc_u32 s5, s25, s5
	s_load_dwordx4 s[40:43], s[4:5], 0x0
	v_lshrrev_b32_e32 v2, 5, v0
	v_subrev_co_u32_e32 v2, vcc, s36, v2
	v_subb_co_u32_e64 v3, s[6:7], 0, 0, vcc
	s_waitcnt lgkmcnt(0)
	s_sub_u32 s4, s42, s36
	v_mov_b32_e32 v4, s41
	v_add_co_u32_e32 v2, vcc, s40, v2
	s_subb_u32 s5, s43, 0
	v_addc_co_u32_e32 v3, vcc, v4, v3, vcc
	v_cmp_gt_i64_e32 vcc, s[4:5], v[2:3]
	s_and_saveexec_b64 s[6:7], vcc
	s_cbranch_execz .LBB223_33
; %bb.16:
	v_and_b32_e32 v4, 31, v0
	v_subrev_co_u32_e32 v9, vcc, s37, v4
	s_mov_b32 s21, 0
	v_subb_co_u32_e64 v10, s[24:25], 0, 0, vcc
	s_mov_b32 s2, s37
	s_mov_b64 s[24:25], 0
	v_mov_b32_e32 v11, s27
	v_mov_b32_e32 v12, s31
	;; [unrolled: 1-line block ×3, first 2 shown]
	s_movk_i32 s21, 0x89
	s_branch .LBB223_18
.LBB223_17:                             ;   in Loop: Header=BB223_18 Depth=1
	s_or_b64 exec, exec, s[40:41]
	v_add_co_u32_e32 v2, vcc, 8, v2
	v_addc_co_u32_e32 v3, vcc, 0, v3, vcc
	v_cmp_le_i64_e32 vcc, s[4:5], v[2:3]
	s_or_b64 s[24:25], vcc, s[24:25]
	s_andn2_b64 exec, exec, s[24:25]
	s_cbranch_execz .LBB223_33
.LBB223_18:                             ; =>This Loop Header: Depth=1
                                        ;     Child Loop BB223_21 Depth 2
                                        ;       Child Loop BB223_23 Depth 3
	v_lshlrev_b64 v[4:5], 2, v[2:3]
	v_add_co_u32_e32 v4, vcc, s26, v4
	v_addc_co_u32_e32 v5, vcc, v11, v5, vcc
	global_load_dword v4, v[4:5], off
	s_waitcnt vmcnt(0)
	v_subrev_u32_e32 v4, s36, v4
	v_ashrrev_i32_e32 v5, 31, v4
	v_lshlrev_b64 v[4:5], 3, v[4:5]
	v_add_co_u32_e32 v4, vcc, s30, v4
	v_addc_co_u32_e32 v5, vcc, v12, v5, vcc
	global_load_dwordx4 v[14:17], v[4:5], off
	s_waitcnt vmcnt(0)
	v_subrev_co_u32_e32 v4, vcc, s2, v16
	v_subb_co_u32_e32 v5, vcc, v17, v13, vcc
	v_add_co_u32_e32 v6, vcc, v14, v9
	v_addc_co_u32_e32 v7, vcc, v15, v10, vcc
	v_cmp_lt_i64_e32 vcc, v[6:7], v[4:5]
	s_and_saveexec_b64 s[40:41], vcc
	s_cbranch_execz .LBB223_17
; %bb.19:                               ;   in Loop: Header=BB223_18 Depth=1
	v_lshlrev_b64 v[14:15], 3, v[2:3]
	v_mov_b32_e32 v16, s29
	v_add_co_u32_e32 v14, vcc, s28, v14
	v_addc_co_u32_e32 v15, vcc, v16, v15, vcc
	global_load_dwordx2 v[16:17], v[14:15], off
	s_mov_b64 s[42:43], 0
	s_waitcnt vmcnt(0)
	v_mul_f32_e64 v14, v17, -s3
	v_mul_f32_e32 v15, s60, v17
	v_fmac_f32_e32 v14, s60, v16
	v_fmac_f32_e32 v15, s3, v16
	s_branch .LBB223_21
.LBB223_20:                             ;   in Loop: Header=BB223_21 Depth=2
	s_or_b64 exec, exec, s[46:47]
	v_add_co_u32_e32 v6, vcc, 32, v6
	v_addc_co_u32_e32 v7, vcc, 0, v7, vcc
	v_cmp_ge_i64_e32 vcc, v[6:7], v[4:5]
	s_or_b64 s[42:43], vcc, s[42:43]
	s_andn2_b64 exec, exec, s[42:43]
	s_cbranch_execz .LBB223_17
.LBB223_21:                             ;   Parent Loop BB223_18 Depth=1
                                        ; =>  This Loop Header: Depth=2
                                        ;       Child Loop BB223_23 Depth 3
	v_lshlrev_b64 v[16:17], 2, v[6:7]
	v_mov_b32_e32 v18, s17
	v_add_co_u32_e32 v16, vcc, s16, v16
	v_addc_co_u32_e32 v17, vcc, v18, v17, vcc
	global_load_dword v18, v[16:17], off
	v_lshlrev_b64 v[16:17], 3, v[6:7]
	v_mov_b32_e32 v19, s19
	v_add_co_u32_e32 v16, vcc, s18, v16
	v_addc_co_u32_e32 v17, vcc, v19, v17, vcc
	global_load_dwordx2 v[20:21], v[16:17], off
	s_mov_b64 s[46:47], 0
	s_waitcnt vmcnt(1)
	v_subrev_u32_e32 v16, s37, v18
	v_mul_lo_u32 v19, v16, s21
	v_and_b32_e32 v19, 0x1ff, v19
	s_waitcnt vmcnt(0)
	v_mul_f32_e64 v17, v21, -v15
	v_mul_f32_e32 v18, v14, v21
	v_fmac_f32_e32 v17, v14, v20
	v_fmac_f32_e32 v18, v15, v20
	s_branch .LBB223_23
.LBB223_22:                             ;   in Loop: Header=BB223_23 Depth=3
	s_or_b64 exec, exec, s[48:49]
	s_xor_b64 s[48:49], s[50:51], -1
	s_and_b64 s[48:49], exec, s[48:49]
	s_or_b64 s[46:47], s[48:49], s[46:47]
	s_andn2_b64 exec, exec, s[46:47]
	s_cbranch_execz .LBB223_20
.LBB223_23:                             ;   Parent Loop BB223_18 Depth=1
                                        ;     Parent Loop BB223_21 Depth=2
                                        ; =>    This Inner Loop Header: Depth=3
	v_lshl_add_u32 v20, v19, 2, 0
	ds_read_b32 v21, v20
                                        ; implicit-def: $sgpr50_sgpr51
	s_waitcnt lgkmcnt(0)
	v_cmp_ne_u32_e32 vcc, v21, v16
	s_and_saveexec_b64 s[48:49], vcc
	s_xor_b64 s[48:49], exec, s[48:49]
	s_cbranch_execz .LBB223_31
; %bb.24:                               ;   in Loop: Header=BB223_23 Depth=3
	v_cmp_ne_u32_e32 vcc, s33, v21
                                        ; implicit-def: $sgpr50_sgpr51
	s_and_saveexec_b64 s[52:53], vcc
	s_xor_b64 s[52:53], exec, s[52:53]
; %bb.25:                               ;   in Loop: Header=BB223_23 Depth=3
	v_add_u32_e32 v19, 1, v19
	v_and_b32_e32 v19, 0x1ff, v19
	s_mov_b64 s[50:51], -1
                                        ; implicit-def: $vgpr20
; %bb.26:                               ;   in Loop: Header=BB223_23 Depth=3
	s_andn2_saveexec_b64 s[52:53], s[52:53]
	s_cbranch_execz .LBB223_30
; %bb.27:                               ;   in Loop: Header=BB223_23 Depth=3
	v_mov_b32_e32 v21, s33
	ds_cmpst_rtn_b32 v21, v20, v21, v16
	s_mov_b64 s[54:55], -1
	s_waitcnt lgkmcnt(0)
	v_cmp_eq_u32_e32 vcc, s33, v21
	s_and_saveexec_b64 s[56:57], vcc
	s_cbranch_execz .LBB223_29
; %bb.28:                               ;   in Loop: Header=BB223_23 Depth=3
	v_lshl_add_u32 v20, v19, 2, v20
	ds_add_f32 v20, v17 offset:2048
	ds_add_f32 v20, v18 offset:2052
	s_xor_b64 s[54:55], exec, -1
.LBB223_29:                             ;   in Loop: Header=BB223_23 Depth=3
	s_or_b64 exec, exec, s[56:57]
	s_andn2_b64 s[50:51], s[50:51], exec
	s_and_b64 s[54:55], s[54:55], exec
	s_or_b64 s[50:51], s[50:51], s[54:55]
.LBB223_30:                             ;   in Loop: Header=BB223_23 Depth=3
	s_or_b64 exec, exec, s[52:53]
	s_and_b64 s[50:51], s[50:51], exec
                                        ; implicit-def: $vgpr20
.LBB223_31:                             ;   in Loop: Header=BB223_23 Depth=3
	s_andn2_saveexec_b64 s[48:49], s[48:49]
	s_cbranch_execz .LBB223_22
; %bb.32:                               ;   in Loop: Header=BB223_23 Depth=3
	v_lshl_add_u32 v20, v19, 2, v20
	ds_add_f32 v20, v17 offset:2048
	ds_add_f32 v20, v18 offset:2052
	s_andn2_b64 s[50:51], s[50:51], exec
	s_branch .LBB223_22
.LBB223_33:
	s_or_b64 exec, exec, s[6:7]
.LBB223_34:
	s_andn2_b64 vcc, exec, s[44:45]
	s_cbranch_vccnz .LBB223_51
; %bb.35:
	s_waitcnt lgkmcnt(0)
	s_ashr_i32 s21, s20, 31
	s_lshl_b64 s[2:3], s[20:21], 3
	s_add_u32 s2, s22, s2
	s_addc_u32 s3, s23, s3
	s_load_dwordx4 s[4:7], s[2:3], 0x0
	v_subrev_co_u32_e32 v2, vcc, s39, v0
	v_subb_co_u32_e64 v3, s[2:3], 0, 0, vcc
	s_waitcnt lgkmcnt(0)
	s_sub_u32 s2, s6, s39
	v_mov_b32_e32 v4, s5
	v_add_co_u32_e32 v2, vcc, s4, v2
	s_subb_u32 s3, s7, 0
	v_addc_co_u32_e32 v3, vcc, v4, v3, vcc
	v_cmp_gt_i64_e32 vcc, s[2:3], v[2:3]
	s_and_saveexec_b64 s[4:5], vcc
	s_cbranch_execz .LBB223_50
; %bb.36:
	s_mov_b64 s[6:7], 0
	v_mov_b32_e32 v4, s9
	v_mov_b32_e32 v5, s11
	s_movk_i32 s9, 0x89
	s_branch .LBB223_38
.LBB223_37:                             ;   in Loop: Header=BB223_38 Depth=1
	s_or_b64 exec, exec, s[16:17]
	v_add_co_u32_e32 v2, vcc, 0x100, v2
	v_addc_co_u32_e32 v3, vcc, 0, v3, vcc
	v_cmp_le_i64_e32 vcc, s[2:3], v[2:3]
	s_or_b64 s[6:7], vcc, s[6:7]
	s_andn2_b64 exec, exec, s[6:7]
	s_cbranch_execz .LBB223_50
.LBB223_38:                             ; =>This Loop Header: Depth=1
                                        ;     Child Loop BB223_40 Depth 2
	v_lshlrev_b64 v[6:7], 2, v[2:3]
	v_add_co_u32_e32 v6, vcc, s8, v6
	v_addc_co_u32_e32 v7, vcc, v4, v7, vcc
	global_load_dword v9, v[6:7], off
	v_lshlrev_b64 v[6:7], 3, v[2:3]
	v_add_co_u32_e32 v6, vcc, s10, v6
	v_addc_co_u32_e32 v7, vcc, v5, v7, vcc
	global_load_dwordx2 v[10:11], v[6:7], off
	s_mov_b64 s[16:17], 0
	s_waitcnt vmcnt(1)
	v_subrev_u32_e32 v6, s39, v9
	s_waitcnt vmcnt(0)
	v_mul_f32_e64 v7, v11, -s59
	v_mul_f32_e32 v9, s58, v11
	v_fmac_f32_e32 v7, s58, v10
	v_fmac_f32_e32 v9, s59, v10
	v_mul_lo_u32 v10, v6, s9
	v_and_b32_e32 v10, 0x1ff, v10
	s_branch .LBB223_40
.LBB223_39:                             ;   in Loop: Header=BB223_40 Depth=2
	s_or_b64 exec, exec, s[18:19]
	s_xor_b64 s[18:19], s[22:23], -1
	s_and_b64 s[18:19], exec, s[18:19]
	s_or_b64 s[16:17], s[18:19], s[16:17]
	s_andn2_b64 exec, exec, s[16:17]
	s_cbranch_execz .LBB223_37
.LBB223_40:                             ;   Parent Loop BB223_38 Depth=1
                                        ; =>  This Inner Loop Header: Depth=2
	v_lshl_add_u32 v11, v10, 2, 0
	ds_read_b32 v12, v11
                                        ; implicit-def: $sgpr22_sgpr23
	s_waitcnt lgkmcnt(0)
	v_cmp_ne_u32_e32 vcc, v12, v6
	s_and_saveexec_b64 s[18:19], vcc
	s_xor_b64 s[18:19], exec, s[18:19]
	s_cbranch_execz .LBB223_48
; %bb.41:                               ;   in Loop: Header=BB223_40 Depth=2
	v_cmp_ne_u32_e32 vcc, s33, v12
                                        ; implicit-def: $sgpr22_sgpr23
	s_and_saveexec_b64 s[24:25], vcc
	s_xor_b64 s[24:25], exec, s[24:25]
; %bb.42:                               ;   in Loop: Header=BB223_40 Depth=2
	v_add_u32_e32 v10, 1, v10
	v_and_b32_e32 v10, 0x1ff, v10
	s_mov_b64 s[22:23], -1
                                        ; implicit-def: $vgpr11
; %bb.43:                               ;   in Loop: Header=BB223_40 Depth=2
	s_andn2_saveexec_b64 s[24:25], s[24:25]
	s_cbranch_execz .LBB223_47
; %bb.44:                               ;   in Loop: Header=BB223_40 Depth=2
	v_mov_b32_e32 v12, s33
	ds_cmpst_rtn_b32 v12, v11, v12, v6
	s_mov_b64 s[26:27], -1
	s_waitcnt lgkmcnt(0)
	v_cmp_eq_u32_e32 vcc, s33, v12
	s_and_saveexec_b64 s[28:29], vcc
	s_cbranch_execz .LBB223_46
; %bb.45:                               ;   in Loop: Header=BB223_40 Depth=2
	v_lshl_add_u32 v11, v10, 2, v11
	ds_add_f32 v11, v7 offset:2048
	ds_add_f32 v11, v9 offset:2052
	s_xor_b64 s[26:27], exec, -1
.LBB223_46:                             ;   in Loop: Header=BB223_40 Depth=2
	s_or_b64 exec, exec, s[28:29]
	s_andn2_b64 s[22:23], s[22:23], exec
	s_and_b64 s[26:27], s[26:27], exec
	s_or_b64 s[22:23], s[22:23], s[26:27]
.LBB223_47:                             ;   in Loop: Header=BB223_40 Depth=2
	s_or_b64 exec, exec, s[24:25]
	s_and_b64 s[22:23], s[22:23], exec
                                        ; implicit-def: $vgpr11
.LBB223_48:                             ;   in Loop: Header=BB223_40 Depth=2
	s_andn2_saveexec_b64 s[18:19], s[18:19]
	s_cbranch_execz .LBB223_39
; %bb.49:                               ;   in Loop: Header=BB223_40 Depth=2
	v_lshl_add_u32 v11, v10, 2, v11
	ds_add_f32 v11, v7 offset:2048
	ds_add_f32 v11, v9 offset:2052
	s_andn2_b64 s[22:23], s[22:23], exec
	s_branch .LBB223_39
.LBB223_50:
	s_or_b64 exec, exec, s[4:5]
.LBB223_51:
	s_waitcnt lgkmcnt(0)
	s_barrier
	s_and_saveexec_b64 s[8:9], s[0:1]
	s_cbranch_execz .LBB223_64
; %bb.52:
	v_mbcnt_lo_u32_b32 v2, -1, 0
	v_mbcnt_hi_u32_b32 v2, -1, v2
	v_lshrrev_b32_e32 v4, 4, v0
	v_sub_u32_e32 v2, 63, v2
	v_and_b32_e32 v4, 12, v4
	s_movk_i32 s0, 0xff
	s_movk_i32 s4, 0x7f
	s_movk_i32 s6, 0xbf
	v_mov_b32_e32 v6, 0
	v_lshrrev_b64 v[2:3], v2, -1
	v_add_u32_e32 v7, 0, v4
	v_cmp_eq_u32_e64 s[0:1], s0, v0
	v_cmp_lt_u32_e64 s[2:3], 63, v0
	v_cmp_lt_u32_e64 s[4:5], s4, v0
	;; [unrolled: 1-line block ×3, first 2 shown]
	v_add_u32_e32 v8, 0x800, v8
	v_or_b32_e32 v9, 0xffffff00, v0
	s_mov_b64 s[10:11], 0
	v_mov_b32_e32 v10, 0
	s_branch .LBB223_54
.LBB223_53:                             ;   in Loop: Header=BB223_54 Depth=1
	s_or_b64 exec, exec, s[16:17]
	s_waitcnt lgkmcnt(0)
	s_barrier
	ds_read_b32 v4, v6 offset:6156
	v_add_co_u32_e32 v9, vcc, 0x100, v9
	s_xor_b64 s[16:17], vcc, -1
	s_and_b64 s[16:17], exec, s[16:17]
	v_add_u32_e32 v8, 0x800, v8
	s_waitcnt lgkmcnt(0)
	v_add_u32_e32 v10, v4, v10
	s_or_b64 s[10:11], s[16:17], s[10:11]
	v_add_u32_e32 v1, 0x400, v1
	s_andn2_b64 exec, exec, s[10:11]
	s_cbranch_execz .LBB223_64
.LBB223_54:                             ; =>This Inner Loop Header: Depth=1
	ds_read_b32 v11, v1
	ds_read2_b32 v[4:5], v8 offset1:1
	s_waitcnt lgkmcnt(0)
	s_barrier
	v_cmp_gt_i32_e32 vcc, s33, v11
	v_and_b32_e32 v13, vcc_lo, v2
	s_bcnt1_i32_b64 s16, vcc
	v_and_b32_e32 v12, vcc_hi, v3
	v_bcnt_u32_b32 v13, v13, 0
	v_bcnt_u32_b32 v12, v12, v13
	v_mov_b32_e32 v13, s16
	ds_write_b32 v7, v13 offset:6144
	s_waitcnt lgkmcnt(0)
	s_barrier
	s_and_saveexec_b64 s[16:17], s[2:3]
	s_cbranch_execnz .LBB223_59
; %bb.55:                               ;   in Loop: Header=BB223_54 Depth=1
	s_or_b64 exec, exec, s[16:17]
	s_and_saveexec_b64 s[16:17], s[4:5]
	s_cbranch_execnz .LBB223_60
.LBB223_56:                             ;   in Loop: Header=BB223_54 Depth=1
	s_or_b64 exec, exec, s[16:17]
	s_and_saveexec_b64 s[16:17], s[6:7]
	s_cbranch_execnz .LBB223_61
.LBB223_57:                             ;   in Loop: Header=BB223_54 Depth=1
	s_or_b64 exec, exec, s[16:17]
	s_and_saveexec_b64 s[16:17], vcc
	s_cbranch_execnz .LBB223_62
.LBB223_58:                             ;   in Loop: Header=BB223_54 Depth=1
	s_or_b64 exec, exec, s[16:17]
	s_and_saveexec_b64 s[16:17], s[0:1]
	s_cbranch_execz .LBB223_53
	s_branch .LBB223_63
.LBB223_59:                             ;   in Loop: Header=BB223_54 Depth=1
	ds_read_b32 v13, v6 offset:6144
	s_waitcnt lgkmcnt(0)
	v_add_u32_e32 v12, v13, v12
	s_or_b64 exec, exec, s[16:17]
	s_and_saveexec_b64 s[16:17], s[4:5]
	s_cbranch_execz .LBB223_56
.LBB223_60:                             ;   in Loop: Header=BB223_54 Depth=1
	ds_read_b32 v13, v6 offset:6148
	s_waitcnt lgkmcnt(0)
	v_add_u32_e32 v12, v13, v12
	s_or_b64 exec, exec, s[16:17]
	s_and_saveexec_b64 s[16:17], s[6:7]
	s_cbranch_execz .LBB223_57
.LBB223_61:                             ;   in Loop: Header=BB223_54 Depth=1
	ds_read_b32 v13, v6 offset:6152
	s_waitcnt lgkmcnt(0)
	v_add_u32_e32 v12, v13, v12
	s_or_b64 exec, exec, s[16:17]
	s_and_saveexec_b64 s[16:17], vcc
	s_cbranch_execz .LBB223_58
.LBB223_62:                             ;   in Loop: Header=BB223_54 Depth=1
	v_add3_u32 v13, v10, -1, v12
	v_lshl_add_u32 v14, v13, 2, 0
	v_lshl_add_u32 v13, v13, 3, 0
	v_add_u32_e32 v13, 0x800, v13
	ds_write_b32 v14, v11
	ds_write2_b32 v13, v4, v5 offset1:1
	s_or_b64 exec, exec, s[16:17]
	s_and_saveexec_b64 s[16:17], s[0:1]
	s_cbranch_execz .LBB223_53
.LBB223_63:                             ;   in Loop: Header=BB223_54 Depth=1
	ds_write_b32 v6, v12 offset:6156
	s_branch .LBB223_53
.LBB223_64:
	s_or_b64 exec, exec, s[8:9]
	s_ashr_i32 s21, s20, 31
	s_lshl_b64 s[0:1], s[20:21], 3
	s_add_u32 s0, s12, s0
	s_addc_u32 s1, s13, s1
	s_load_dwordx4 s[0:3], s[0:1], 0x0
	s_waitcnt lgkmcnt(0)
	s_sub_i32 s8, s2, s0
	v_cmp_gt_i32_e32 vcc, s8, v0
	s_and_saveexec_b64 s[4:5], vcc
	s_cbranch_execz .LBB223_74
; %bb.65:
	s_sub_u32 s4, s0, s38
	s_subb_u32 s5, s1, 0
	s_and_b32 s9, s8, 7
	s_sub_i32 s0, s0, s2
	s_cmp_lt_u32 s0, -7
	s_cselect_b64 s[0:1], -1, 0
	s_and_b32 s10, s8, -8
	s_cmp_lg_u32 s9, 0
	v_cndmask_b32_e64 v1, 0, 1, s[0:1]
	s_cselect_b64 s[2:3], -1, 0
	v_cmp_ne_u32_e64 s[0:1], 1, v1
	v_cndmask_b32_e64 v1, 0, 1, s[2:3]
	s_mov_b64 s[6:7], 0
	s_movk_i32 s11, 0x800
	v_cmp_ne_u32_e64 s[2:3], 1, v1
	s_branch .LBB223_67
.LBB223_66:                             ;   in Loop: Header=BB223_67 Depth=1
	v_lshlrev_b64 v[6:7], 2, v[4:5]
	v_mov_b32_e32 v8, s15
	v_add_co_u32_e32 v6, vcc, s14, v6
	s_waitcnt lgkmcnt(1)
	v_add_u32_e32 v1, s38, v1
	v_addc_co_u32_e32 v7, vcc, v8, v7, vcc
	v_lshlrev_b64 v[4:5], 3, v[4:5]
	global_store_dword v[6:7], v1, off
	v_mov_b32_e32 v1, s35
	v_add_co_u32_e32 v4, vcc, s34, v4
	v_addc_co_u32_e32 v5, vcc, v1, v5, vcc
	v_add_u32_e32 v0, 0x100, v0
	v_cmp_le_i32_e32 vcc, s8, v0
	s_or_b64 s[6:7], vcc, s[6:7]
	s_waitcnt lgkmcnt(0)
	global_store_dwordx2 v[4:5], v[2:3], off
	s_andn2_b64 exec, exec, s[6:7]
	s_cbranch_execz .LBB223_74
.LBB223_67:                             ; =>This Loop Header: Depth=1
                                        ;     Child Loop BB223_69 Depth 2
                                        ;     Child Loop BB223_73 Depth 2
	v_lshlrev_b32_e32 v1, 2, v0
	v_add_u32_e32 v2, 0, v1
	v_add3_u32 v3, v2, v1, s11
	ds_read_b32 v1, v2
	ds_read2_b32 v[2:3], v3 offset1:1
	s_and_b64 vcc, exec, s[0:1]
	v_pk_mov_b32 v[4:5], s[4:5], s[4:5] op_sel:[0,1]
	s_mov_b32 s12, 0
	s_cbranch_vccnz .LBB223_71
; %bb.68:                               ;   in Loop: Header=BB223_67 Depth=1
	s_mov_b32 s13, 0
	v_pk_mov_b32 v[4:5], s[4:5], s[4:5] op_sel:[0,1]
.LBB223_69:                             ;   Parent Loop BB223_67 Depth=1
                                        ; =>  This Inner Loop Header: Depth=2
	v_mov_b32_e32 v12, s13
	ds_read2_b32 v[6:7], v12 offset1:1
	ds_read2_b32 v[8:9], v12 offset0:2 offset1:3
	ds_read2_b32 v[10:11], v12 offset0:4 offset1:5
	;; [unrolled: 1-line block ×3, first 2 shown]
	s_add_i32 s12, s12, 8
	s_waitcnt lgkmcnt(3)
	v_cmp_gt_i32_e32 vcc, v1, v6
	v_cndmask_b32_e64 v6, 0, 1, vcc
	v_cmp_gt_i32_e32 vcc, v1, v7
	v_cndmask_b32_e64 v7, 0, 1, vcc
	s_waitcnt lgkmcnt(2)
	v_cmp_gt_i32_e32 vcc, v1, v8
	v_cndmask_b32_e64 v8, 0, 1, vcc
	v_cmp_gt_i32_e32 vcc, v1, v9
	v_cndmask_b32_e64 v9, 0, 1, vcc
	s_waitcnt lgkmcnt(1)
	v_cmp_gt_i32_e32 vcc, v1, v10
	v_cndmask_b32_e64 v10, 0, 1, vcc
	v_cmp_gt_i32_e32 vcc, v1, v11
	v_cndmask_b32_e64 v11, 0, 1, vcc
	s_waitcnt lgkmcnt(0)
	v_cmp_gt_i32_e32 vcc, v1, v12
	v_cndmask_b32_e64 v12, 0, 1, vcc
	v_cmp_gt_i32_e32 vcc, v1, v13
	v_cndmask_b32_e64 v13, 0, 1, vcc
	v_add_co_u32_e32 v4, vcc, v4, v6
	v_addc_co_u32_e32 v5, vcc, 0, v5, vcc
	v_add_co_u32_e32 v4, vcc, v4, v7
	v_addc_co_u32_e32 v5, vcc, 0, v5, vcc
	;; [unrolled: 2-line block ×7, first 2 shown]
	s_add_i32 s13, s13, 32
	v_add_co_u32_e32 v4, vcc, v4, v13
	s_cmp_eq_u32 s10, s12
	v_addc_co_u32_e32 v5, vcc, 0, v5, vcc
	s_cbranch_scc0 .LBB223_69
; %bb.70:                               ;   in Loop: Header=BB223_67 Depth=1
	s_mov_b32 s12, s10
.LBB223_71:                             ;   in Loop: Header=BB223_67 Depth=1
	s_and_b64 vcc, exec, s[2:3]
	s_cbranch_vccnz .LBB223_66
; %bb.72:                               ;   in Loop: Header=BB223_67 Depth=1
	s_lshl_b32 s12, s12, 2
	s_add_i32 s12, s12, 0
	s_mov_b32 s13, s9
.LBB223_73:                             ;   Parent Loop BB223_67 Depth=1
                                        ; =>  This Inner Loop Header: Depth=2
	v_mov_b32_e32 v6, s12
	ds_read_b32 v6, v6
	s_add_i32 s12, s12, 4
	s_add_i32 s13, s13, -1
	s_cmp_lg_u32 s13, 0
	s_waitcnt lgkmcnt(0)
	v_cmp_gt_i32_e32 vcc, v1, v6
	v_cndmask_b32_e64 v6, 0, 1, vcc
	v_add_co_u32_e32 v4, vcc, v4, v6
	v_addc_co_u32_e32 v5, vcc, 0, v5, vcc
	s_cbranch_scc1 .LBB223_73
	s_branch .LBB223_66
.LBB223_74:
	s_endpgm
	.section	.rodata,"a",@progbits
	.p2align	6, 0x0
	.amdhsa_kernel _ZN9rocsparseL26csrgemm_fill_block_per_rowILj256ELj32ELj512ELj137ELj64Eli21rocsparse_complex_numIfEEEvT5_PKS3_S5_NS_24const_host_device_scalarIT6_EEPKT4_S5_PKS7_SB_S5_SD_S8_SB_S5_SD_SB_PS3_PS7_21rocsparse_index_base_SG_SG_SG_bbb
		.amdhsa_group_segment_fixed_size 0
		.amdhsa_private_segment_fixed_size 0
		.amdhsa_kernarg_size 156
		.amdhsa_user_sgpr_count 6
		.amdhsa_user_sgpr_private_segment_buffer 1
		.amdhsa_user_sgpr_dispatch_ptr 0
		.amdhsa_user_sgpr_queue_ptr 0
		.amdhsa_user_sgpr_kernarg_segment_ptr 1
		.amdhsa_user_sgpr_dispatch_id 0
		.amdhsa_user_sgpr_flat_scratch_init 0
		.amdhsa_user_sgpr_kernarg_preload_length 0
		.amdhsa_user_sgpr_kernarg_preload_offset 0
		.amdhsa_user_sgpr_private_segment_size 0
		.amdhsa_uses_dynamic_stack 0
		.amdhsa_system_sgpr_private_segment_wavefront_offset 0
		.amdhsa_system_sgpr_workgroup_id_x 1
		.amdhsa_system_sgpr_workgroup_id_y 0
		.amdhsa_system_sgpr_workgroup_id_z 0
		.amdhsa_system_sgpr_workgroup_info 0
		.amdhsa_system_vgpr_workitem_id 0
		.amdhsa_next_free_vgpr 22
		.amdhsa_next_free_sgpr 61
		.amdhsa_accum_offset 24
		.amdhsa_reserve_vcc 1
		.amdhsa_reserve_flat_scratch 0
		.amdhsa_float_round_mode_32 0
		.amdhsa_float_round_mode_16_64 0
		.amdhsa_float_denorm_mode_32 3
		.amdhsa_float_denorm_mode_16_64 3
		.amdhsa_dx10_clamp 1
		.amdhsa_ieee_mode 1
		.amdhsa_fp16_overflow 0
		.amdhsa_tg_split 0
		.amdhsa_exception_fp_ieee_invalid_op 0
		.amdhsa_exception_fp_denorm_src 0
		.amdhsa_exception_fp_ieee_div_zero 0
		.amdhsa_exception_fp_ieee_overflow 0
		.amdhsa_exception_fp_ieee_underflow 0
		.amdhsa_exception_fp_ieee_inexact 0
		.amdhsa_exception_int_div_zero 0
	.end_amdhsa_kernel
	.section	.text._ZN9rocsparseL26csrgemm_fill_block_per_rowILj256ELj32ELj512ELj137ELj64Eli21rocsparse_complex_numIfEEEvT5_PKS3_S5_NS_24const_host_device_scalarIT6_EEPKT4_S5_PKS7_SB_S5_SD_S8_SB_S5_SD_SB_PS3_PS7_21rocsparse_index_base_SG_SG_SG_bbb,"axG",@progbits,_ZN9rocsparseL26csrgemm_fill_block_per_rowILj256ELj32ELj512ELj137ELj64Eli21rocsparse_complex_numIfEEEvT5_PKS3_S5_NS_24const_host_device_scalarIT6_EEPKT4_S5_PKS7_SB_S5_SD_S8_SB_S5_SD_SB_PS3_PS7_21rocsparse_index_base_SG_SG_SG_bbb,comdat
.Lfunc_end223:
	.size	_ZN9rocsparseL26csrgemm_fill_block_per_rowILj256ELj32ELj512ELj137ELj64Eli21rocsparse_complex_numIfEEEvT5_PKS3_S5_NS_24const_host_device_scalarIT6_EEPKT4_S5_PKS7_SB_S5_SD_S8_SB_S5_SD_SB_PS3_PS7_21rocsparse_index_base_SG_SG_SG_bbb, .Lfunc_end223-_ZN9rocsparseL26csrgemm_fill_block_per_rowILj256ELj32ELj512ELj137ELj64Eli21rocsparse_complex_numIfEEEvT5_PKS3_S5_NS_24const_host_device_scalarIT6_EEPKT4_S5_PKS7_SB_S5_SD_S8_SB_S5_SD_SB_PS3_PS7_21rocsparse_index_base_SG_SG_SG_bbb
                                        ; -- End function
	.section	.AMDGPU.csdata,"",@progbits
; Kernel info:
; codeLenInByte = 2668
; NumSgprs: 65
; NumVgprs: 22
; NumAgprs: 0
; TotalNumVgprs: 22
; ScratchSize: 0
; MemoryBound: 0
; FloatMode: 240
; IeeeMode: 1
; LDSByteSize: 0 bytes/workgroup (compile time only)
; SGPRBlocks: 8
; VGPRBlocks: 2
; NumSGPRsForWavesPerEU: 65
; NumVGPRsForWavesPerEU: 22
; AccumOffset: 24
; Occupancy: 8
; WaveLimiterHint : 1
; COMPUTE_PGM_RSRC2:SCRATCH_EN: 0
; COMPUTE_PGM_RSRC2:USER_SGPR: 6
; COMPUTE_PGM_RSRC2:TRAP_HANDLER: 0
; COMPUTE_PGM_RSRC2:TGID_X_EN: 1
; COMPUTE_PGM_RSRC2:TGID_Y_EN: 0
; COMPUTE_PGM_RSRC2:TGID_Z_EN: 0
; COMPUTE_PGM_RSRC2:TIDIG_COMP_CNT: 0
; COMPUTE_PGM_RSRC3_GFX90A:ACCUM_OFFSET: 5
; COMPUTE_PGM_RSRC3_GFX90A:TG_SPLIT: 0
	.section	.text._ZN9rocsparseL26csrgemm_fill_block_per_rowILj512ELj32ELj1024ELj137ELj32Eli21rocsparse_complex_numIfEEEvT5_PKS3_S5_NS_24const_host_device_scalarIT6_EEPKT4_S5_PKS7_SB_S5_SD_S8_SB_S5_SD_SB_PS3_PS7_21rocsparse_index_base_SG_SG_SG_bbb,"axG",@progbits,_ZN9rocsparseL26csrgemm_fill_block_per_rowILj512ELj32ELj1024ELj137ELj32Eli21rocsparse_complex_numIfEEEvT5_PKS3_S5_NS_24const_host_device_scalarIT6_EEPKT4_S5_PKS7_SB_S5_SD_S8_SB_S5_SD_SB_PS3_PS7_21rocsparse_index_base_SG_SG_SG_bbb,comdat
	.globl	_ZN9rocsparseL26csrgemm_fill_block_per_rowILj512ELj32ELj1024ELj137ELj32Eli21rocsparse_complex_numIfEEEvT5_PKS3_S5_NS_24const_host_device_scalarIT6_EEPKT4_S5_PKS7_SB_S5_SD_S8_SB_S5_SD_SB_PS3_PS7_21rocsparse_index_base_SG_SG_SG_bbb ; -- Begin function _ZN9rocsparseL26csrgemm_fill_block_per_rowILj512ELj32ELj1024ELj137ELj32Eli21rocsparse_complex_numIfEEEvT5_PKS3_S5_NS_24const_host_device_scalarIT6_EEPKT4_S5_PKS7_SB_S5_SD_S8_SB_S5_SD_SB_PS3_PS7_21rocsparse_index_base_SG_SG_SG_bbb
	.p2align	8
	.type	_ZN9rocsparseL26csrgemm_fill_block_per_rowILj512ELj32ELj1024ELj137ELj32Eli21rocsparse_complex_numIfEEEvT5_PKS3_S5_NS_24const_host_device_scalarIT6_EEPKT4_S5_PKS7_SB_S5_SD_S8_SB_S5_SD_SB_PS3_PS7_21rocsparse_index_base_SG_SG_SG_bbb,@function
_ZN9rocsparseL26csrgemm_fill_block_per_rowILj512ELj32ELj1024ELj137ELj32Eli21rocsparse_complex_numIfEEEvT5_PKS3_S5_NS_24const_host_device_scalarIT6_EEPKT4_S5_PKS7_SB_S5_SD_S8_SB_S5_SD_SB_PS3_PS7_21rocsparse_index_base_SG_SG_SG_bbb: ; @_ZN9rocsparseL26csrgemm_fill_block_per_rowILj512ELj32ELj1024ELj137ELj32Eli21rocsparse_complex_numIfEEEvT5_PKS3_S5_NS_24const_host_device_scalarIT6_EEPKT4_S5_PKS7_SB_S5_SD_S8_SB_S5_SD_SB_PS3_PS7_21rocsparse_index_base_SG_SG_SG_bbb
; %bb.0:
	s_load_dwordx8 s[36:43], s[4:5], 0x60
	s_load_dwordx8 s[8:15], s[4:5], 0x40
	s_load_dword s7, s[4:5], 0x98
	s_load_dwordx4 s[24:27], s[4:5], 0x8
	s_load_dwordx8 s[16:23], s[4:5], 0x20
	s_load_dwordx2 s[34:35], s[4:5], 0x80
	s_load_dwordx4 s[44:47], s[4:5], 0x88
	s_waitcnt lgkmcnt(0)
	s_bitcmp1_b32 s7, 0
	s_cselect_b64 s[30:31], -1, 0
	s_bitcmp1_b32 s7, 16
	s_cselect_b64 s[0:1], -1, 0
	s_xor_b64 s[0:1], s[0:1], -1
	v_cndmask_b32_e64 v1, 0, 1, s[0:1]
	s_mov_b32 s3, 0
	s_bitcmp0_b32 s7, 0
	v_cmp_ne_u32_e64 s[0:1], 1, v1
	s_mov_b32 s58, 0
	s_cbranch_scc1 .LBB224_5
; %bb.1:
	s_load_dwordx2 s[2:3], s[4:5], 0x18
	s_and_b64 vcc, exec, s[0:1]
	s_waitcnt lgkmcnt(0)
	s_mov_b32 s58, s2
	s_cbranch_vccnz .LBB224_3
; %bb.2:
	s_load_dword s58, s[2:3], 0x0
.LBB224_3:
	s_and_b64 vcc, exec, s[0:1]
	s_cbranch_vccnz .LBB224_5
; %bb.4:
	s_load_dword s3, s[2:3], 0x4
.LBB224_5:
	s_bitcmp1_b32 s7, 8
	s_cselect_b64 s[28:29], -1, 0
	s_bfe_u32 s2, s7, 0x10008
	s_mov_b32 s57, 0
	s_cmp_eq_u32 s2, 0
	s_mov_b32 s56, 0
	s_cbranch_scc1 .LBB224_11
; %bb.6:
	s_and_b64 vcc, exec, s[0:1]
	s_mov_b32 s56, s12
	s_cbranch_vccnz .LBB224_8
; %bb.7:
	s_load_dword s56, s[12:13], 0x0
.LBB224_8:
	s_and_b64 vcc, exec, s[0:1]
	s_cbranch_vccnz .LBB224_10
; %bb.9:
	s_load_dword s13, s[12:13], 0x4
.LBB224_10:
	s_waitcnt lgkmcnt(0)
	s_mov_b32 s57, s13
.LBB224_11:
	s_load_dword s33, s[4:5], 0x0
	v_lshl_add_u32 v1, v0, 3, 0
	v_add_u32_e32 v1, 0x1000, v1
	v_or_b32_e32 v8, 0xfffffe00, v0
	v_lshl_add_u32 v9, v0, 2, 0
	s_mov_b64 s[0:1], 0
	s_waitcnt lgkmcnt(0)
	v_mov_b32_e32 v2, s33
	v_mov_b32_e32 v3, 0
	;; [unrolled: 1-line block ×5, first 2 shown]
.LBB224_12:                             ; =>This Inner Loop Header: Depth=1
	v_add_co_u32_e32 v5, vcc, 0x200, v5
	s_xor_b64 s[4:5], vcc, -1
	s_and_b64 s[4:5], exec, s[4:5]
	ds_write_b32 v4, v2
	ds_write2_b32 v6, v3, v3 offset1:1
	v_add_u32_e32 v6, 0x1000, v6
	s_or_b64 s[0:1], s[4:5], s[0:1]
	v_add_u32_e32 v4, 0x800, v4
	s_andn2_b64 exec, exec, s[0:1]
	s_cbranch_execnz .LBB224_12
; %bb.13:
	s_or_b64 exec, exec, s[0:1]
	s_waitcnt lgkmcnt(0)
	s_barrier
	s_load_dword s0, s[24:25], 0x0
	s_mov_b32 s1, 0
	v_lshrrev_b32_e32 v10, 5, v0
	s_waitcnt lgkmcnt(0)
	s_add_i32 s0, s0, s6
	s_lshl_b64 s[0:1], s[0:1], 2
	s_add_u32 s0, s26, s0
	s_addc_u32 s1, s27, s1
	s_load_dword s48, s[0:1], 0x0
	s_and_b64 vcc, exec, s[30:31]
	s_cbranch_vccz .LBB224_33
; %bb.14:
	s_waitcnt lgkmcnt(0)
	s_ashr_i32 s49, s48, 31
	s_lshl_b64 s[0:1], s[48:49], 3
	s_add_u32 s0, s16, s0
	s_addc_u32 s1, s17, s1
	s_load_dwordx4 s[4:7], s[0:1], 0x0
	v_subrev_co_u32_e32 v2, vcc, s44, v10
	v_subb_co_u32_e64 v3, s[0:1], 0, 0, vcc
	s_waitcnt lgkmcnt(0)
	s_sub_u32 s0, s6, s44
	v_mov_b32_e32 v4, s5
	v_add_co_u32_e32 v2, vcc, s4, v2
	s_subb_u32 s1, s7, 0
	v_addc_co_u32_e32 v3, vcc, v4, v3, vcc
	v_cmp_gt_i64_e32 vcc, s[0:1], v[2:3]
	s_and_saveexec_b64 s[4:5], vcc
	s_cbranch_execz .LBB224_32
; %bb.15:
	v_and_b32_e32 v4, 31, v0
	v_subrev_co_u32_e32 v11, vcc, s45, v4
	s_mov_b32 s12, 0
	v_subb_co_u32_e64 v12, s[6:7], 0, 0, vcc
	s_mov_b32 s2, s45
	s_mov_b64 s[6:7], 0
	v_mov_b32_e32 v13, s19
	v_mov_b32_e32 v14, s23
	;; [unrolled: 1-line block ×3, first 2 shown]
	s_movk_i32 s19, 0x89
	s_branch .LBB224_17
.LBB224_16:                             ;   in Loop: Header=BB224_17 Depth=1
	s_or_b64 exec, exec, s[12:13]
	v_add_co_u32_e32 v2, vcc, 16, v2
	v_addc_co_u32_e32 v3, vcc, 0, v3, vcc
	v_cmp_le_i64_e32 vcc, s[0:1], v[2:3]
	s_or_b64 s[6:7], vcc, s[6:7]
	s_andn2_b64 exec, exec, s[6:7]
	s_cbranch_execz .LBB224_32
.LBB224_17:                             ; =>This Loop Header: Depth=1
                                        ;     Child Loop BB224_20 Depth 2
                                        ;       Child Loop BB224_22 Depth 3
	v_lshlrev_b64 v[4:5], 2, v[2:3]
	v_add_co_u32_e32 v4, vcc, s18, v4
	v_addc_co_u32_e32 v5, vcc, v13, v5, vcc
	global_load_dword v4, v[4:5], off
	s_waitcnt vmcnt(0)
	v_subrev_u32_e32 v4, s44, v4
	v_ashrrev_i32_e32 v5, 31, v4
	v_lshlrev_b64 v[4:5], 3, v[4:5]
	v_add_co_u32_e32 v4, vcc, s22, v4
	v_addc_co_u32_e32 v5, vcc, v14, v5, vcc
	global_load_dwordx4 v[16:19], v[4:5], off
	s_waitcnt vmcnt(0)
	v_subrev_co_u32_e32 v4, vcc, s2, v18
	v_subb_co_u32_e32 v5, vcc, v19, v15, vcc
	v_add_co_u32_e32 v6, vcc, v16, v11
	v_addc_co_u32_e32 v7, vcc, v17, v12, vcc
	v_cmp_lt_i64_e32 vcc, v[6:7], v[4:5]
	s_and_saveexec_b64 s[12:13], vcc
	s_cbranch_execz .LBB224_16
; %bb.18:                               ;   in Loop: Header=BB224_17 Depth=1
	v_lshlrev_b64 v[16:17], 3, v[2:3]
	v_mov_b32_e32 v18, s21
	v_add_co_u32_e32 v16, vcc, s20, v16
	v_addc_co_u32_e32 v17, vcc, v18, v17, vcc
	global_load_dwordx2 v[18:19], v[16:17], off
	s_mov_b64 s[16:17], 0
	s_waitcnt vmcnt(0)
	v_mul_f32_e64 v16, v19, -s3
	v_mul_f32_e32 v17, s58, v19
	v_fmac_f32_e32 v16, s58, v18
	v_fmac_f32_e32 v17, s3, v18
	s_branch .LBB224_20
.LBB224_19:                             ;   in Loop: Header=BB224_20 Depth=2
	s_or_b64 exec, exec, s[24:25]
	v_add_co_u32_e32 v6, vcc, 32, v6
	v_addc_co_u32_e32 v7, vcc, 0, v7, vcc
	v_cmp_ge_i64_e32 vcc, v[6:7], v[4:5]
	s_or_b64 s[16:17], vcc, s[16:17]
	s_andn2_b64 exec, exec, s[16:17]
	s_cbranch_execz .LBB224_16
.LBB224_20:                             ;   Parent Loop BB224_17 Depth=1
                                        ; =>  This Loop Header: Depth=2
                                        ;       Child Loop BB224_22 Depth 3
	v_lshlrev_b64 v[18:19], 2, v[6:7]
	v_mov_b32_e32 v20, s9
	v_add_co_u32_e32 v18, vcc, s8, v18
	v_addc_co_u32_e32 v19, vcc, v20, v19, vcc
	global_load_dword v20, v[18:19], off
	v_lshlrev_b64 v[18:19], 3, v[6:7]
	v_mov_b32_e32 v21, s11
	v_add_co_u32_e32 v18, vcc, s10, v18
	v_addc_co_u32_e32 v19, vcc, v21, v19, vcc
	global_load_dwordx2 v[22:23], v[18:19], off
	s_mov_b64 s[24:25], 0
	s_waitcnt vmcnt(1)
	v_subrev_u32_e32 v18, s45, v20
	v_mul_lo_u32 v21, v18, s19
	v_and_b32_e32 v21, 0x3ff, v21
	s_waitcnt vmcnt(0)
	v_mul_f32_e64 v19, v23, -v17
	v_mul_f32_e32 v20, v16, v23
	v_fmac_f32_e32 v19, v16, v22
	v_fmac_f32_e32 v20, v17, v22
	s_branch .LBB224_22
.LBB224_21:                             ;   in Loop: Header=BB224_22 Depth=3
	s_or_b64 exec, exec, s[26:27]
	s_xor_b64 s[26:27], s[30:31], -1
	s_and_b64 s[26:27], exec, s[26:27]
	s_or_b64 s[24:25], s[26:27], s[24:25]
	s_andn2_b64 exec, exec, s[24:25]
	s_cbranch_execz .LBB224_19
.LBB224_22:                             ;   Parent Loop BB224_17 Depth=1
                                        ;     Parent Loop BB224_20 Depth=2
                                        ; =>    This Inner Loop Header: Depth=3
	v_lshl_add_u32 v22, v21, 2, 0
	ds_read_b32 v23, v22
                                        ; implicit-def: $sgpr30_sgpr31
	s_waitcnt lgkmcnt(0)
	v_cmp_ne_u32_e32 vcc, v23, v18
	s_and_saveexec_b64 s[26:27], vcc
	s_xor_b64 s[26:27], exec, s[26:27]
	s_cbranch_execz .LBB224_30
; %bb.23:                               ;   in Loop: Header=BB224_22 Depth=3
	v_cmp_ne_u32_e32 vcc, s33, v23
                                        ; implicit-def: $sgpr30_sgpr31
	s_and_saveexec_b64 s[50:51], vcc
	s_xor_b64 s[50:51], exec, s[50:51]
; %bb.24:                               ;   in Loop: Header=BB224_22 Depth=3
	v_add_u32_e32 v21, 1, v21
	v_and_b32_e32 v21, 0x3ff, v21
	s_mov_b64 s[30:31], -1
                                        ; implicit-def: $vgpr22
; %bb.25:                               ;   in Loop: Header=BB224_22 Depth=3
	s_andn2_saveexec_b64 s[50:51], s[50:51]
	s_cbranch_execz .LBB224_29
; %bb.26:                               ;   in Loop: Header=BB224_22 Depth=3
	v_mov_b32_e32 v23, s33
	ds_cmpst_rtn_b32 v23, v22, v23, v18
	s_mov_b64 s[52:53], -1
	s_waitcnt lgkmcnt(0)
	v_cmp_eq_u32_e32 vcc, s33, v23
	s_and_saveexec_b64 s[54:55], vcc
	s_cbranch_execz .LBB224_28
; %bb.27:                               ;   in Loop: Header=BB224_22 Depth=3
	v_lshl_add_u32 v22, v21, 2, v22
	ds_add_f32 v22, v19 offset:4096
	ds_add_f32 v22, v20 offset:4100
	s_xor_b64 s[52:53], exec, -1
.LBB224_28:                             ;   in Loop: Header=BB224_22 Depth=3
	s_or_b64 exec, exec, s[54:55]
	s_andn2_b64 s[30:31], s[30:31], exec
	s_and_b64 s[52:53], s[52:53], exec
	s_or_b64 s[30:31], s[30:31], s[52:53]
.LBB224_29:                             ;   in Loop: Header=BB224_22 Depth=3
	s_or_b64 exec, exec, s[50:51]
	s_and_b64 s[30:31], s[30:31], exec
                                        ; implicit-def: $vgpr22
.LBB224_30:                             ;   in Loop: Header=BB224_22 Depth=3
	s_andn2_saveexec_b64 s[26:27], s[26:27]
	s_cbranch_execz .LBB224_21
; %bb.31:                               ;   in Loop: Header=BB224_22 Depth=3
	v_lshl_add_u32 v22, v21, 2, v22
	ds_add_f32 v22, v19 offset:4096
	ds_add_f32 v22, v20 offset:4100
	s_andn2_b64 s[30:31], s[30:31], exec
	s_branch .LBB224_21
.LBB224_32:
	s_or_b64 exec, exec, s[4:5]
.LBB224_33:
	s_andn2_b64 vcc, exec, s[28:29]
	s_cbranch_vccnz .LBB224_50
; %bb.34:
	s_waitcnt lgkmcnt(0)
	s_ashr_i32 s49, s48, 31
	s_lshl_b64 s[0:1], s[48:49], 3
	s_add_u32 s0, s14, s0
	s_addc_u32 s1, s15, s1
	s_load_dwordx4 s[4:7], s[0:1], 0x0
	v_subrev_co_u32_e32 v2, vcc, s47, v0
	v_subb_co_u32_e64 v3, s[0:1], 0, 0, vcc
	s_waitcnt lgkmcnt(0)
	s_sub_u32 s0, s6, s47
	v_mov_b32_e32 v4, s5
	v_add_co_u32_e32 v2, vcc, s4, v2
	s_subb_u32 s1, s7, 0
	v_addc_co_u32_e32 v3, vcc, v4, v3, vcc
	v_cmp_gt_i64_e32 vcc, s[0:1], v[2:3]
	s_and_saveexec_b64 s[2:3], vcc
	s_cbranch_execz .LBB224_49
; %bb.35:
	s_mov_b64 s[4:5], 0
	v_mov_b32_e32 v4, s37
	v_mov_b32_e32 v5, s39
	s_movk_i32 s18, 0x89
	s_branch .LBB224_37
.LBB224_36:                             ;   in Loop: Header=BB224_37 Depth=1
	s_or_b64 exec, exec, s[6:7]
	v_add_co_u32_e32 v2, vcc, 0x200, v2
	v_addc_co_u32_e32 v3, vcc, 0, v3, vcc
	v_cmp_le_i64_e32 vcc, s[0:1], v[2:3]
	s_or_b64 s[4:5], vcc, s[4:5]
	s_andn2_b64 exec, exec, s[4:5]
	s_cbranch_execz .LBB224_49
.LBB224_37:                             ; =>This Loop Header: Depth=1
                                        ;     Child Loop BB224_39 Depth 2
	v_lshlrev_b64 v[6:7], 2, v[2:3]
	v_add_co_u32_e32 v6, vcc, s36, v6
	v_addc_co_u32_e32 v7, vcc, v4, v7, vcc
	global_load_dword v11, v[6:7], off
	v_lshlrev_b64 v[6:7], 3, v[2:3]
	v_add_co_u32_e32 v6, vcc, s38, v6
	v_addc_co_u32_e32 v7, vcc, v5, v7, vcc
	global_load_dwordx2 v[12:13], v[6:7], off
	s_mov_b64 s[6:7], 0
	s_waitcnt vmcnt(1)
	v_subrev_u32_e32 v6, s47, v11
	s_waitcnt vmcnt(0)
	v_mul_f32_e64 v7, v13, -s57
	v_mul_f32_e32 v11, s56, v13
	v_fmac_f32_e32 v7, s56, v12
	v_fmac_f32_e32 v11, s57, v12
	v_mul_lo_u32 v12, v6, s18
	v_and_b32_e32 v12, 0x3ff, v12
	s_branch .LBB224_39
.LBB224_38:                             ;   in Loop: Header=BB224_39 Depth=2
	s_or_b64 exec, exec, s[8:9]
	s_xor_b64 s[8:9], s[10:11], -1
	s_and_b64 s[8:9], exec, s[8:9]
	s_or_b64 s[6:7], s[8:9], s[6:7]
	s_andn2_b64 exec, exec, s[6:7]
	s_cbranch_execz .LBB224_36
.LBB224_39:                             ;   Parent Loop BB224_37 Depth=1
                                        ; =>  This Inner Loop Header: Depth=2
	v_lshl_add_u32 v13, v12, 2, 0
	ds_read_b32 v14, v13
                                        ; implicit-def: $sgpr10_sgpr11
	s_waitcnt lgkmcnt(0)
	v_cmp_ne_u32_e32 vcc, v14, v6
	s_and_saveexec_b64 s[8:9], vcc
	s_xor_b64 s[8:9], exec, s[8:9]
	s_cbranch_execz .LBB224_47
; %bb.40:                               ;   in Loop: Header=BB224_39 Depth=2
	v_cmp_ne_u32_e32 vcc, s33, v14
                                        ; implicit-def: $sgpr10_sgpr11
	s_and_saveexec_b64 s[12:13], vcc
	s_xor_b64 s[12:13], exec, s[12:13]
; %bb.41:                               ;   in Loop: Header=BB224_39 Depth=2
	v_add_u32_e32 v12, 1, v12
	v_and_b32_e32 v12, 0x3ff, v12
	s_mov_b64 s[10:11], -1
                                        ; implicit-def: $vgpr13
; %bb.42:                               ;   in Loop: Header=BB224_39 Depth=2
	s_andn2_saveexec_b64 s[12:13], s[12:13]
	s_cbranch_execz .LBB224_46
; %bb.43:                               ;   in Loop: Header=BB224_39 Depth=2
	v_mov_b32_e32 v14, s33
	ds_cmpst_rtn_b32 v14, v13, v14, v6
	s_mov_b64 s[14:15], -1
	s_waitcnt lgkmcnt(0)
	v_cmp_eq_u32_e32 vcc, s33, v14
	s_and_saveexec_b64 s[16:17], vcc
	s_cbranch_execz .LBB224_45
; %bb.44:                               ;   in Loop: Header=BB224_39 Depth=2
	v_lshl_add_u32 v13, v12, 2, v13
	ds_add_f32 v13, v7 offset:4096
	ds_add_f32 v13, v11 offset:4100
	s_xor_b64 s[14:15], exec, -1
.LBB224_45:                             ;   in Loop: Header=BB224_39 Depth=2
	s_or_b64 exec, exec, s[16:17]
	s_andn2_b64 s[10:11], s[10:11], exec
	s_and_b64 s[14:15], s[14:15], exec
	s_or_b64 s[10:11], s[10:11], s[14:15]
.LBB224_46:                             ;   in Loop: Header=BB224_39 Depth=2
	s_or_b64 exec, exec, s[12:13]
	s_and_b64 s[10:11], s[10:11], exec
                                        ; implicit-def: $vgpr13
.LBB224_47:                             ;   in Loop: Header=BB224_39 Depth=2
	s_andn2_saveexec_b64 s[8:9], s[8:9]
	s_cbranch_execz .LBB224_38
; %bb.48:                               ;   in Loop: Header=BB224_39 Depth=2
	v_lshl_add_u32 v13, v12, 2, v13
	ds_add_f32 v13, v7 offset:4096
	ds_add_f32 v13, v11 offset:4100
	s_andn2_b64 s[10:11], s[10:11], exec
	s_branch .LBB224_38
.LBB224_49:
	s_or_b64 exec, exec, s[2:3]
.LBB224_50:
	v_mbcnt_lo_u32_b32 v2, -1, 0
	v_mbcnt_hi_u32_b32 v2, -1, v2
	v_sub_u32_e32 v2, 63, v2
	s_movk_i32 s0, 0x1ff
	s_movk_i32 s6, 0x5f
	s_movk_i32 s8, 0x7f
	s_movk_i32 s10, 0x9f
	s_movk_i32 s12, 0xbf
	s_movk_i32 s14, 0xdf
	s_movk_i32 s16, 0xff
	s_movk_i32 s18, 0x11f
	s_movk_i32 s20, 0x13f
	s_movk_i32 s22, 0x15f
	s_movk_i32 s24, 0x17f
	s_movk_i32 s26, 0x19f
	s_movk_i32 s28, 0x1bf
	s_movk_i32 s30, 0x1df
	v_mov_b32_e32 v6, 0
	v_lshrrev_b64 v[2:3], v2, -1
	v_lshl_add_u32 v7, v10, 2, 0
	v_cmp_eq_u32_e64 s[0:1], s0, v0
	v_cmp_lt_u32_e64 s[2:3], 31, v0
	v_cmp_lt_u32_e64 s[4:5], 63, v0
	;; [unrolled: 1-line block ×15, first 2 shown]
	s_mov_b64 s[36:37], 0
	v_mov_b32_e32 v10, 0
	s_waitcnt lgkmcnt(0)
	s_barrier
	s_branch .LBB224_52
.LBB224_51:                             ;   in Loop: Header=BB224_52 Depth=1
	s_or_b64 exec, exec, s[38:39]
	s_waitcnt lgkmcnt(0)
	s_barrier
	ds_read_b32 v4, v6 offset:12348
	v_add_co_u32_e32 v8, vcc, 0x200, v8
	s_xor_b64 s[38:39], vcc, -1
	s_and_b64 s[38:39], exec, s[38:39]
	v_add_u32_e32 v1, 0x1000, v1
	s_waitcnt lgkmcnt(0)
	v_add_u32_e32 v10, v4, v10
	s_or_b64 s[36:37], s[38:39], s[36:37]
	v_add_u32_e32 v9, 0x800, v9
	s_andn2_b64 exec, exec, s[36:37]
	s_cbranch_execz .LBB224_86
.LBB224_52:                             ; =>This Inner Loop Header: Depth=1
	ds_read_b32 v11, v9
	ds_read2_b32 v[4:5], v1 offset1:1
	s_waitcnt lgkmcnt(0)
	s_barrier
	v_cmp_gt_i32_e32 vcc, s33, v11
	v_and_b32_e32 v13, vcc_lo, v2
	s_bcnt1_i32_b64 s38, vcc
	v_and_b32_e32 v12, vcc_hi, v3
	v_bcnt_u32_b32 v13, v13, 0
	v_bcnt_u32_b32 v12, v12, v13
	v_mov_b32_e32 v13, s38
	ds_write_b32 v7, v13 offset:12288
	s_waitcnt lgkmcnt(0)
	s_barrier
	s_and_saveexec_b64 s[38:39], s[2:3]
	s_cbranch_execnz .LBB224_69
; %bb.53:                               ;   in Loop: Header=BB224_52 Depth=1
	s_or_b64 exec, exec, s[38:39]
	s_and_saveexec_b64 s[38:39], s[4:5]
	s_cbranch_execnz .LBB224_70
.LBB224_54:                             ;   in Loop: Header=BB224_52 Depth=1
	s_or_b64 exec, exec, s[38:39]
	s_and_saveexec_b64 s[38:39], s[6:7]
	s_cbranch_execnz .LBB224_71
.LBB224_55:                             ;   in Loop: Header=BB224_52 Depth=1
	s_or_b64 exec, exec, s[38:39]
	s_and_saveexec_b64 s[38:39], s[8:9]
	s_cbranch_execnz .LBB224_72
.LBB224_56:                             ;   in Loop: Header=BB224_52 Depth=1
	s_or_b64 exec, exec, s[38:39]
	s_and_saveexec_b64 s[38:39], s[10:11]
	s_cbranch_execnz .LBB224_73
.LBB224_57:                             ;   in Loop: Header=BB224_52 Depth=1
	s_or_b64 exec, exec, s[38:39]
	s_and_saveexec_b64 s[38:39], s[12:13]
	s_cbranch_execnz .LBB224_74
.LBB224_58:                             ;   in Loop: Header=BB224_52 Depth=1
	s_or_b64 exec, exec, s[38:39]
	s_and_saveexec_b64 s[38:39], s[14:15]
	s_cbranch_execnz .LBB224_75
.LBB224_59:                             ;   in Loop: Header=BB224_52 Depth=1
	s_or_b64 exec, exec, s[38:39]
	s_and_saveexec_b64 s[38:39], s[16:17]
	s_cbranch_execnz .LBB224_76
.LBB224_60:                             ;   in Loop: Header=BB224_52 Depth=1
	s_or_b64 exec, exec, s[38:39]
	s_and_saveexec_b64 s[38:39], s[18:19]
	s_cbranch_execnz .LBB224_77
.LBB224_61:                             ;   in Loop: Header=BB224_52 Depth=1
	s_or_b64 exec, exec, s[38:39]
	s_and_saveexec_b64 s[38:39], s[20:21]
	s_cbranch_execnz .LBB224_78
.LBB224_62:                             ;   in Loop: Header=BB224_52 Depth=1
	s_or_b64 exec, exec, s[38:39]
	s_and_saveexec_b64 s[38:39], s[22:23]
	s_cbranch_execnz .LBB224_79
.LBB224_63:                             ;   in Loop: Header=BB224_52 Depth=1
	s_or_b64 exec, exec, s[38:39]
	s_and_saveexec_b64 s[38:39], s[24:25]
	s_cbranch_execnz .LBB224_80
.LBB224_64:                             ;   in Loop: Header=BB224_52 Depth=1
	s_or_b64 exec, exec, s[38:39]
	s_and_saveexec_b64 s[38:39], s[26:27]
	s_cbranch_execnz .LBB224_81
.LBB224_65:                             ;   in Loop: Header=BB224_52 Depth=1
	s_or_b64 exec, exec, s[38:39]
	s_and_saveexec_b64 s[38:39], s[28:29]
	s_cbranch_execnz .LBB224_82
.LBB224_66:                             ;   in Loop: Header=BB224_52 Depth=1
	s_or_b64 exec, exec, s[38:39]
	s_and_saveexec_b64 s[38:39], s[30:31]
	s_cbranch_execnz .LBB224_83
.LBB224_67:                             ;   in Loop: Header=BB224_52 Depth=1
	s_or_b64 exec, exec, s[38:39]
	s_and_saveexec_b64 s[38:39], vcc
	s_cbranch_execnz .LBB224_84
.LBB224_68:                             ;   in Loop: Header=BB224_52 Depth=1
	s_or_b64 exec, exec, s[38:39]
	s_and_saveexec_b64 s[38:39], s[0:1]
	s_cbranch_execz .LBB224_51
	s_branch .LBB224_85
.LBB224_69:                             ;   in Loop: Header=BB224_52 Depth=1
	ds_read_b32 v13, v6 offset:12288
	s_waitcnt lgkmcnt(0)
	v_add_u32_e32 v12, v13, v12
	s_or_b64 exec, exec, s[38:39]
	s_and_saveexec_b64 s[38:39], s[4:5]
	s_cbranch_execz .LBB224_54
.LBB224_70:                             ;   in Loop: Header=BB224_52 Depth=1
	ds_read_b32 v13, v6 offset:12292
	s_waitcnt lgkmcnt(0)
	v_add_u32_e32 v12, v13, v12
	s_or_b64 exec, exec, s[38:39]
	s_and_saveexec_b64 s[38:39], s[6:7]
	s_cbranch_execz .LBB224_55
.LBB224_71:                             ;   in Loop: Header=BB224_52 Depth=1
	ds_read_b32 v13, v6 offset:12296
	s_waitcnt lgkmcnt(0)
	v_add_u32_e32 v12, v13, v12
	s_or_b64 exec, exec, s[38:39]
	s_and_saveexec_b64 s[38:39], s[8:9]
	s_cbranch_execz .LBB224_56
.LBB224_72:                             ;   in Loop: Header=BB224_52 Depth=1
	ds_read_b32 v13, v6 offset:12300
	s_waitcnt lgkmcnt(0)
	v_add_u32_e32 v12, v13, v12
	s_or_b64 exec, exec, s[38:39]
	s_and_saveexec_b64 s[38:39], s[10:11]
	s_cbranch_execz .LBB224_57
.LBB224_73:                             ;   in Loop: Header=BB224_52 Depth=1
	ds_read_b32 v13, v6 offset:12304
	s_waitcnt lgkmcnt(0)
	v_add_u32_e32 v12, v13, v12
	s_or_b64 exec, exec, s[38:39]
	s_and_saveexec_b64 s[38:39], s[12:13]
	s_cbranch_execz .LBB224_58
.LBB224_74:                             ;   in Loop: Header=BB224_52 Depth=1
	ds_read_b32 v13, v6 offset:12308
	s_waitcnt lgkmcnt(0)
	v_add_u32_e32 v12, v13, v12
	s_or_b64 exec, exec, s[38:39]
	s_and_saveexec_b64 s[38:39], s[14:15]
	s_cbranch_execz .LBB224_59
.LBB224_75:                             ;   in Loop: Header=BB224_52 Depth=1
	ds_read_b32 v13, v6 offset:12312
	s_waitcnt lgkmcnt(0)
	v_add_u32_e32 v12, v13, v12
	s_or_b64 exec, exec, s[38:39]
	s_and_saveexec_b64 s[38:39], s[16:17]
	s_cbranch_execz .LBB224_60
.LBB224_76:                             ;   in Loop: Header=BB224_52 Depth=1
	ds_read_b32 v13, v6 offset:12316
	s_waitcnt lgkmcnt(0)
	v_add_u32_e32 v12, v13, v12
	s_or_b64 exec, exec, s[38:39]
	s_and_saveexec_b64 s[38:39], s[18:19]
	s_cbranch_execz .LBB224_61
.LBB224_77:                             ;   in Loop: Header=BB224_52 Depth=1
	ds_read_b32 v13, v6 offset:12320
	s_waitcnt lgkmcnt(0)
	v_add_u32_e32 v12, v13, v12
	s_or_b64 exec, exec, s[38:39]
	s_and_saveexec_b64 s[38:39], s[20:21]
	s_cbranch_execz .LBB224_62
.LBB224_78:                             ;   in Loop: Header=BB224_52 Depth=1
	ds_read_b32 v13, v6 offset:12324
	s_waitcnt lgkmcnt(0)
	v_add_u32_e32 v12, v13, v12
	s_or_b64 exec, exec, s[38:39]
	s_and_saveexec_b64 s[38:39], s[22:23]
	s_cbranch_execz .LBB224_63
.LBB224_79:                             ;   in Loop: Header=BB224_52 Depth=1
	ds_read_b32 v13, v6 offset:12328
	s_waitcnt lgkmcnt(0)
	v_add_u32_e32 v12, v13, v12
	s_or_b64 exec, exec, s[38:39]
	s_and_saveexec_b64 s[38:39], s[24:25]
	s_cbranch_execz .LBB224_64
.LBB224_80:                             ;   in Loop: Header=BB224_52 Depth=1
	ds_read_b32 v13, v6 offset:12332
	s_waitcnt lgkmcnt(0)
	v_add_u32_e32 v12, v13, v12
	s_or_b64 exec, exec, s[38:39]
	s_and_saveexec_b64 s[38:39], s[26:27]
	s_cbranch_execz .LBB224_65
.LBB224_81:                             ;   in Loop: Header=BB224_52 Depth=1
	ds_read_b32 v13, v6 offset:12336
	s_waitcnt lgkmcnt(0)
	v_add_u32_e32 v12, v13, v12
	s_or_b64 exec, exec, s[38:39]
	s_and_saveexec_b64 s[38:39], s[28:29]
	s_cbranch_execz .LBB224_66
.LBB224_82:                             ;   in Loop: Header=BB224_52 Depth=1
	ds_read_b32 v13, v6 offset:12340
	s_waitcnt lgkmcnt(0)
	v_add_u32_e32 v12, v13, v12
	s_or_b64 exec, exec, s[38:39]
	s_and_saveexec_b64 s[38:39], s[30:31]
	s_cbranch_execz .LBB224_67
.LBB224_83:                             ;   in Loop: Header=BB224_52 Depth=1
	ds_read_b32 v13, v6 offset:12344
	s_waitcnt lgkmcnt(0)
	v_add_u32_e32 v12, v13, v12
	s_or_b64 exec, exec, s[38:39]
	s_and_saveexec_b64 s[38:39], vcc
	s_cbranch_execz .LBB224_68
.LBB224_84:                             ;   in Loop: Header=BB224_52 Depth=1
	v_add3_u32 v13, v10, -1, v12
	v_lshl_add_u32 v14, v13, 2, 0
	v_lshl_add_u32 v13, v13, 3, 0
	v_add_u32_e32 v13, 0x1000, v13
	ds_write_b32 v14, v11
	ds_write2_b32 v13, v4, v5 offset1:1
	s_or_b64 exec, exec, s[38:39]
	s_and_saveexec_b64 s[38:39], s[0:1]
	s_cbranch_execz .LBB224_51
.LBB224_85:                             ;   in Loop: Header=BB224_52 Depth=1
	ds_write_b32 v6, v12 offset:12348
	s_branch .LBB224_51
.LBB224_86:
	s_or_b64 exec, exec, s[36:37]
	s_ashr_i32 s49, s48, 31
	s_lshl_b64 s[0:1], s[48:49], 3
	s_add_u32 s0, s40, s0
	s_addc_u32 s1, s41, s1
	s_load_dwordx4 s[0:3], s[0:1], 0x0
	s_waitcnt lgkmcnt(0)
	s_sub_i32 s8, s2, s0
	v_cmp_gt_i32_e32 vcc, s8, v0
	s_and_saveexec_b64 s[4:5], vcc
	s_cbranch_execz .LBB224_96
; %bb.87:
	s_sub_u32 s4, s0, s46
	s_subb_u32 s5, s1, 0
	s_and_b32 s9, s8, 7
	s_sub_i32 s0, s0, s2
	s_cmp_lt_u32 s0, -7
	s_cselect_b64 s[0:1], -1, 0
	s_and_b32 s10, s8, -8
	s_cmp_lg_u32 s9, 0
	v_cndmask_b32_e64 v1, 0, 1, s[0:1]
	s_cselect_b64 s[2:3], -1, 0
	v_cmp_ne_u32_e64 s[0:1], 1, v1
	v_cndmask_b32_e64 v1, 0, 1, s[2:3]
	s_mov_b64 s[6:7], 0
	s_movk_i32 s11, 0x1000
	v_cmp_ne_u32_e64 s[2:3], 1, v1
	s_branch .LBB224_89
.LBB224_88:                             ;   in Loop: Header=BB224_89 Depth=1
	v_lshlrev_b64 v[6:7], 2, v[4:5]
	v_mov_b32_e32 v8, s43
	v_add_co_u32_e32 v6, vcc, s42, v6
	s_waitcnt lgkmcnt(1)
	v_add_u32_e32 v1, s46, v1
	v_addc_co_u32_e32 v7, vcc, v8, v7, vcc
	v_lshlrev_b64 v[4:5], 3, v[4:5]
	global_store_dword v[6:7], v1, off
	v_mov_b32_e32 v1, s35
	v_add_co_u32_e32 v4, vcc, s34, v4
	v_addc_co_u32_e32 v5, vcc, v1, v5, vcc
	v_add_u32_e32 v0, 0x200, v0
	v_cmp_le_i32_e32 vcc, s8, v0
	s_or_b64 s[6:7], vcc, s[6:7]
	s_waitcnt lgkmcnt(0)
	global_store_dwordx2 v[4:5], v[2:3], off
	s_andn2_b64 exec, exec, s[6:7]
	s_cbranch_execz .LBB224_96
.LBB224_89:                             ; =>This Loop Header: Depth=1
                                        ;     Child Loop BB224_91 Depth 2
                                        ;     Child Loop BB224_95 Depth 2
	v_lshlrev_b32_e32 v1, 2, v0
	v_add_u32_e32 v2, 0, v1
	v_add3_u32 v3, v2, v1, s11
	ds_read_b32 v1, v2
	ds_read2_b32 v[2:3], v3 offset1:1
	s_and_b64 vcc, exec, s[0:1]
	v_pk_mov_b32 v[4:5], s[4:5], s[4:5] op_sel:[0,1]
	s_mov_b32 s12, 0
	s_cbranch_vccnz .LBB224_93
; %bb.90:                               ;   in Loop: Header=BB224_89 Depth=1
	s_mov_b32 s13, 0
	v_pk_mov_b32 v[4:5], s[4:5], s[4:5] op_sel:[0,1]
.LBB224_91:                             ;   Parent Loop BB224_89 Depth=1
                                        ; =>  This Inner Loop Header: Depth=2
	v_mov_b32_e32 v12, s13
	ds_read2_b32 v[6:7], v12 offset1:1
	ds_read2_b32 v[8:9], v12 offset0:2 offset1:3
	ds_read2_b32 v[10:11], v12 offset0:4 offset1:5
	;; [unrolled: 1-line block ×3, first 2 shown]
	s_add_i32 s12, s12, 8
	s_waitcnt lgkmcnt(3)
	v_cmp_gt_i32_e32 vcc, v1, v6
	v_cndmask_b32_e64 v6, 0, 1, vcc
	v_cmp_gt_i32_e32 vcc, v1, v7
	v_cndmask_b32_e64 v7, 0, 1, vcc
	s_waitcnt lgkmcnt(2)
	v_cmp_gt_i32_e32 vcc, v1, v8
	v_cndmask_b32_e64 v8, 0, 1, vcc
	v_cmp_gt_i32_e32 vcc, v1, v9
	v_cndmask_b32_e64 v9, 0, 1, vcc
	s_waitcnt lgkmcnt(1)
	v_cmp_gt_i32_e32 vcc, v1, v10
	v_cndmask_b32_e64 v10, 0, 1, vcc
	v_cmp_gt_i32_e32 vcc, v1, v11
	v_cndmask_b32_e64 v11, 0, 1, vcc
	s_waitcnt lgkmcnt(0)
	v_cmp_gt_i32_e32 vcc, v1, v12
	v_cndmask_b32_e64 v12, 0, 1, vcc
	v_cmp_gt_i32_e32 vcc, v1, v13
	v_cndmask_b32_e64 v13, 0, 1, vcc
	v_add_co_u32_e32 v4, vcc, v4, v6
	v_addc_co_u32_e32 v5, vcc, 0, v5, vcc
	v_add_co_u32_e32 v4, vcc, v4, v7
	v_addc_co_u32_e32 v5, vcc, 0, v5, vcc
	;; [unrolled: 2-line block ×7, first 2 shown]
	s_add_i32 s13, s13, 32
	v_add_co_u32_e32 v4, vcc, v4, v13
	s_cmp_eq_u32 s10, s12
	v_addc_co_u32_e32 v5, vcc, 0, v5, vcc
	s_cbranch_scc0 .LBB224_91
; %bb.92:                               ;   in Loop: Header=BB224_89 Depth=1
	s_mov_b32 s12, s10
.LBB224_93:                             ;   in Loop: Header=BB224_89 Depth=1
	s_and_b64 vcc, exec, s[2:3]
	s_cbranch_vccnz .LBB224_88
; %bb.94:                               ;   in Loop: Header=BB224_89 Depth=1
	s_lshl_b32 s12, s12, 2
	s_add_i32 s12, s12, 0
	s_mov_b32 s13, s9
.LBB224_95:                             ;   Parent Loop BB224_89 Depth=1
                                        ; =>  This Inner Loop Header: Depth=2
	v_mov_b32_e32 v6, s12
	ds_read_b32 v6, v6
	s_add_i32 s12, s12, 4
	s_add_i32 s13, s13, -1
	s_cmp_lg_u32 s13, 0
	s_waitcnt lgkmcnt(0)
	v_cmp_gt_i32_e32 vcc, v1, v6
	v_cndmask_b32_e64 v6, 0, 1, vcc
	v_add_co_u32_e32 v4, vcc, v4, v6
	v_addc_co_u32_e32 v5, vcc, 0, v5, vcc
	s_cbranch_scc1 .LBB224_95
	s_branch .LBB224_88
.LBB224_96:
	s_endpgm
	.section	.rodata,"a",@progbits
	.p2align	6, 0x0
	.amdhsa_kernel _ZN9rocsparseL26csrgemm_fill_block_per_rowILj512ELj32ELj1024ELj137ELj32Eli21rocsparse_complex_numIfEEEvT5_PKS3_S5_NS_24const_host_device_scalarIT6_EEPKT4_S5_PKS7_SB_S5_SD_S8_SB_S5_SD_SB_PS3_PS7_21rocsparse_index_base_SG_SG_SG_bbb
		.amdhsa_group_segment_fixed_size 0
		.amdhsa_private_segment_fixed_size 0
		.amdhsa_kernarg_size 156
		.amdhsa_user_sgpr_count 6
		.amdhsa_user_sgpr_private_segment_buffer 1
		.amdhsa_user_sgpr_dispatch_ptr 0
		.amdhsa_user_sgpr_queue_ptr 0
		.amdhsa_user_sgpr_kernarg_segment_ptr 1
		.amdhsa_user_sgpr_dispatch_id 0
		.amdhsa_user_sgpr_flat_scratch_init 0
		.amdhsa_user_sgpr_kernarg_preload_length 0
		.amdhsa_user_sgpr_kernarg_preload_offset 0
		.amdhsa_user_sgpr_private_segment_size 0
		.amdhsa_uses_dynamic_stack 0
		.amdhsa_system_sgpr_private_segment_wavefront_offset 0
		.amdhsa_system_sgpr_workgroup_id_x 1
		.amdhsa_system_sgpr_workgroup_id_y 0
		.amdhsa_system_sgpr_workgroup_id_z 0
		.amdhsa_system_sgpr_workgroup_info 0
		.amdhsa_system_vgpr_workitem_id 0
		.amdhsa_next_free_vgpr 24
		.amdhsa_next_free_sgpr 59
		.amdhsa_accum_offset 24
		.amdhsa_reserve_vcc 1
		.amdhsa_reserve_flat_scratch 0
		.amdhsa_float_round_mode_32 0
		.amdhsa_float_round_mode_16_64 0
		.amdhsa_float_denorm_mode_32 3
		.amdhsa_float_denorm_mode_16_64 3
		.amdhsa_dx10_clamp 1
		.amdhsa_ieee_mode 1
		.amdhsa_fp16_overflow 0
		.amdhsa_tg_split 0
		.amdhsa_exception_fp_ieee_invalid_op 0
		.amdhsa_exception_fp_denorm_src 0
		.amdhsa_exception_fp_ieee_div_zero 0
		.amdhsa_exception_fp_ieee_overflow 0
		.amdhsa_exception_fp_ieee_underflow 0
		.amdhsa_exception_fp_ieee_inexact 0
		.amdhsa_exception_int_div_zero 0
	.end_amdhsa_kernel
	.section	.text._ZN9rocsparseL26csrgemm_fill_block_per_rowILj512ELj32ELj1024ELj137ELj32Eli21rocsparse_complex_numIfEEEvT5_PKS3_S5_NS_24const_host_device_scalarIT6_EEPKT4_S5_PKS7_SB_S5_SD_S8_SB_S5_SD_SB_PS3_PS7_21rocsparse_index_base_SG_SG_SG_bbb,"axG",@progbits,_ZN9rocsparseL26csrgemm_fill_block_per_rowILj512ELj32ELj1024ELj137ELj32Eli21rocsparse_complex_numIfEEEvT5_PKS3_S5_NS_24const_host_device_scalarIT6_EEPKT4_S5_PKS7_SB_S5_SD_S8_SB_S5_SD_SB_PS3_PS7_21rocsparse_index_base_SG_SG_SG_bbb,comdat
.Lfunc_end224:
	.size	_ZN9rocsparseL26csrgemm_fill_block_per_rowILj512ELj32ELj1024ELj137ELj32Eli21rocsparse_complex_numIfEEEvT5_PKS3_S5_NS_24const_host_device_scalarIT6_EEPKT4_S5_PKS7_SB_S5_SD_S8_SB_S5_SD_SB_PS3_PS7_21rocsparse_index_base_SG_SG_SG_bbb, .Lfunc_end224-_ZN9rocsparseL26csrgemm_fill_block_per_rowILj512ELj32ELj1024ELj137ELj32Eli21rocsparse_complex_numIfEEEvT5_PKS3_S5_NS_24const_host_device_scalarIT6_EEPKT4_S5_PKS7_SB_S5_SD_S8_SB_S5_SD_SB_PS3_PS7_21rocsparse_index_base_SG_SG_SG_bbb
                                        ; -- End function
	.section	.AMDGPU.csdata,"",@progbits
; Kernel info:
; codeLenInByte = 3244
; NumSgprs: 63
; NumVgprs: 24
; NumAgprs: 0
; TotalNumVgprs: 24
; ScratchSize: 0
; MemoryBound: 0
; FloatMode: 240
; IeeeMode: 1
; LDSByteSize: 0 bytes/workgroup (compile time only)
; SGPRBlocks: 7
; VGPRBlocks: 2
; NumSGPRsForWavesPerEU: 63
; NumVGPRsForWavesPerEU: 24
; AccumOffset: 24
; Occupancy: 8
; WaveLimiterHint : 1
; COMPUTE_PGM_RSRC2:SCRATCH_EN: 0
; COMPUTE_PGM_RSRC2:USER_SGPR: 6
; COMPUTE_PGM_RSRC2:TRAP_HANDLER: 0
; COMPUTE_PGM_RSRC2:TGID_X_EN: 1
; COMPUTE_PGM_RSRC2:TGID_Y_EN: 0
; COMPUTE_PGM_RSRC2:TGID_Z_EN: 0
; COMPUTE_PGM_RSRC2:TIDIG_COMP_CNT: 0
; COMPUTE_PGM_RSRC3_GFX90A:ACCUM_OFFSET: 5
; COMPUTE_PGM_RSRC3_GFX90A:TG_SPLIT: 0
	.section	.text._ZN9rocsparseL26csrgemm_fill_block_per_rowILj512ELj32ELj1024ELj137ELj64Eli21rocsparse_complex_numIfEEEvT5_PKS3_S5_NS_24const_host_device_scalarIT6_EEPKT4_S5_PKS7_SB_S5_SD_S8_SB_S5_SD_SB_PS3_PS7_21rocsparse_index_base_SG_SG_SG_bbb,"axG",@progbits,_ZN9rocsparseL26csrgemm_fill_block_per_rowILj512ELj32ELj1024ELj137ELj64Eli21rocsparse_complex_numIfEEEvT5_PKS3_S5_NS_24const_host_device_scalarIT6_EEPKT4_S5_PKS7_SB_S5_SD_S8_SB_S5_SD_SB_PS3_PS7_21rocsparse_index_base_SG_SG_SG_bbb,comdat
	.globl	_ZN9rocsparseL26csrgemm_fill_block_per_rowILj512ELj32ELj1024ELj137ELj64Eli21rocsparse_complex_numIfEEEvT5_PKS3_S5_NS_24const_host_device_scalarIT6_EEPKT4_S5_PKS7_SB_S5_SD_S8_SB_S5_SD_SB_PS3_PS7_21rocsparse_index_base_SG_SG_SG_bbb ; -- Begin function _ZN9rocsparseL26csrgemm_fill_block_per_rowILj512ELj32ELj1024ELj137ELj64Eli21rocsparse_complex_numIfEEEvT5_PKS3_S5_NS_24const_host_device_scalarIT6_EEPKT4_S5_PKS7_SB_S5_SD_S8_SB_S5_SD_SB_PS3_PS7_21rocsparse_index_base_SG_SG_SG_bbb
	.p2align	8
	.type	_ZN9rocsparseL26csrgemm_fill_block_per_rowILj512ELj32ELj1024ELj137ELj64Eli21rocsparse_complex_numIfEEEvT5_PKS3_S5_NS_24const_host_device_scalarIT6_EEPKT4_S5_PKS7_SB_S5_SD_S8_SB_S5_SD_SB_PS3_PS7_21rocsparse_index_base_SG_SG_SG_bbb,@function
_ZN9rocsparseL26csrgemm_fill_block_per_rowILj512ELj32ELj1024ELj137ELj64Eli21rocsparse_complex_numIfEEEvT5_PKS3_S5_NS_24const_host_device_scalarIT6_EEPKT4_S5_PKS7_SB_S5_SD_S8_SB_S5_SD_SB_PS3_PS7_21rocsparse_index_base_SG_SG_SG_bbb: ; @_ZN9rocsparseL26csrgemm_fill_block_per_rowILj512ELj32ELj1024ELj137ELj64Eli21rocsparse_complex_numIfEEEvT5_PKS3_S5_NS_24const_host_device_scalarIT6_EEPKT4_S5_PKS7_SB_S5_SD_S8_SB_S5_SD_SB_PS3_PS7_21rocsparse_index_base_SG_SG_SG_bbb
; %bb.0:
	s_load_dwordx8 s[12:19], s[4:5], 0x60
	s_load_dwordx8 s[20:27], s[4:5], 0x40
	s_load_dword s7, s[4:5], 0x98
	s_load_dwordx4 s[8:11], s[4:5], 0x8
	s_load_dwordx8 s[36:43], s[4:5], 0x20
	s_load_dwordx2 s[34:35], s[4:5], 0x80
	s_load_dwordx4 s[28:31], s[4:5], 0x88
	s_waitcnt lgkmcnt(0)
	s_bitcmp1_b32 s7, 0
	s_cselect_b64 s[46:47], -1, 0
	s_bitcmp1_b32 s7, 16
	s_cselect_b64 s[0:1], -1, 0
	s_xor_b64 s[0:1], s[0:1], -1
	v_cndmask_b32_e64 v1, 0, 1, s[0:1]
	s_mov_b32 s3, 0
	s_bitcmp0_b32 s7, 0
	v_cmp_ne_u32_e64 s[0:1], 1, v1
	s_mov_b32 s58, 0
	s_cbranch_scc1 .LBB225_5
; %bb.1:
	s_load_dwordx2 s[2:3], s[4:5], 0x18
	s_and_b64 vcc, exec, s[0:1]
	s_waitcnt lgkmcnt(0)
	s_mov_b32 s58, s2
	s_cbranch_vccnz .LBB225_3
; %bb.2:
	s_load_dword s58, s[2:3], 0x0
.LBB225_3:
	s_and_b64 vcc, exec, s[0:1]
	s_cbranch_vccnz .LBB225_5
; %bb.4:
	s_load_dword s3, s[2:3], 0x4
.LBB225_5:
	s_bitcmp1_b32 s7, 8
	s_cselect_b64 s[44:45], -1, 0
	s_bfe_u32 s2, s7, 0x10008
	s_mov_b32 s57, 0
	s_cmp_eq_u32 s2, 0
	s_mov_b32 s56, 0
	s_cbranch_scc1 .LBB225_11
; %bb.6:
	s_and_b64 vcc, exec, s[0:1]
	s_mov_b32 s56, s24
	s_cbranch_vccnz .LBB225_8
; %bb.7:
	s_load_dword s56, s[24:25], 0x0
.LBB225_8:
	s_and_b64 vcc, exec, s[0:1]
	s_cbranch_vccnz .LBB225_10
; %bb.9:
	s_load_dword s25, s[24:25], 0x4
.LBB225_10:
	s_waitcnt lgkmcnt(0)
	s_mov_b32 s57, s25
.LBB225_11:
	s_load_dword s33, s[4:5], 0x0
	v_lshl_add_u32 v1, v0, 3, 0
	v_add_u32_e32 v1, 0x1000, v1
	v_or_b32_e32 v8, 0xfffffe00, v0
	v_lshl_add_u32 v9, v0, 2, 0
	s_mov_b64 s[0:1], 0
	s_waitcnt lgkmcnt(0)
	v_mov_b32_e32 v2, s33
	v_mov_b32_e32 v3, 0
	;; [unrolled: 1-line block ×5, first 2 shown]
.LBB225_12:                             ; =>This Inner Loop Header: Depth=1
	v_add_co_u32_e32 v5, vcc, 0x200, v5
	s_xor_b64 s[4:5], vcc, -1
	s_and_b64 s[4:5], exec, s[4:5]
	ds_write_b32 v4, v2
	ds_write2_b32 v6, v3, v3 offset1:1
	v_add_u32_e32 v6, 0x1000, v6
	s_or_b64 s[0:1], s[4:5], s[0:1]
	v_add_u32_e32 v4, 0x800, v4
	s_andn2_b64 exec, exec, s[0:1]
	s_cbranch_execnz .LBB225_12
; %bb.13:
	s_or_b64 exec, exec, s[0:1]
	s_waitcnt lgkmcnt(0)
	s_barrier
	s_load_dword s0, s[8:9], 0x0
	s_mov_b32 s1, 0
	s_waitcnt lgkmcnt(0)
	s_add_i32 s0, s0, s6
	s_lshl_b64 s[0:1], s[0:1], 2
	s_add_u32 s0, s10, s0
	s_addc_u32 s1, s11, s1
	s_load_dword s24, s[0:1], 0x0
	s_and_b64 vcc, exec, s[46:47]
	s_cbranch_vccz .LBB225_33
; %bb.14:
	s_waitcnt lgkmcnt(0)
	s_ashr_i32 s25, s24, 31
	s_lshl_b64 s[0:1], s[24:25], 3
	s_add_u32 s0, s36, s0
	s_addc_u32 s1, s37, s1
	s_load_dwordx4 s[4:7], s[0:1], 0x0
	v_lshrrev_b32_e32 v2, 5, v0
	v_subrev_co_u32_e32 v2, vcc, s28, v2
	s_waitcnt lgkmcnt(0)
	s_sub_u32 s0, s6, s28
	s_subb_u32 s1, s7, 0
	v_subb_co_u32_e64 v3, s[6:7], 0, 0, vcc
	v_mov_b32_e32 v4, s5
	v_add_co_u32_e32 v2, vcc, s4, v2
	v_addc_co_u32_e32 v3, vcc, v4, v3, vcc
	v_cmp_gt_i64_e32 vcc, s[0:1], v[2:3]
	s_and_saveexec_b64 s[4:5], vcc
	s_cbranch_execz .LBB225_32
; %bb.15:
	v_and_b32_e32 v4, 31, v0
	v_subrev_co_u32_e32 v10, vcc, s29, v4
	s_mov_b32 s8, 0
	v_subb_co_u32_e64 v11, s[6:7], 0, 0, vcc
	s_mov_b32 s2, s29
	s_mov_b64 s[6:7], 0
	v_mov_b32_e32 v12, s39
	v_mov_b32_e32 v13, s43
	;; [unrolled: 1-line block ×3, first 2 shown]
	s_movk_i32 s25, 0x89
	s_branch .LBB225_17
.LBB225_16:                             ;   in Loop: Header=BB225_17 Depth=1
	s_or_b64 exec, exec, s[8:9]
	v_add_co_u32_e32 v2, vcc, 16, v2
	v_addc_co_u32_e32 v3, vcc, 0, v3, vcc
	v_cmp_le_i64_e32 vcc, s[0:1], v[2:3]
	s_or_b64 s[6:7], vcc, s[6:7]
	s_andn2_b64 exec, exec, s[6:7]
	s_cbranch_execz .LBB225_32
.LBB225_17:                             ; =>This Loop Header: Depth=1
                                        ;     Child Loop BB225_20 Depth 2
                                        ;       Child Loop BB225_22 Depth 3
	v_lshlrev_b64 v[4:5], 2, v[2:3]
	v_add_co_u32_e32 v4, vcc, s38, v4
	v_addc_co_u32_e32 v5, vcc, v12, v5, vcc
	global_load_dword v4, v[4:5], off
	s_waitcnt vmcnt(0)
	v_subrev_u32_e32 v4, s28, v4
	v_ashrrev_i32_e32 v5, 31, v4
	v_lshlrev_b64 v[4:5], 3, v[4:5]
	v_add_co_u32_e32 v4, vcc, s42, v4
	v_addc_co_u32_e32 v5, vcc, v13, v5, vcc
	global_load_dwordx4 v[16:19], v[4:5], off
	s_waitcnt vmcnt(0)
	v_subrev_co_u32_e32 v4, vcc, s2, v18
	v_subb_co_u32_e32 v5, vcc, v19, v14, vcc
	v_add_co_u32_e32 v6, vcc, v16, v10
	v_addc_co_u32_e32 v7, vcc, v17, v11, vcc
	v_cmp_lt_i64_e32 vcc, v[6:7], v[4:5]
	s_and_saveexec_b64 s[8:9], vcc
	s_cbranch_execz .LBB225_16
; %bb.18:                               ;   in Loop: Header=BB225_17 Depth=1
	v_lshlrev_b64 v[16:17], 3, v[2:3]
	v_mov_b32_e32 v15, s41
	v_add_co_u32_e32 v16, vcc, s40, v16
	v_addc_co_u32_e32 v17, vcc, v15, v17, vcc
	global_load_dwordx2 v[18:19], v[16:17], off
	s_mov_b64 s[10:11], 0
	s_waitcnt vmcnt(0)
	v_mul_f32_e64 v15, v19, -s3
	v_mul_f32_e32 v16, s58, v19
	v_fmac_f32_e32 v15, s58, v18
	v_fmac_f32_e32 v16, s3, v18
	s_branch .LBB225_20
.LBB225_19:                             ;   in Loop: Header=BB225_20 Depth=2
	s_or_b64 exec, exec, s[36:37]
	v_add_co_u32_e32 v6, vcc, 32, v6
	v_addc_co_u32_e32 v7, vcc, 0, v7, vcc
	v_cmp_ge_i64_e32 vcc, v[6:7], v[4:5]
	s_or_b64 s[10:11], vcc, s[10:11]
	s_andn2_b64 exec, exec, s[10:11]
	s_cbranch_execz .LBB225_16
.LBB225_20:                             ;   Parent Loop BB225_17 Depth=1
                                        ; =>  This Loop Header: Depth=2
                                        ;       Child Loop BB225_22 Depth 3
	v_lshlrev_b64 v[18:19], 2, v[6:7]
	v_mov_b32_e32 v17, s21
	v_add_co_u32_e32 v18, vcc, s20, v18
	v_addc_co_u32_e32 v19, vcc, v17, v19, vcc
	global_load_dword v17, v[18:19], off
	v_lshlrev_b64 v[18:19], 3, v[6:7]
	v_mov_b32_e32 v20, s23
	v_add_co_u32_e32 v18, vcc, s22, v18
	v_addc_co_u32_e32 v19, vcc, v20, v19, vcc
	global_load_dwordx2 v[20:21], v[18:19], off
	s_mov_b64 s[36:37], 0
	s_waitcnt vmcnt(1)
	v_subrev_u32_e32 v17, s29, v17
	s_waitcnt vmcnt(0)
	v_mul_f32_e64 v18, v21, -v16
	v_mul_f32_e32 v19, v15, v21
	v_fmac_f32_e32 v18, v15, v20
	v_fmac_f32_e32 v19, v16, v20
	v_mul_lo_u32 v20, v17, s25
	v_and_b32_e32 v20, 0x3ff, v20
	s_branch .LBB225_22
.LBB225_21:                             ;   in Loop: Header=BB225_22 Depth=3
	s_or_b64 exec, exec, s[46:47]
	s_xor_b64 s[46:47], s[48:49], -1
	s_and_b64 s[46:47], exec, s[46:47]
	s_or_b64 s[36:37], s[46:47], s[36:37]
	s_andn2_b64 exec, exec, s[36:37]
	s_cbranch_execz .LBB225_19
.LBB225_22:                             ;   Parent Loop BB225_17 Depth=1
                                        ;     Parent Loop BB225_20 Depth=2
                                        ; =>    This Inner Loop Header: Depth=3
	v_lshl_add_u32 v21, v20, 2, 0
	ds_read_b32 v22, v21
                                        ; implicit-def: $sgpr48_sgpr49
	s_waitcnt lgkmcnt(0)
	v_cmp_ne_u32_e32 vcc, v22, v17
	s_and_saveexec_b64 s[46:47], vcc
	s_xor_b64 s[46:47], exec, s[46:47]
	s_cbranch_execz .LBB225_30
; %bb.23:                               ;   in Loop: Header=BB225_22 Depth=3
	v_cmp_ne_u32_e32 vcc, s33, v22
                                        ; implicit-def: $sgpr48_sgpr49
	s_and_saveexec_b64 s[50:51], vcc
	s_xor_b64 s[50:51], exec, s[50:51]
; %bb.24:                               ;   in Loop: Header=BB225_22 Depth=3
	v_add_u32_e32 v20, 1, v20
	v_and_b32_e32 v20, 0x3ff, v20
	s_mov_b64 s[48:49], -1
                                        ; implicit-def: $vgpr21
; %bb.25:                               ;   in Loop: Header=BB225_22 Depth=3
	s_andn2_saveexec_b64 s[50:51], s[50:51]
	s_cbranch_execz .LBB225_29
; %bb.26:                               ;   in Loop: Header=BB225_22 Depth=3
	v_mov_b32_e32 v22, s33
	ds_cmpst_rtn_b32 v22, v21, v22, v17
	s_mov_b64 s[52:53], -1
	s_waitcnt lgkmcnt(0)
	v_cmp_eq_u32_e32 vcc, s33, v22
	s_and_saveexec_b64 s[54:55], vcc
	s_cbranch_execz .LBB225_28
; %bb.27:                               ;   in Loop: Header=BB225_22 Depth=3
	v_lshl_add_u32 v21, v20, 2, v21
	ds_add_f32 v21, v18 offset:4096
	ds_add_f32 v21, v19 offset:4100
	s_xor_b64 s[52:53], exec, -1
.LBB225_28:                             ;   in Loop: Header=BB225_22 Depth=3
	s_or_b64 exec, exec, s[54:55]
	s_andn2_b64 s[48:49], s[48:49], exec
	s_and_b64 s[52:53], s[52:53], exec
	s_or_b64 s[48:49], s[48:49], s[52:53]
.LBB225_29:                             ;   in Loop: Header=BB225_22 Depth=3
	s_or_b64 exec, exec, s[50:51]
	s_and_b64 s[48:49], s[48:49], exec
                                        ; implicit-def: $vgpr21
.LBB225_30:                             ;   in Loop: Header=BB225_22 Depth=3
	s_andn2_saveexec_b64 s[46:47], s[46:47]
	s_cbranch_execz .LBB225_21
; %bb.31:                               ;   in Loop: Header=BB225_22 Depth=3
	v_lshl_add_u32 v21, v20, 2, v21
	ds_add_f32 v21, v18 offset:4096
	ds_add_f32 v21, v19 offset:4100
	s_andn2_b64 s[48:49], s[48:49], exec
	s_branch .LBB225_21
.LBB225_32:
	s_or_b64 exec, exec, s[4:5]
.LBB225_33:
	s_andn2_b64 vcc, exec, s[44:45]
	s_cbranch_vccnz .LBB225_50
; %bb.34:
	s_waitcnt lgkmcnt(0)
	s_ashr_i32 s25, s24, 31
	s_lshl_b64 s[0:1], s[24:25], 3
	s_add_u32 s0, s26, s0
	s_addc_u32 s1, s27, s1
	s_load_dwordx4 s[4:7], s[0:1], 0x0
	v_subrev_co_u32_e32 v2, vcc, s31, v0
	v_subb_co_u32_e64 v3, s[0:1], 0, 0, vcc
	s_waitcnt lgkmcnt(0)
	s_sub_u32 s0, s6, s31
	v_mov_b32_e32 v4, s5
	v_add_co_u32_e32 v2, vcc, s4, v2
	s_subb_u32 s1, s7, 0
	v_addc_co_u32_e32 v3, vcc, v4, v3, vcc
	v_cmp_gt_i64_e32 vcc, s[0:1], v[2:3]
	s_and_saveexec_b64 s[2:3], vcc
	s_cbranch_execz .LBB225_49
; %bb.35:
	s_mov_b64 s[4:5], 0
	v_mov_b32_e32 v4, s13
	v_mov_b32_e32 v5, s15
	s_movk_i32 s13, 0x89
	s_branch .LBB225_37
.LBB225_36:                             ;   in Loop: Header=BB225_37 Depth=1
	s_or_b64 exec, exec, s[6:7]
	v_add_co_u32_e32 v2, vcc, 0x200, v2
	v_addc_co_u32_e32 v3, vcc, 0, v3, vcc
	v_cmp_le_i64_e32 vcc, s[0:1], v[2:3]
	s_or_b64 s[4:5], vcc, s[4:5]
	s_andn2_b64 exec, exec, s[4:5]
	s_cbranch_execz .LBB225_49
.LBB225_37:                             ; =>This Loop Header: Depth=1
                                        ;     Child Loop BB225_39 Depth 2
	v_lshlrev_b64 v[6:7], 2, v[2:3]
	v_add_co_u32_e32 v6, vcc, s12, v6
	v_addc_co_u32_e32 v7, vcc, v4, v7, vcc
	global_load_dword v10, v[6:7], off
	v_lshlrev_b64 v[6:7], 3, v[2:3]
	v_add_co_u32_e32 v6, vcc, s14, v6
	v_addc_co_u32_e32 v7, vcc, v5, v7, vcc
	global_load_dwordx2 v[12:13], v[6:7], off
	s_mov_b64 s[6:7], 0
	s_waitcnt vmcnt(1)
	v_subrev_u32_e32 v6, s31, v10
	v_mul_lo_u32 v11, v6, s13
	v_and_b32_e32 v11, 0x3ff, v11
	s_waitcnt vmcnt(0)
	v_mul_f32_e64 v7, v13, -s57
	v_mul_f32_e32 v10, s56, v13
	v_fmac_f32_e32 v7, s56, v12
	v_fmac_f32_e32 v10, s57, v12
	s_branch .LBB225_39
.LBB225_38:                             ;   in Loop: Header=BB225_39 Depth=2
	s_or_b64 exec, exec, s[8:9]
	s_xor_b64 s[8:9], s[10:11], -1
	s_and_b64 s[8:9], exec, s[8:9]
	s_or_b64 s[6:7], s[8:9], s[6:7]
	s_andn2_b64 exec, exec, s[6:7]
	s_cbranch_execz .LBB225_36
.LBB225_39:                             ;   Parent Loop BB225_37 Depth=1
                                        ; =>  This Inner Loop Header: Depth=2
	v_lshl_add_u32 v12, v11, 2, 0
	ds_read_b32 v13, v12
                                        ; implicit-def: $sgpr10_sgpr11
	s_waitcnt lgkmcnt(0)
	v_cmp_ne_u32_e32 vcc, v13, v6
	s_and_saveexec_b64 s[8:9], vcc
	s_xor_b64 s[8:9], exec, s[8:9]
	s_cbranch_execz .LBB225_47
; %bb.40:                               ;   in Loop: Header=BB225_39 Depth=2
	v_cmp_ne_u32_e32 vcc, s33, v13
                                        ; implicit-def: $sgpr10_sgpr11
	s_and_saveexec_b64 s[20:21], vcc
	s_xor_b64 s[20:21], exec, s[20:21]
; %bb.41:                               ;   in Loop: Header=BB225_39 Depth=2
	v_add_u32_e32 v11, 1, v11
	v_and_b32_e32 v11, 0x3ff, v11
	s_mov_b64 s[10:11], -1
                                        ; implicit-def: $vgpr12
; %bb.42:                               ;   in Loop: Header=BB225_39 Depth=2
	s_andn2_saveexec_b64 s[20:21], s[20:21]
	s_cbranch_execz .LBB225_46
; %bb.43:                               ;   in Loop: Header=BB225_39 Depth=2
	v_mov_b32_e32 v13, s33
	ds_cmpst_rtn_b32 v13, v12, v13, v6
	s_mov_b64 s[22:23], -1
	s_waitcnt lgkmcnt(0)
	v_cmp_eq_u32_e32 vcc, s33, v13
	s_and_saveexec_b64 s[26:27], vcc
	s_cbranch_execz .LBB225_45
; %bb.44:                               ;   in Loop: Header=BB225_39 Depth=2
	v_lshl_add_u32 v12, v11, 2, v12
	ds_add_f32 v12, v7 offset:4096
	ds_add_f32 v12, v10 offset:4100
	s_xor_b64 s[22:23], exec, -1
.LBB225_45:                             ;   in Loop: Header=BB225_39 Depth=2
	s_or_b64 exec, exec, s[26:27]
	s_andn2_b64 s[10:11], s[10:11], exec
	s_and_b64 s[22:23], s[22:23], exec
	s_or_b64 s[10:11], s[10:11], s[22:23]
.LBB225_46:                             ;   in Loop: Header=BB225_39 Depth=2
	s_or_b64 exec, exec, s[20:21]
	s_and_b64 s[10:11], s[10:11], exec
                                        ; implicit-def: $vgpr12
.LBB225_47:                             ;   in Loop: Header=BB225_39 Depth=2
	s_andn2_saveexec_b64 s[8:9], s[8:9]
	s_cbranch_execz .LBB225_38
; %bb.48:                               ;   in Loop: Header=BB225_39 Depth=2
	v_lshl_add_u32 v12, v11, 2, v12
	ds_add_f32 v12, v7 offset:4096
	ds_add_f32 v12, v10 offset:4100
	s_andn2_b64 s[10:11], s[10:11], exec
	s_branch .LBB225_38
.LBB225_49:
	s_or_b64 exec, exec, s[2:3]
.LBB225_50:
	v_mbcnt_lo_u32_b32 v2, -1, 0
	v_mbcnt_hi_u32_b32 v2, -1, v2
	v_lshrrev_b32_e32 v4, 4, v0
	v_sub_u32_e32 v2, 63, v2
	v_and_b32_e32 v4, 28, v4
	s_movk_i32 s0, 0x1ff
	s_movk_i32 s4, 0x7f
	;; [unrolled: 1-line block ×7, first 2 shown]
	v_mov_b32_e32 v6, 0
	v_lshrrev_b64 v[2:3], v2, -1
	v_add_u32_e32 v7, 0, v4
	v_cmp_eq_u32_e64 s[0:1], s0, v0
	v_cmp_lt_u32_e64 s[2:3], 63, v0
	v_cmp_lt_u32_e64 s[4:5], s4, v0
	;; [unrolled: 1-line block ×7, first 2 shown]
	s_mov_b64 s[20:21], 0
	v_mov_b32_e32 v10, 0
	s_waitcnt lgkmcnt(0)
	s_barrier
	s_branch .LBB225_52
.LBB225_51:                             ;   in Loop: Header=BB225_52 Depth=1
	s_or_b64 exec, exec, s[22:23]
	s_waitcnt lgkmcnt(0)
	s_barrier
	ds_read_b32 v4, v6 offset:12316
	v_add_co_u32_e32 v8, vcc, 0x200, v8
	s_xor_b64 s[22:23], vcc, -1
	s_and_b64 s[22:23], exec, s[22:23]
	v_add_u32_e32 v1, 0x1000, v1
	s_waitcnt lgkmcnt(0)
	v_add_u32_e32 v10, v4, v10
	s_or_b64 s[20:21], s[22:23], s[20:21]
	v_add_u32_e32 v9, 0x800, v9
	s_andn2_b64 exec, exec, s[20:21]
	s_cbranch_execz .LBB225_70
.LBB225_52:                             ; =>This Inner Loop Header: Depth=1
	ds_read_b32 v11, v9
	ds_read2_b32 v[4:5], v1 offset1:1
	s_waitcnt lgkmcnt(0)
	s_barrier
	v_cmp_gt_i32_e32 vcc, s33, v11
	v_and_b32_e32 v13, vcc_lo, v2
	s_bcnt1_i32_b64 s22, vcc
	v_and_b32_e32 v12, vcc_hi, v3
	v_bcnt_u32_b32 v13, v13, 0
	v_bcnt_u32_b32 v12, v12, v13
	v_mov_b32_e32 v13, s22
	ds_write_b32 v7, v13 offset:12288
	s_waitcnt lgkmcnt(0)
	s_barrier
	s_and_saveexec_b64 s[22:23], s[2:3]
	s_cbranch_execnz .LBB225_61
; %bb.53:                               ;   in Loop: Header=BB225_52 Depth=1
	s_or_b64 exec, exec, s[22:23]
	s_and_saveexec_b64 s[22:23], s[4:5]
	s_cbranch_execnz .LBB225_62
.LBB225_54:                             ;   in Loop: Header=BB225_52 Depth=1
	s_or_b64 exec, exec, s[22:23]
	s_and_saveexec_b64 s[22:23], s[6:7]
	s_cbranch_execnz .LBB225_63
.LBB225_55:                             ;   in Loop: Header=BB225_52 Depth=1
	s_or_b64 exec, exec, s[22:23]
	s_and_saveexec_b64 s[22:23], s[8:9]
	s_cbranch_execnz .LBB225_64
.LBB225_56:                             ;   in Loop: Header=BB225_52 Depth=1
	s_or_b64 exec, exec, s[22:23]
	s_and_saveexec_b64 s[22:23], s[10:11]
	s_cbranch_execnz .LBB225_65
.LBB225_57:                             ;   in Loop: Header=BB225_52 Depth=1
	s_or_b64 exec, exec, s[22:23]
	s_and_saveexec_b64 s[22:23], s[12:13]
	s_cbranch_execnz .LBB225_66
.LBB225_58:                             ;   in Loop: Header=BB225_52 Depth=1
	s_or_b64 exec, exec, s[22:23]
	s_and_saveexec_b64 s[22:23], s[14:15]
	s_cbranch_execnz .LBB225_67
.LBB225_59:                             ;   in Loop: Header=BB225_52 Depth=1
	s_or_b64 exec, exec, s[22:23]
	s_and_saveexec_b64 s[22:23], vcc
	s_cbranch_execnz .LBB225_68
.LBB225_60:                             ;   in Loop: Header=BB225_52 Depth=1
	s_or_b64 exec, exec, s[22:23]
	s_and_saveexec_b64 s[22:23], s[0:1]
	s_cbranch_execz .LBB225_51
	s_branch .LBB225_69
.LBB225_61:                             ;   in Loop: Header=BB225_52 Depth=1
	ds_read_b32 v13, v6 offset:12288
	s_waitcnt lgkmcnt(0)
	v_add_u32_e32 v12, v13, v12
	s_or_b64 exec, exec, s[22:23]
	s_and_saveexec_b64 s[22:23], s[4:5]
	s_cbranch_execz .LBB225_54
.LBB225_62:                             ;   in Loop: Header=BB225_52 Depth=1
	ds_read_b32 v13, v6 offset:12292
	s_waitcnt lgkmcnt(0)
	v_add_u32_e32 v12, v13, v12
	s_or_b64 exec, exec, s[22:23]
	s_and_saveexec_b64 s[22:23], s[6:7]
	s_cbranch_execz .LBB225_55
.LBB225_63:                             ;   in Loop: Header=BB225_52 Depth=1
	ds_read_b32 v13, v6 offset:12296
	s_waitcnt lgkmcnt(0)
	v_add_u32_e32 v12, v13, v12
	s_or_b64 exec, exec, s[22:23]
	s_and_saveexec_b64 s[22:23], s[8:9]
	s_cbranch_execz .LBB225_56
.LBB225_64:                             ;   in Loop: Header=BB225_52 Depth=1
	ds_read_b32 v13, v6 offset:12300
	s_waitcnt lgkmcnt(0)
	v_add_u32_e32 v12, v13, v12
	s_or_b64 exec, exec, s[22:23]
	s_and_saveexec_b64 s[22:23], s[10:11]
	s_cbranch_execz .LBB225_57
.LBB225_65:                             ;   in Loop: Header=BB225_52 Depth=1
	ds_read_b32 v13, v6 offset:12304
	s_waitcnt lgkmcnt(0)
	v_add_u32_e32 v12, v13, v12
	s_or_b64 exec, exec, s[22:23]
	s_and_saveexec_b64 s[22:23], s[12:13]
	s_cbranch_execz .LBB225_58
.LBB225_66:                             ;   in Loop: Header=BB225_52 Depth=1
	ds_read_b32 v13, v6 offset:12308
	s_waitcnt lgkmcnt(0)
	v_add_u32_e32 v12, v13, v12
	s_or_b64 exec, exec, s[22:23]
	s_and_saveexec_b64 s[22:23], s[14:15]
	s_cbranch_execz .LBB225_59
.LBB225_67:                             ;   in Loop: Header=BB225_52 Depth=1
	ds_read_b32 v13, v6 offset:12312
	s_waitcnt lgkmcnt(0)
	v_add_u32_e32 v12, v13, v12
	s_or_b64 exec, exec, s[22:23]
	s_and_saveexec_b64 s[22:23], vcc
	s_cbranch_execz .LBB225_60
.LBB225_68:                             ;   in Loop: Header=BB225_52 Depth=1
	v_add3_u32 v13, v10, -1, v12
	v_lshl_add_u32 v14, v13, 2, 0
	v_lshl_add_u32 v13, v13, 3, 0
	v_add_u32_e32 v13, 0x1000, v13
	ds_write_b32 v14, v11
	ds_write2_b32 v13, v4, v5 offset1:1
	s_or_b64 exec, exec, s[22:23]
	s_and_saveexec_b64 s[22:23], s[0:1]
	s_cbranch_execz .LBB225_51
.LBB225_69:                             ;   in Loop: Header=BB225_52 Depth=1
	ds_write_b32 v6, v12 offset:12316
	s_branch .LBB225_51
.LBB225_70:
	s_or_b64 exec, exec, s[20:21]
	s_ashr_i32 s25, s24, 31
	s_lshl_b64 s[0:1], s[24:25], 3
	s_add_u32 s0, s16, s0
	s_addc_u32 s1, s17, s1
	s_load_dwordx4 s[0:3], s[0:1], 0x0
	s_waitcnt lgkmcnt(0)
	s_sub_i32 s8, s2, s0
	v_cmp_gt_i32_e32 vcc, s8, v0
	s_and_saveexec_b64 s[4:5], vcc
	s_cbranch_execz .LBB225_80
; %bb.71:
	s_sub_u32 s4, s0, s30
	s_subb_u32 s5, s1, 0
	s_and_b32 s9, s8, 7
	s_sub_i32 s0, s0, s2
	s_cmp_lt_u32 s0, -7
	s_cselect_b64 s[0:1], -1, 0
	s_and_b32 s10, s8, -8
	s_cmp_lg_u32 s9, 0
	v_cndmask_b32_e64 v1, 0, 1, s[0:1]
	s_cselect_b64 s[2:3], -1, 0
	v_cmp_ne_u32_e64 s[0:1], 1, v1
	v_cndmask_b32_e64 v1, 0, 1, s[2:3]
	s_mov_b64 s[6:7], 0
	s_movk_i32 s11, 0x1000
	v_cmp_ne_u32_e64 s[2:3], 1, v1
	s_branch .LBB225_73
.LBB225_72:                             ;   in Loop: Header=BB225_73 Depth=1
	v_lshlrev_b64 v[6:7], 2, v[4:5]
	v_mov_b32_e32 v8, s19
	v_add_co_u32_e32 v6, vcc, s18, v6
	s_waitcnt lgkmcnt(1)
	v_add_u32_e32 v1, s30, v1
	v_addc_co_u32_e32 v7, vcc, v8, v7, vcc
	v_lshlrev_b64 v[4:5], 3, v[4:5]
	global_store_dword v[6:7], v1, off
	v_mov_b32_e32 v1, s35
	v_add_co_u32_e32 v4, vcc, s34, v4
	v_addc_co_u32_e32 v5, vcc, v1, v5, vcc
	v_add_u32_e32 v0, 0x200, v0
	v_cmp_le_i32_e32 vcc, s8, v0
	s_or_b64 s[6:7], vcc, s[6:7]
	s_waitcnt lgkmcnt(0)
	global_store_dwordx2 v[4:5], v[2:3], off
	s_andn2_b64 exec, exec, s[6:7]
	s_cbranch_execz .LBB225_80
.LBB225_73:                             ; =>This Loop Header: Depth=1
                                        ;     Child Loop BB225_75 Depth 2
                                        ;     Child Loop BB225_79 Depth 2
	v_lshlrev_b32_e32 v1, 2, v0
	v_add_u32_e32 v2, 0, v1
	v_add3_u32 v3, v2, v1, s11
	ds_read_b32 v1, v2
	ds_read2_b32 v[2:3], v3 offset1:1
	s_and_b64 vcc, exec, s[0:1]
	v_pk_mov_b32 v[4:5], s[4:5], s[4:5] op_sel:[0,1]
	s_mov_b32 s12, 0
	s_cbranch_vccnz .LBB225_77
; %bb.74:                               ;   in Loop: Header=BB225_73 Depth=1
	s_mov_b32 s13, 0
	v_pk_mov_b32 v[4:5], s[4:5], s[4:5] op_sel:[0,1]
.LBB225_75:                             ;   Parent Loop BB225_73 Depth=1
                                        ; =>  This Inner Loop Header: Depth=2
	v_mov_b32_e32 v12, s13
	ds_read2_b32 v[6:7], v12 offset1:1
	ds_read2_b32 v[8:9], v12 offset0:2 offset1:3
	ds_read2_b32 v[10:11], v12 offset0:4 offset1:5
	;; [unrolled: 1-line block ×3, first 2 shown]
	s_add_i32 s12, s12, 8
	s_waitcnt lgkmcnt(3)
	v_cmp_gt_i32_e32 vcc, v1, v6
	v_cndmask_b32_e64 v6, 0, 1, vcc
	v_cmp_gt_i32_e32 vcc, v1, v7
	v_cndmask_b32_e64 v7, 0, 1, vcc
	s_waitcnt lgkmcnt(2)
	v_cmp_gt_i32_e32 vcc, v1, v8
	v_cndmask_b32_e64 v8, 0, 1, vcc
	v_cmp_gt_i32_e32 vcc, v1, v9
	v_cndmask_b32_e64 v9, 0, 1, vcc
	;; [unrolled: 5-line block ×4, first 2 shown]
	v_add_co_u32_e32 v4, vcc, v4, v6
	v_addc_co_u32_e32 v5, vcc, 0, v5, vcc
	v_add_co_u32_e32 v4, vcc, v4, v7
	v_addc_co_u32_e32 v5, vcc, 0, v5, vcc
	;; [unrolled: 2-line block ×7, first 2 shown]
	s_add_i32 s13, s13, 32
	v_add_co_u32_e32 v4, vcc, v4, v13
	s_cmp_eq_u32 s10, s12
	v_addc_co_u32_e32 v5, vcc, 0, v5, vcc
	s_cbranch_scc0 .LBB225_75
; %bb.76:                               ;   in Loop: Header=BB225_73 Depth=1
	s_mov_b32 s12, s10
.LBB225_77:                             ;   in Loop: Header=BB225_73 Depth=1
	s_and_b64 vcc, exec, s[2:3]
	s_cbranch_vccnz .LBB225_72
; %bb.78:                               ;   in Loop: Header=BB225_73 Depth=1
	s_lshl_b32 s12, s12, 2
	s_add_i32 s12, s12, 0
	s_mov_b32 s13, s9
.LBB225_79:                             ;   Parent Loop BB225_73 Depth=1
                                        ; =>  This Inner Loop Header: Depth=2
	v_mov_b32_e32 v6, s12
	ds_read_b32 v6, v6
	s_add_i32 s12, s12, 4
	s_add_i32 s13, s13, -1
	s_cmp_lg_u32 s13, 0
	s_waitcnt lgkmcnt(0)
	v_cmp_gt_i32_e32 vcc, v1, v6
	v_cndmask_b32_e64 v6, 0, 1, vcc
	v_add_co_u32_e32 v4, vcc, v4, v6
	v_addc_co_u32_e32 v5, vcc, 0, v5, vcc
	s_cbranch_scc1 .LBB225_79
	s_branch .LBB225_72
.LBB225_80:
	s_endpgm
	.section	.rodata,"a",@progbits
	.p2align	6, 0x0
	.amdhsa_kernel _ZN9rocsparseL26csrgemm_fill_block_per_rowILj512ELj32ELj1024ELj137ELj64Eli21rocsparse_complex_numIfEEEvT5_PKS3_S5_NS_24const_host_device_scalarIT6_EEPKT4_S5_PKS7_SB_S5_SD_S8_SB_S5_SD_SB_PS3_PS7_21rocsparse_index_base_SG_SG_SG_bbb
		.amdhsa_group_segment_fixed_size 0
		.amdhsa_private_segment_fixed_size 0
		.amdhsa_kernarg_size 156
		.amdhsa_user_sgpr_count 6
		.amdhsa_user_sgpr_private_segment_buffer 1
		.amdhsa_user_sgpr_dispatch_ptr 0
		.amdhsa_user_sgpr_queue_ptr 0
		.amdhsa_user_sgpr_kernarg_segment_ptr 1
		.amdhsa_user_sgpr_dispatch_id 0
		.amdhsa_user_sgpr_flat_scratch_init 0
		.amdhsa_user_sgpr_kernarg_preload_length 0
		.amdhsa_user_sgpr_kernarg_preload_offset 0
		.amdhsa_user_sgpr_private_segment_size 0
		.amdhsa_uses_dynamic_stack 0
		.amdhsa_system_sgpr_private_segment_wavefront_offset 0
		.amdhsa_system_sgpr_workgroup_id_x 1
		.amdhsa_system_sgpr_workgroup_id_y 0
		.amdhsa_system_sgpr_workgroup_id_z 0
		.amdhsa_system_sgpr_workgroup_info 0
		.amdhsa_system_vgpr_workitem_id 0
		.amdhsa_next_free_vgpr 23
		.amdhsa_next_free_sgpr 59
		.amdhsa_accum_offset 24
		.amdhsa_reserve_vcc 1
		.amdhsa_reserve_flat_scratch 0
		.amdhsa_float_round_mode_32 0
		.amdhsa_float_round_mode_16_64 0
		.amdhsa_float_denorm_mode_32 3
		.amdhsa_float_denorm_mode_16_64 3
		.amdhsa_dx10_clamp 1
		.amdhsa_ieee_mode 1
		.amdhsa_fp16_overflow 0
		.amdhsa_tg_split 0
		.amdhsa_exception_fp_ieee_invalid_op 0
		.amdhsa_exception_fp_denorm_src 0
		.amdhsa_exception_fp_ieee_div_zero 0
		.amdhsa_exception_fp_ieee_overflow 0
		.amdhsa_exception_fp_ieee_underflow 0
		.amdhsa_exception_fp_ieee_inexact 0
		.amdhsa_exception_int_div_zero 0
	.end_amdhsa_kernel
	.section	.text._ZN9rocsparseL26csrgemm_fill_block_per_rowILj512ELj32ELj1024ELj137ELj64Eli21rocsparse_complex_numIfEEEvT5_PKS3_S5_NS_24const_host_device_scalarIT6_EEPKT4_S5_PKS7_SB_S5_SD_S8_SB_S5_SD_SB_PS3_PS7_21rocsparse_index_base_SG_SG_SG_bbb,"axG",@progbits,_ZN9rocsparseL26csrgemm_fill_block_per_rowILj512ELj32ELj1024ELj137ELj64Eli21rocsparse_complex_numIfEEEvT5_PKS3_S5_NS_24const_host_device_scalarIT6_EEPKT4_S5_PKS7_SB_S5_SD_S8_SB_S5_SD_SB_PS3_PS7_21rocsparse_index_base_SG_SG_SG_bbb,comdat
.Lfunc_end225:
	.size	_ZN9rocsparseL26csrgemm_fill_block_per_rowILj512ELj32ELj1024ELj137ELj64Eli21rocsparse_complex_numIfEEEvT5_PKS3_S5_NS_24const_host_device_scalarIT6_EEPKT4_S5_PKS7_SB_S5_SD_S8_SB_S5_SD_SB_PS3_PS7_21rocsparse_index_base_SG_SG_SG_bbb, .Lfunc_end225-_ZN9rocsparseL26csrgemm_fill_block_per_rowILj512ELj32ELj1024ELj137ELj64Eli21rocsparse_complex_numIfEEEvT5_PKS3_S5_NS_24const_host_device_scalarIT6_EEPKT4_S5_PKS7_SB_S5_SD_S8_SB_S5_SD_SB_PS3_PS7_21rocsparse_index_base_SG_SG_SG_bbb
                                        ; -- End function
	.section	.AMDGPU.csdata,"",@progbits
; Kernel info:
; codeLenInByte = 2836
; NumSgprs: 63
; NumVgprs: 23
; NumAgprs: 0
; TotalNumVgprs: 23
; ScratchSize: 0
; MemoryBound: 0
; FloatMode: 240
; IeeeMode: 1
; LDSByteSize: 0 bytes/workgroup (compile time only)
; SGPRBlocks: 7
; VGPRBlocks: 2
; NumSGPRsForWavesPerEU: 63
; NumVGPRsForWavesPerEU: 23
; AccumOffset: 24
; Occupancy: 8
; WaveLimiterHint : 1
; COMPUTE_PGM_RSRC2:SCRATCH_EN: 0
; COMPUTE_PGM_RSRC2:USER_SGPR: 6
; COMPUTE_PGM_RSRC2:TRAP_HANDLER: 0
; COMPUTE_PGM_RSRC2:TGID_X_EN: 1
; COMPUTE_PGM_RSRC2:TGID_Y_EN: 0
; COMPUTE_PGM_RSRC2:TGID_Z_EN: 0
; COMPUTE_PGM_RSRC2:TIDIG_COMP_CNT: 0
; COMPUTE_PGM_RSRC3_GFX90A:ACCUM_OFFSET: 5
; COMPUTE_PGM_RSRC3_GFX90A:TG_SPLIT: 0
	.section	.text._ZN9rocsparseL26csrgemm_fill_block_per_rowILj1024ELj32ELj2048ELj137ELj32Eli21rocsparse_complex_numIfEEEvT5_PKS3_S5_NS_24const_host_device_scalarIT6_EEPKT4_S5_PKS7_SB_S5_SD_S8_SB_S5_SD_SB_PS3_PS7_21rocsparse_index_base_SG_SG_SG_bbb,"axG",@progbits,_ZN9rocsparseL26csrgemm_fill_block_per_rowILj1024ELj32ELj2048ELj137ELj32Eli21rocsparse_complex_numIfEEEvT5_PKS3_S5_NS_24const_host_device_scalarIT6_EEPKT4_S5_PKS7_SB_S5_SD_S8_SB_S5_SD_SB_PS3_PS7_21rocsparse_index_base_SG_SG_SG_bbb,comdat
	.globl	_ZN9rocsparseL26csrgemm_fill_block_per_rowILj1024ELj32ELj2048ELj137ELj32Eli21rocsparse_complex_numIfEEEvT5_PKS3_S5_NS_24const_host_device_scalarIT6_EEPKT4_S5_PKS7_SB_S5_SD_S8_SB_S5_SD_SB_PS3_PS7_21rocsparse_index_base_SG_SG_SG_bbb ; -- Begin function _ZN9rocsparseL26csrgemm_fill_block_per_rowILj1024ELj32ELj2048ELj137ELj32Eli21rocsparse_complex_numIfEEEvT5_PKS3_S5_NS_24const_host_device_scalarIT6_EEPKT4_S5_PKS7_SB_S5_SD_S8_SB_S5_SD_SB_PS3_PS7_21rocsparse_index_base_SG_SG_SG_bbb
	.p2align	8
	.type	_ZN9rocsparseL26csrgemm_fill_block_per_rowILj1024ELj32ELj2048ELj137ELj32Eli21rocsparse_complex_numIfEEEvT5_PKS3_S5_NS_24const_host_device_scalarIT6_EEPKT4_S5_PKS7_SB_S5_SD_S8_SB_S5_SD_SB_PS3_PS7_21rocsparse_index_base_SG_SG_SG_bbb,@function
_ZN9rocsparseL26csrgemm_fill_block_per_rowILj1024ELj32ELj2048ELj137ELj32Eli21rocsparse_complex_numIfEEEvT5_PKS3_S5_NS_24const_host_device_scalarIT6_EEPKT4_S5_PKS7_SB_S5_SD_S8_SB_S5_SD_SB_PS3_PS7_21rocsparse_index_base_SG_SG_SG_bbb: ; @_ZN9rocsparseL26csrgemm_fill_block_per_rowILj1024ELj32ELj2048ELj137ELj32Eli21rocsparse_complex_numIfEEEvT5_PKS3_S5_NS_24const_host_device_scalarIT6_EEPKT4_S5_PKS7_SB_S5_SD_S8_SB_S5_SD_SB_PS3_PS7_21rocsparse_index_base_SG_SG_SG_bbb
; %bb.0:
	s_load_dwordx8 s[64:71], s[4:5], 0x60
	s_load_dwordx8 s[8:15], s[4:5], 0x40
	s_load_dword s7, s[4:5], 0x98
	s_load_dwordx4 s[24:27], s[4:5], 0x8
	s_load_dwordx8 s[16:23], s[4:5], 0x20
	s_load_dwordx2 s[76:77], s[4:5], 0x80
	s_load_dwordx4 s[72:75], s[4:5], 0x88
	s_waitcnt lgkmcnt(0)
	s_bitcmp1_b32 s7, 0
	s_cselect_b64 s[30:31], -1, 0
	s_bitcmp1_b32 s7, 16
	s_cselect_b64 s[0:1], -1, 0
	s_xor_b64 s[0:1], s[0:1], -1
	v_cndmask_b32_e64 v1, 0, 1, s[0:1]
	s_mov_b32 s3, 0
	s_bitcmp0_b32 s7, 0
	v_cmp_ne_u32_e64 s[0:1], 1, v1
	s_mov_b32 s42, 0
	s_cbranch_scc1 .LBB226_5
; %bb.1:
	s_load_dwordx2 s[2:3], s[4:5], 0x18
	s_and_b64 vcc, exec, s[0:1]
	s_waitcnt lgkmcnt(0)
	s_mov_b32 s42, s2
	s_cbranch_vccnz .LBB226_3
; %bb.2:
	s_load_dword s42, s[2:3], 0x0
.LBB226_3:
	s_and_b64 vcc, exec, s[0:1]
	s_cbranch_vccnz .LBB226_5
; %bb.4:
	s_load_dword s3, s[2:3], 0x4
.LBB226_5:
	s_bitcmp1_b32 s7, 8
	s_cselect_b64 s[28:29], -1, 0
	s_bfe_u32 s2, s7, 0x10008
	s_mov_b32 s41, 0
	s_cmp_eq_u32 s2, 0
	s_mov_b32 s40, 0
	s_cbranch_scc1 .LBB226_11
; %bb.6:
	s_and_b64 vcc, exec, s[0:1]
	s_mov_b32 s40, s12
	s_cbranch_vccnz .LBB226_8
; %bb.7:
	s_load_dword s40, s[12:13], 0x0
.LBB226_8:
	s_and_b64 vcc, exec, s[0:1]
	s_cbranch_vccnz .LBB226_10
; %bb.9:
	s_load_dword s13, s[12:13], 0x4
.LBB226_10:
	s_waitcnt lgkmcnt(0)
	s_mov_b32 s41, s13
.LBB226_11:
	s_load_dword s33, s[4:5], 0x0
	v_lshl_add_u32 v1, v0, 3, 0
	v_add_u32_e32 v1, 0x2000, v1
	v_or_b32_e32 v8, 0xfffffc00, v0
	v_lshl_add_u32 v9, v0, 2, 0
	s_mov_b64 s[0:1], 0
	s_waitcnt lgkmcnt(0)
	v_mov_b32_e32 v2, s33
	v_mov_b32_e32 v3, 0
	;; [unrolled: 1-line block ×5, first 2 shown]
.LBB226_12:                             ; =>This Inner Loop Header: Depth=1
	v_add_co_u32_e32 v5, vcc, 0x400, v5
	s_xor_b64 s[4:5], vcc, -1
	s_and_b64 s[4:5], exec, s[4:5]
	ds_write_b32 v4, v2
	ds_write2_b32 v6, v3, v3 offset1:1
	v_add_u32_e32 v6, 0x2000, v6
	s_or_b64 s[0:1], s[4:5], s[0:1]
	v_add_u32_e32 v4, 0x1000, v4
	s_andn2_b64 exec, exec, s[0:1]
	s_cbranch_execnz .LBB226_12
; %bb.13:
	s_or_b64 exec, exec, s[0:1]
	s_waitcnt lgkmcnt(0)
	s_barrier
	s_load_dword s0, s[24:25], 0x0
	s_mov_b32 s1, 0
	v_lshrrev_b32_e32 v10, 5, v0
	s_waitcnt lgkmcnt(0)
	s_add_i32 s0, s0, s6
	s_lshl_b64 s[0:1], s[0:1], 2
	s_add_u32 s0, s26, s0
	s_addc_u32 s1, s27, s1
	s_load_dword s78, s[0:1], 0x0
	s_and_b64 vcc, exec, s[30:31]
	s_cbranch_vccz .LBB226_33
; %bb.14:
	s_waitcnt lgkmcnt(0)
	s_ashr_i32 s79, s78, 31
	s_lshl_b64 s[0:1], s[78:79], 3
	s_add_u32 s0, s16, s0
	s_addc_u32 s1, s17, s1
	s_load_dwordx4 s[4:7], s[0:1], 0x0
	v_subrev_co_u32_e32 v2, vcc, s72, v10
	v_subb_co_u32_e64 v3, s[0:1], 0, 0, vcc
	s_waitcnt lgkmcnt(0)
	s_sub_u32 s0, s6, s72
	v_mov_b32_e32 v4, s5
	v_add_co_u32_e32 v2, vcc, s4, v2
	s_subb_u32 s1, s7, 0
	v_addc_co_u32_e32 v3, vcc, v4, v3, vcc
	v_cmp_gt_i64_e32 vcc, s[0:1], v[2:3]
	s_and_saveexec_b64 s[4:5], vcc
	s_cbranch_execz .LBB226_32
; %bb.15:
	v_and_b32_e32 v4, 31, v0
	v_subrev_co_u32_e32 v11, vcc, s73, v4
	s_mov_b32 s12, 0
	v_subb_co_u32_e64 v12, s[6:7], 0, 0, vcc
	s_mov_b32 s2, s73
	s_mov_b64 s[6:7], 0
	v_mov_b32_e32 v13, s19
	v_mov_b32_e32 v14, s23
	;; [unrolled: 1-line block ×3, first 2 shown]
	s_movk_i32 s19, 0x89
	s_branch .LBB226_17
.LBB226_16:                             ;   in Loop: Header=BB226_17 Depth=1
	s_or_b64 exec, exec, s[12:13]
	v_add_co_u32_e32 v2, vcc, 32, v2
	v_addc_co_u32_e32 v3, vcc, 0, v3, vcc
	v_cmp_le_i64_e32 vcc, s[0:1], v[2:3]
	s_or_b64 s[6:7], vcc, s[6:7]
	s_andn2_b64 exec, exec, s[6:7]
	s_cbranch_execz .LBB226_32
.LBB226_17:                             ; =>This Loop Header: Depth=1
                                        ;     Child Loop BB226_20 Depth 2
                                        ;       Child Loop BB226_22 Depth 3
	v_lshlrev_b64 v[4:5], 2, v[2:3]
	v_add_co_u32_e32 v4, vcc, s18, v4
	v_addc_co_u32_e32 v5, vcc, v13, v5, vcc
	global_load_dword v4, v[4:5], off
	s_waitcnt vmcnt(0)
	v_subrev_u32_e32 v4, s72, v4
	v_ashrrev_i32_e32 v5, 31, v4
	v_lshlrev_b64 v[4:5], 3, v[4:5]
	v_add_co_u32_e32 v4, vcc, s22, v4
	v_addc_co_u32_e32 v5, vcc, v14, v5, vcc
	global_load_dwordx4 v[16:19], v[4:5], off
	s_waitcnt vmcnt(0)
	v_subrev_co_u32_e32 v4, vcc, s2, v18
	v_subb_co_u32_e32 v5, vcc, v19, v15, vcc
	v_add_co_u32_e32 v6, vcc, v16, v11
	v_addc_co_u32_e32 v7, vcc, v17, v12, vcc
	v_cmp_lt_i64_e32 vcc, v[6:7], v[4:5]
	s_and_saveexec_b64 s[12:13], vcc
	s_cbranch_execz .LBB226_16
; %bb.18:                               ;   in Loop: Header=BB226_17 Depth=1
	v_lshlrev_b64 v[16:17], 3, v[2:3]
	v_mov_b32_e32 v18, s21
	v_add_co_u32_e32 v16, vcc, s20, v16
	v_addc_co_u32_e32 v17, vcc, v18, v17, vcc
	global_load_dwordx2 v[18:19], v[16:17], off
	s_mov_b64 s[16:17], 0
	s_waitcnt vmcnt(0)
	v_mul_f32_e64 v16, v19, -s3
	v_mul_f32_e32 v17, s42, v19
	v_fmac_f32_e32 v16, s42, v18
	v_fmac_f32_e32 v17, s3, v18
	s_branch .LBB226_20
.LBB226_19:                             ;   in Loop: Header=BB226_20 Depth=2
	s_or_b64 exec, exec, s[24:25]
	v_add_co_u32_e32 v6, vcc, 32, v6
	v_addc_co_u32_e32 v7, vcc, 0, v7, vcc
	v_cmp_ge_i64_e32 vcc, v[6:7], v[4:5]
	s_or_b64 s[16:17], vcc, s[16:17]
	s_andn2_b64 exec, exec, s[16:17]
	s_cbranch_execz .LBB226_16
.LBB226_20:                             ;   Parent Loop BB226_17 Depth=1
                                        ; =>  This Loop Header: Depth=2
                                        ;       Child Loop BB226_22 Depth 3
	v_lshlrev_b64 v[18:19], 2, v[6:7]
	v_mov_b32_e32 v20, s9
	v_add_co_u32_e32 v18, vcc, s8, v18
	v_addc_co_u32_e32 v19, vcc, v20, v19, vcc
	global_load_dword v20, v[18:19], off
	v_lshlrev_b64 v[18:19], 3, v[6:7]
	v_mov_b32_e32 v21, s11
	v_add_co_u32_e32 v18, vcc, s10, v18
	v_addc_co_u32_e32 v19, vcc, v21, v19, vcc
	global_load_dwordx2 v[22:23], v[18:19], off
	s_mov_b64 s[24:25], 0
	s_waitcnt vmcnt(1)
	v_subrev_u32_e32 v18, s73, v20
	v_mul_lo_u32 v21, v18, s19
	v_and_b32_e32 v21, 0x7ff, v21
	s_waitcnt vmcnt(0)
	v_mul_f32_e64 v19, v23, -v17
	v_mul_f32_e32 v20, v16, v23
	v_fmac_f32_e32 v19, v16, v22
	v_fmac_f32_e32 v20, v17, v22
	s_branch .LBB226_22
.LBB226_21:                             ;   in Loop: Header=BB226_22 Depth=3
	s_or_b64 exec, exec, s[26:27]
	s_xor_b64 s[26:27], s[30:31], -1
	s_and_b64 s[26:27], exec, s[26:27]
	s_or_b64 s[24:25], s[26:27], s[24:25]
	s_andn2_b64 exec, exec, s[24:25]
	s_cbranch_execz .LBB226_19
.LBB226_22:                             ;   Parent Loop BB226_17 Depth=1
                                        ;     Parent Loop BB226_20 Depth=2
                                        ; =>    This Inner Loop Header: Depth=3
	v_lshl_add_u32 v22, v21, 2, 0
	ds_read_b32 v23, v22
                                        ; implicit-def: $sgpr30_sgpr31
	s_waitcnt lgkmcnt(0)
	v_cmp_ne_u32_e32 vcc, v23, v18
	s_and_saveexec_b64 s[26:27], vcc
	s_xor_b64 s[26:27], exec, s[26:27]
	s_cbranch_execz .LBB226_30
; %bb.23:                               ;   in Loop: Header=BB226_22 Depth=3
	v_cmp_ne_u32_e32 vcc, s33, v23
                                        ; implicit-def: $sgpr30_sgpr31
	s_and_saveexec_b64 s[34:35], vcc
	s_xor_b64 s[34:35], exec, s[34:35]
; %bb.24:                               ;   in Loop: Header=BB226_22 Depth=3
	v_add_u32_e32 v21, 1, v21
	v_and_b32_e32 v21, 0x7ff, v21
	s_mov_b64 s[30:31], -1
                                        ; implicit-def: $vgpr22
; %bb.25:                               ;   in Loop: Header=BB226_22 Depth=3
	s_andn2_saveexec_b64 s[34:35], s[34:35]
	s_cbranch_execz .LBB226_29
; %bb.26:                               ;   in Loop: Header=BB226_22 Depth=3
	v_mov_b32_e32 v23, s33
	ds_cmpst_rtn_b32 v23, v22, v23, v18
	s_mov_b64 s[36:37], -1
	s_waitcnt lgkmcnt(0)
	v_cmp_eq_u32_e32 vcc, s33, v23
	s_and_saveexec_b64 s[38:39], vcc
	s_cbranch_execz .LBB226_28
; %bb.27:                               ;   in Loop: Header=BB226_22 Depth=3
	v_lshl_add_u32 v22, v21, 2, v22
	ds_add_f32 v22, v19 offset:8192
	ds_add_f32 v22, v20 offset:8196
	s_xor_b64 s[36:37], exec, -1
.LBB226_28:                             ;   in Loop: Header=BB226_22 Depth=3
	s_or_b64 exec, exec, s[38:39]
	s_andn2_b64 s[30:31], s[30:31], exec
	s_and_b64 s[36:37], s[36:37], exec
	s_or_b64 s[30:31], s[30:31], s[36:37]
.LBB226_29:                             ;   in Loop: Header=BB226_22 Depth=3
	s_or_b64 exec, exec, s[34:35]
	s_and_b64 s[30:31], s[30:31], exec
                                        ; implicit-def: $vgpr22
.LBB226_30:                             ;   in Loop: Header=BB226_22 Depth=3
	s_andn2_saveexec_b64 s[26:27], s[26:27]
	s_cbranch_execz .LBB226_21
; %bb.31:                               ;   in Loop: Header=BB226_22 Depth=3
	v_lshl_add_u32 v22, v21, 2, v22
	ds_add_f32 v22, v19 offset:8192
	ds_add_f32 v22, v20 offset:8196
	s_andn2_b64 s[30:31], s[30:31], exec
	s_branch .LBB226_21
.LBB226_32:
	s_or_b64 exec, exec, s[4:5]
.LBB226_33:
	s_andn2_b64 vcc, exec, s[28:29]
	s_cbranch_vccnz .LBB226_50
; %bb.34:
	s_waitcnt lgkmcnt(0)
	s_ashr_i32 s79, s78, 31
	s_lshl_b64 s[0:1], s[78:79], 3
	s_add_u32 s0, s14, s0
	s_addc_u32 s1, s15, s1
	s_load_dwordx4 s[4:7], s[0:1], 0x0
	v_subrev_co_u32_e32 v2, vcc, s75, v0
	v_subb_co_u32_e64 v3, s[0:1], 0, 0, vcc
	s_waitcnt lgkmcnt(0)
	s_sub_u32 s0, s6, s75
	v_mov_b32_e32 v4, s5
	v_add_co_u32_e32 v2, vcc, s4, v2
	s_subb_u32 s1, s7, 0
	v_addc_co_u32_e32 v3, vcc, v4, v3, vcc
	v_cmp_gt_i64_e32 vcc, s[0:1], v[2:3]
	s_and_saveexec_b64 s[2:3], vcc
	s_cbranch_execz .LBB226_49
; %bb.35:
	s_mov_b64 s[4:5], 0
	v_mov_b32_e32 v4, s65
	v_mov_b32_e32 v5, s67
	s_movk_i32 s18, 0x89
	s_branch .LBB226_37
.LBB226_36:                             ;   in Loop: Header=BB226_37 Depth=1
	s_or_b64 exec, exec, s[6:7]
	v_add_co_u32_e32 v2, vcc, 0x400, v2
	v_addc_co_u32_e32 v3, vcc, 0, v3, vcc
	v_cmp_le_i64_e32 vcc, s[0:1], v[2:3]
	s_or_b64 s[4:5], vcc, s[4:5]
	s_andn2_b64 exec, exec, s[4:5]
	s_cbranch_execz .LBB226_49
.LBB226_37:                             ; =>This Loop Header: Depth=1
                                        ;     Child Loop BB226_39 Depth 2
	v_lshlrev_b64 v[6:7], 2, v[2:3]
	v_add_co_u32_e32 v6, vcc, s64, v6
	v_addc_co_u32_e32 v7, vcc, v4, v7, vcc
	global_load_dword v11, v[6:7], off
	v_lshlrev_b64 v[6:7], 3, v[2:3]
	v_add_co_u32_e32 v6, vcc, s66, v6
	v_addc_co_u32_e32 v7, vcc, v5, v7, vcc
	global_load_dwordx2 v[12:13], v[6:7], off
	s_mov_b64 s[6:7], 0
	s_waitcnt vmcnt(1)
	v_subrev_u32_e32 v6, s75, v11
	s_waitcnt vmcnt(0)
	v_mul_f32_e64 v7, v13, -s41
	v_mul_f32_e32 v11, s40, v13
	v_fmac_f32_e32 v7, s40, v12
	v_fmac_f32_e32 v11, s41, v12
	v_mul_lo_u32 v12, v6, s18
	v_and_b32_e32 v12, 0x7ff, v12
	s_branch .LBB226_39
.LBB226_38:                             ;   in Loop: Header=BB226_39 Depth=2
	s_or_b64 exec, exec, s[8:9]
	s_xor_b64 s[8:9], s[10:11], -1
	s_and_b64 s[8:9], exec, s[8:9]
	s_or_b64 s[6:7], s[8:9], s[6:7]
	s_andn2_b64 exec, exec, s[6:7]
	s_cbranch_execz .LBB226_36
.LBB226_39:                             ;   Parent Loop BB226_37 Depth=1
                                        ; =>  This Inner Loop Header: Depth=2
	v_lshl_add_u32 v13, v12, 2, 0
	ds_read_b32 v14, v13
                                        ; implicit-def: $sgpr10_sgpr11
	s_waitcnt lgkmcnt(0)
	v_cmp_ne_u32_e32 vcc, v14, v6
	s_and_saveexec_b64 s[8:9], vcc
	s_xor_b64 s[8:9], exec, s[8:9]
	s_cbranch_execz .LBB226_47
; %bb.40:                               ;   in Loop: Header=BB226_39 Depth=2
	v_cmp_ne_u32_e32 vcc, s33, v14
                                        ; implicit-def: $sgpr10_sgpr11
	s_and_saveexec_b64 s[12:13], vcc
	s_xor_b64 s[12:13], exec, s[12:13]
; %bb.41:                               ;   in Loop: Header=BB226_39 Depth=2
	v_add_u32_e32 v12, 1, v12
	v_and_b32_e32 v12, 0x7ff, v12
	s_mov_b64 s[10:11], -1
                                        ; implicit-def: $vgpr13
; %bb.42:                               ;   in Loop: Header=BB226_39 Depth=2
	s_andn2_saveexec_b64 s[12:13], s[12:13]
	s_cbranch_execz .LBB226_46
; %bb.43:                               ;   in Loop: Header=BB226_39 Depth=2
	v_mov_b32_e32 v14, s33
	ds_cmpst_rtn_b32 v14, v13, v14, v6
	s_mov_b64 s[14:15], -1
	s_waitcnt lgkmcnt(0)
	v_cmp_eq_u32_e32 vcc, s33, v14
	s_and_saveexec_b64 s[16:17], vcc
	s_cbranch_execz .LBB226_45
; %bb.44:                               ;   in Loop: Header=BB226_39 Depth=2
	v_lshl_add_u32 v13, v12, 2, v13
	ds_add_f32 v13, v7 offset:8192
	ds_add_f32 v13, v11 offset:8196
	s_xor_b64 s[14:15], exec, -1
.LBB226_45:                             ;   in Loop: Header=BB226_39 Depth=2
	s_or_b64 exec, exec, s[16:17]
	s_andn2_b64 s[10:11], s[10:11], exec
	s_and_b64 s[14:15], s[14:15], exec
	s_or_b64 s[10:11], s[10:11], s[14:15]
.LBB226_46:                             ;   in Loop: Header=BB226_39 Depth=2
	s_or_b64 exec, exec, s[12:13]
	s_and_b64 s[10:11], s[10:11], exec
                                        ; implicit-def: $vgpr13
.LBB226_47:                             ;   in Loop: Header=BB226_39 Depth=2
	s_andn2_saveexec_b64 s[8:9], s[8:9]
	s_cbranch_execz .LBB226_38
; %bb.48:                               ;   in Loop: Header=BB226_39 Depth=2
	v_lshl_add_u32 v13, v12, 2, v13
	ds_add_f32 v13, v7 offset:8192
	ds_add_f32 v13, v11 offset:8196
	s_andn2_b64 s[10:11], s[10:11], exec
	s_branch .LBB226_38
.LBB226_49:
	s_or_b64 exec, exec, s[2:3]
.LBB226_50:
	v_mbcnt_lo_u32_b32 v2, -1, 0
	v_mbcnt_hi_u32_b32 v2, -1, v2
	v_sub_u32_e32 v2, 63, v2
	s_movk_i32 s0, 0x3ff
	s_movk_i32 s6, 0x5f
	;; [unrolled: 1-line block ×30, first 2 shown]
	v_mov_b32_e32 v6, 0
	v_lshrrev_b64 v[2:3], v2, -1
	v_lshl_add_u32 v7, v10, 2, 0
	v_cmp_eq_u32_e64 s[0:1], s0, v0
	v_cmp_lt_u32_e64 s[2:3], 31, v0
	v_cmp_lt_u32_e64 s[4:5], 63, v0
	;; [unrolled: 1-line block ×31, first 2 shown]
	s_mov_b64 s[66:67], 0
	v_mov_b32_e32 v10, 0
	s_waitcnt lgkmcnt(0)
	s_barrier
	s_branch .LBB226_52
.LBB226_51:                             ;   in Loop: Header=BB226_52 Depth=1
	s_or_b64 exec, exec, s[72:73]
	s_waitcnt lgkmcnt(0)
	s_barrier
	ds_read_b32 v4, v6 offset:24700
	v_add_co_u32_e32 v8, vcc, 0x400, v8
	s_xor_b64 s[72:73], vcc, -1
	s_and_b64 s[72:73], exec, s[72:73]
	v_add_u32_e32 v1, 0x2000, v1
	s_waitcnt lgkmcnt(0)
	v_add_u32_e32 v10, v4, v10
	s_or_b64 s[66:67], s[72:73], s[66:67]
	v_add_u32_e32 v9, 0x1000, v9
	s_andn2_b64 exec, exec, s[66:67]
	s_cbranch_execz .LBB226_118
.LBB226_52:                             ; =>This Inner Loop Header: Depth=1
	ds_read_b32 v11, v9
	ds_read2_b32 v[4:5], v1 offset1:1
	s_waitcnt lgkmcnt(0)
	s_barrier
	v_cmp_gt_i32_e32 vcc, s33, v11
	v_and_b32_e32 v13, vcc_lo, v2
	s_bcnt1_i32_b64 s72, vcc
	v_and_b32_e32 v12, vcc_hi, v3
	v_bcnt_u32_b32 v13, v13, 0
	v_bcnt_u32_b32 v12, v12, v13
	v_mov_b32_e32 v13, s72
	ds_write_b32 v7, v13 offset:24576
	s_waitcnt lgkmcnt(0)
	s_barrier
	s_and_saveexec_b64 s[72:73], s[2:3]
	s_cbranch_execnz .LBB226_85
; %bb.53:                               ;   in Loop: Header=BB226_52 Depth=1
	s_or_b64 exec, exec, s[72:73]
	s_and_saveexec_b64 s[72:73], s[4:5]
	s_cbranch_execnz .LBB226_86
.LBB226_54:                             ;   in Loop: Header=BB226_52 Depth=1
	s_or_b64 exec, exec, s[72:73]
	s_and_saveexec_b64 s[72:73], s[6:7]
	s_cbranch_execnz .LBB226_87
.LBB226_55:                             ;   in Loop: Header=BB226_52 Depth=1
	s_or_b64 exec, exec, s[72:73]
	s_and_saveexec_b64 s[72:73], s[8:9]
	s_cbranch_execnz .LBB226_88
.LBB226_56:                             ;   in Loop: Header=BB226_52 Depth=1
	s_or_b64 exec, exec, s[72:73]
	s_and_saveexec_b64 s[72:73], s[10:11]
	s_cbranch_execnz .LBB226_89
.LBB226_57:                             ;   in Loop: Header=BB226_52 Depth=1
	s_or_b64 exec, exec, s[72:73]
	s_and_saveexec_b64 s[72:73], s[12:13]
	s_cbranch_execnz .LBB226_90
.LBB226_58:                             ;   in Loop: Header=BB226_52 Depth=1
	s_or_b64 exec, exec, s[72:73]
	s_and_saveexec_b64 s[72:73], s[14:15]
	s_cbranch_execnz .LBB226_91
.LBB226_59:                             ;   in Loop: Header=BB226_52 Depth=1
	s_or_b64 exec, exec, s[72:73]
	s_and_saveexec_b64 s[72:73], s[16:17]
	s_cbranch_execnz .LBB226_92
.LBB226_60:                             ;   in Loop: Header=BB226_52 Depth=1
	s_or_b64 exec, exec, s[72:73]
	s_and_saveexec_b64 s[72:73], s[18:19]
	s_cbranch_execnz .LBB226_93
.LBB226_61:                             ;   in Loop: Header=BB226_52 Depth=1
	s_or_b64 exec, exec, s[72:73]
	s_and_saveexec_b64 s[72:73], s[20:21]
	s_cbranch_execnz .LBB226_94
.LBB226_62:                             ;   in Loop: Header=BB226_52 Depth=1
	s_or_b64 exec, exec, s[72:73]
	s_and_saveexec_b64 s[72:73], s[22:23]
	s_cbranch_execnz .LBB226_95
.LBB226_63:                             ;   in Loop: Header=BB226_52 Depth=1
	s_or_b64 exec, exec, s[72:73]
	s_and_saveexec_b64 s[72:73], s[24:25]
	s_cbranch_execnz .LBB226_96
.LBB226_64:                             ;   in Loop: Header=BB226_52 Depth=1
	s_or_b64 exec, exec, s[72:73]
	s_and_saveexec_b64 s[72:73], s[26:27]
	s_cbranch_execnz .LBB226_97
.LBB226_65:                             ;   in Loop: Header=BB226_52 Depth=1
	s_or_b64 exec, exec, s[72:73]
	s_and_saveexec_b64 s[72:73], s[28:29]
	s_cbranch_execnz .LBB226_98
.LBB226_66:                             ;   in Loop: Header=BB226_52 Depth=1
	s_or_b64 exec, exec, s[72:73]
	s_and_saveexec_b64 s[72:73], s[30:31]
	s_cbranch_execnz .LBB226_99
.LBB226_67:                             ;   in Loop: Header=BB226_52 Depth=1
	s_or_b64 exec, exec, s[72:73]
	s_and_saveexec_b64 s[72:73], s[34:35]
	s_cbranch_execnz .LBB226_100
.LBB226_68:                             ;   in Loop: Header=BB226_52 Depth=1
	s_or_b64 exec, exec, s[72:73]
	s_and_saveexec_b64 s[72:73], s[36:37]
	s_cbranch_execnz .LBB226_101
.LBB226_69:                             ;   in Loop: Header=BB226_52 Depth=1
	s_or_b64 exec, exec, s[72:73]
	s_and_saveexec_b64 s[72:73], s[38:39]
	s_cbranch_execnz .LBB226_102
.LBB226_70:                             ;   in Loop: Header=BB226_52 Depth=1
	s_or_b64 exec, exec, s[72:73]
	s_and_saveexec_b64 s[72:73], s[40:41]
	s_cbranch_execnz .LBB226_103
.LBB226_71:                             ;   in Loop: Header=BB226_52 Depth=1
	s_or_b64 exec, exec, s[72:73]
	s_and_saveexec_b64 s[72:73], s[42:43]
	s_cbranch_execnz .LBB226_104
.LBB226_72:                             ;   in Loop: Header=BB226_52 Depth=1
	s_or_b64 exec, exec, s[72:73]
	s_and_saveexec_b64 s[72:73], s[44:45]
	s_cbranch_execnz .LBB226_105
.LBB226_73:                             ;   in Loop: Header=BB226_52 Depth=1
	s_or_b64 exec, exec, s[72:73]
	s_and_saveexec_b64 s[72:73], s[46:47]
	s_cbranch_execnz .LBB226_106
.LBB226_74:                             ;   in Loop: Header=BB226_52 Depth=1
	s_or_b64 exec, exec, s[72:73]
	s_and_saveexec_b64 s[72:73], s[48:49]
	s_cbranch_execnz .LBB226_107
.LBB226_75:                             ;   in Loop: Header=BB226_52 Depth=1
	s_or_b64 exec, exec, s[72:73]
	s_and_saveexec_b64 s[72:73], s[50:51]
	s_cbranch_execnz .LBB226_108
.LBB226_76:                             ;   in Loop: Header=BB226_52 Depth=1
	s_or_b64 exec, exec, s[72:73]
	s_and_saveexec_b64 s[72:73], s[52:53]
	s_cbranch_execnz .LBB226_109
.LBB226_77:                             ;   in Loop: Header=BB226_52 Depth=1
	s_or_b64 exec, exec, s[72:73]
	s_and_saveexec_b64 s[72:73], s[54:55]
	s_cbranch_execnz .LBB226_110
.LBB226_78:                             ;   in Loop: Header=BB226_52 Depth=1
	s_or_b64 exec, exec, s[72:73]
	s_and_saveexec_b64 s[72:73], s[56:57]
	s_cbranch_execnz .LBB226_111
.LBB226_79:                             ;   in Loop: Header=BB226_52 Depth=1
	s_or_b64 exec, exec, s[72:73]
	s_and_saveexec_b64 s[72:73], s[58:59]
	s_cbranch_execnz .LBB226_112
.LBB226_80:                             ;   in Loop: Header=BB226_52 Depth=1
	s_or_b64 exec, exec, s[72:73]
	s_and_saveexec_b64 s[72:73], s[60:61]
	s_cbranch_execnz .LBB226_113
.LBB226_81:                             ;   in Loop: Header=BB226_52 Depth=1
	s_or_b64 exec, exec, s[72:73]
	s_and_saveexec_b64 s[72:73], s[62:63]
	s_cbranch_execnz .LBB226_114
.LBB226_82:                             ;   in Loop: Header=BB226_52 Depth=1
	s_or_b64 exec, exec, s[72:73]
	s_and_saveexec_b64 s[72:73], s[64:65]
	s_cbranch_execnz .LBB226_115
.LBB226_83:                             ;   in Loop: Header=BB226_52 Depth=1
	s_or_b64 exec, exec, s[72:73]
	s_and_saveexec_b64 s[72:73], vcc
	s_cbranch_execnz .LBB226_116
.LBB226_84:                             ;   in Loop: Header=BB226_52 Depth=1
	s_or_b64 exec, exec, s[72:73]
	s_and_saveexec_b64 s[72:73], s[0:1]
	s_cbranch_execz .LBB226_51
	s_branch .LBB226_117
.LBB226_85:                             ;   in Loop: Header=BB226_52 Depth=1
	ds_read_b32 v13, v6 offset:24576
	s_waitcnt lgkmcnt(0)
	v_add_u32_e32 v12, v13, v12
	s_or_b64 exec, exec, s[72:73]
	s_and_saveexec_b64 s[72:73], s[4:5]
	s_cbranch_execz .LBB226_54
.LBB226_86:                             ;   in Loop: Header=BB226_52 Depth=1
	ds_read_b32 v13, v6 offset:24580
	s_waitcnt lgkmcnt(0)
	v_add_u32_e32 v12, v13, v12
	s_or_b64 exec, exec, s[72:73]
	s_and_saveexec_b64 s[72:73], s[6:7]
	s_cbranch_execz .LBB226_55
.LBB226_87:                             ;   in Loop: Header=BB226_52 Depth=1
	ds_read_b32 v13, v6 offset:24584
	s_waitcnt lgkmcnt(0)
	v_add_u32_e32 v12, v13, v12
	s_or_b64 exec, exec, s[72:73]
	s_and_saveexec_b64 s[72:73], s[8:9]
	s_cbranch_execz .LBB226_56
.LBB226_88:                             ;   in Loop: Header=BB226_52 Depth=1
	ds_read_b32 v13, v6 offset:24588
	s_waitcnt lgkmcnt(0)
	v_add_u32_e32 v12, v13, v12
	s_or_b64 exec, exec, s[72:73]
	s_and_saveexec_b64 s[72:73], s[10:11]
	s_cbranch_execz .LBB226_57
.LBB226_89:                             ;   in Loop: Header=BB226_52 Depth=1
	ds_read_b32 v13, v6 offset:24592
	s_waitcnt lgkmcnt(0)
	v_add_u32_e32 v12, v13, v12
	s_or_b64 exec, exec, s[72:73]
	s_and_saveexec_b64 s[72:73], s[12:13]
	s_cbranch_execz .LBB226_58
.LBB226_90:                             ;   in Loop: Header=BB226_52 Depth=1
	ds_read_b32 v13, v6 offset:24596
	s_waitcnt lgkmcnt(0)
	v_add_u32_e32 v12, v13, v12
	s_or_b64 exec, exec, s[72:73]
	s_and_saveexec_b64 s[72:73], s[14:15]
	s_cbranch_execz .LBB226_59
.LBB226_91:                             ;   in Loop: Header=BB226_52 Depth=1
	ds_read_b32 v13, v6 offset:24600
	s_waitcnt lgkmcnt(0)
	v_add_u32_e32 v12, v13, v12
	s_or_b64 exec, exec, s[72:73]
	s_and_saveexec_b64 s[72:73], s[16:17]
	s_cbranch_execz .LBB226_60
.LBB226_92:                             ;   in Loop: Header=BB226_52 Depth=1
	ds_read_b32 v13, v6 offset:24604
	s_waitcnt lgkmcnt(0)
	v_add_u32_e32 v12, v13, v12
	s_or_b64 exec, exec, s[72:73]
	s_and_saveexec_b64 s[72:73], s[18:19]
	s_cbranch_execz .LBB226_61
.LBB226_93:                             ;   in Loop: Header=BB226_52 Depth=1
	ds_read_b32 v13, v6 offset:24608
	s_waitcnt lgkmcnt(0)
	v_add_u32_e32 v12, v13, v12
	s_or_b64 exec, exec, s[72:73]
	s_and_saveexec_b64 s[72:73], s[20:21]
	s_cbranch_execz .LBB226_62
.LBB226_94:                             ;   in Loop: Header=BB226_52 Depth=1
	ds_read_b32 v13, v6 offset:24612
	s_waitcnt lgkmcnt(0)
	v_add_u32_e32 v12, v13, v12
	s_or_b64 exec, exec, s[72:73]
	s_and_saveexec_b64 s[72:73], s[22:23]
	s_cbranch_execz .LBB226_63
.LBB226_95:                             ;   in Loop: Header=BB226_52 Depth=1
	ds_read_b32 v13, v6 offset:24616
	s_waitcnt lgkmcnt(0)
	v_add_u32_e32 v12, v13, v12
	s_or_b64 exec, exec, s[72:73]
	s_and_saveexec_b64 s[72:73], s[24:25]
	s_cbranch_execz .LBB226_64
.LBB226_96:                             ;   in Loop: Header=BB226_52 Depth=1
	ds_read_b32 v13, v6 offset:24620
	s_waitcnt lgkmcnt(0)
	v_add_u32_e32 v12, v13, v12
	s_or_b64 exec, exec, s[72:73]
	s_and_saveexec_b64 s[72:73], s[26:27]
	s_cbranch_execz .LBB226_65
.LBB226_97:                             ;   in Loop: Header=BB226_52 Depth=1
	ds_read_b32 v13, v6 offset:24624
	s_waitcnt lgkmcnt(0)
	v_add_u32_e32 v12, v13, v12
	s_or_b64 exec, exec, s[72:73]
	s_and_saveexec_b64 s[72:73], s[28:29]
	s_cbranch_execz .LBB226_66
.LBB226_98:                             ;   in Loop: Header=BB226_52 Depth=1
	ds_read_b32 v13, v6 offset:24628
	s_waitcnt lgkmcnt(0)
	v_add_u32_e32 v12, v13, v12
	s_or_b64 exec, exec, s[72:73]
	s_and_saveexec_b64 s[72:73], s[30:31]
	s_cbranch_execz .LBB226_67
.LBB226_99:                             ;   in Loop: Header=BB226_52 Depth=1
	ds_read_b32 v13, v6 offset:24632
	s_waitcnt lgkmcnt(0)
	v_add_u32_e32 v12, v13, v12
	s_or_b64 exec, exec, s[72:73]
	s_and_saveexec_b64 s[72:73], s[34:35]
	s_cbranch_execz .LBB226_68
.LBB226_100:                            ;   in Loop: Header=BB226_52 Depth=1
	ds_read_b32 v13, v6 offset:24636
	s_waitcnt lgkmcnt(0)
	v_add_u32_e32 v12, v13, v12
	s_or_b64 exec, exec, s[72:73]
	s_and_saveexec_b64 s[72:73], s[36:37]
	s_cbranch_execz .LBB226_69
.LBB226_101:                            ;   in Loop: Header=BB226_52 Depth=1
	ds_read_b32 v13, v6 offset:24640
	s_waitcnt lgkmcnt(0)
	v_add_u32_e32 v12, v13, v12
	s_or_b64 exec, exec, s[72:73]
	s_and_saveexec_b64 s[72:73], s[38:39]
	s_cbranch_execz .LBB226_70
.LBB226_102:                            ;   in Loop: Header=BB226_52 Depth=1
	ds_read_b32 v13, v6 offset:24644
	s_waitcnt lgkmcnt(0)
	v_add_u32_e32 v12, v13, v12
	s_or_b64 exec, exec, s[72:73]
	s_and_saveexec_b64 s[72:73], s[40:41]
	s_cbranch_execz .LBB226_71
.LBB226_103:                            ;   in Loop: Header=BB226_52 Depth=1
	ds_read_b32 v13, v6 offset:24648
	s_waitcnt lgkmcnt(0)
	v_add_u32_e32 v12, v13, v12
	s_or_b64 exec, exec, s[72:73]
	s_and_saveexec_b64 s[72:73], s[42:43]
	s_cbranch_execz .LBB226_72
.LBB226_104:                            ;   in Loop: Header=BB226_52 Depth=1
	ds_read_b32 v13, v6 offset:24652
	s_waitcnt lgkmcnt(0)
	v_add_u32_e32 v12, v13, v12
	s_or_b64 exec, exec, s[72:73]
	s_and_saveexec_b64 s[72:73], s[44:45]
	s_cbranch_execz .LBB226_73
.LBB226_105:                            ;   in Loop: Header=BB226_52 Depth=1
	ds_read_b32 v13, v6 offset:24656
	s_waitcnt lgkmcnt(0)
	v_add_u32_e32 v12, v13, v12
	s_or_b64 exec, exec, s[72:73]
	s_and_saveexec_b64 s[72:73], s[46:47]
	s_cbranch_execz .LBB226_74
.LBB226_106:                            ;   in Loop: Header=BB226_52 Depth=1
	ds_read_b32 v13, v6 offset:24660
	s_waitcnt lgkmcnt(0)
	v_add_u32_e32 v12, v13, v12
	s_or_b64 exec, exec, s[72:73]
	s_and_saveexec_b64 s[72:73], s[48:49]
	s_cbranch_execz .LBB226_75
.LBB226_107:                            ;   in Loop: Header=BB226_52 Depth=1
	ds_read_b32 v13, v6 offset:24664
	s_waitcnt lgkmcnt(0)
	v_add_u32_e32 v12, v13, v12
	s_or_b64 exec, exec, s[72:73]
	s_and_saveexec_b64 s[72:73], s[50:51]
	s_cbranch_execz .LBB226_76
.LBB226_108:                            ;   in Loop: Header=BB226_52 Depth=1
	ds_read_b32 v13, v6 offset:24668
	s_waitcnt lgkmcnt(0)
	v_add_u32_e32 v12, v13, v12
	s_or_b64 exec, exec, s[72:73]
	s_and_saveexec_b64 s[72:73], s[52:53]
	s_cbranch_execz .LBB226_77
.LBB226_109:                            ;   in Loop: Header=BB226_52 Depth=1
	ds_read_b32 v13, v6 offset:24672
	s_waitcnt lgkmcnt(0)
	v_add_u32_e32 v12, v13, v12
	s_or_b64 exec, exec, s[72:73]
	s_and_saveexec_b64 s[72:73], s[54:55]
	s_cbranch_execz .LBB226_78
.LBB226_110:                            ;   in Loop: Header=BB226_52 Depth=1
	ds_read_b32 v13, v6 offset:24676
	s_waitcnt lgkmcnt(0)
	v_add_u32_e32 v12, v13, v12
	s_or_b64 exec, exec, s[72:73]
	s_and_saveexec_b64 s[72:73], s[56:57]
	s_cbranch_execz .LBB226_79
.LBB226_111:                            ;   in Loop: Header=BB226_52 Depth=1
	ds_read_b32 v13, v6 offset:24680
	s_waitcnt lgkmcnt(0)
	v_add_u32_e32 v12, v13, v12
	s_or_b64 exec, exec, s[72:73]
	s_and_saveexec_b64 s[72:73], s[58:59]
	s_cbranch_execz .LBB226_80
.LBB226_112:                            ;   in Loop: Header=BB226_52 Depth=1
	ds_read_b32 v13, v6 offset:24684
	s_waitcnt lgkmcnt(0)
	v_add_u32_e32 v12, v13, v12
	s_or_b64 exec, exec, s[72:73]
	s_and_saveexec_b64 s[72:73], s[60:61]
	s_cbranch_execz .LBB226_81
.LBB226_113:                            ;   in Loop: Header=BB226_52 Depth=1
	ds_read_b32 v13, v6 offset:24688
	s_waitcnt lgkmcnt(0)
	v_add_u32_e32 v12, v13, v12
	s_or_b64 exec, exec, s[72:73]
	s_and_saveexec_b64 s[72:73], s[62:63]
	s_cbranch_execz .LBB226_82
.LBB226_114:                            ;   in Loop: Header=BB226_52 Depth=1
	ds_read_b32 v13, v6 offset:24692
	s_waitcnt lgkmcnt(0)
	v_add_u32_e32 v12, v13, v12
	s_or_b64 exec, exec, s[72:73]
	s_and_saveexec_b64 s[72:73], s[64:65]
	s_cbranch_execz .LBB226_83
.LBB226_115:                            ;   in Loop: Header=BB226_52 Depth=1
	ds_read_b32 v13, v6 offset:24696
	s_waitcnt lgkmcnt(0)
	v_add_u32_e32 v12, v13, v12
	s_or_b64 exec, exec, s[72:73]
	s_and_saveexec_b64 s[72:73], vcc
	s_cbranch_execz .LBB226_84
.LBB226_116:                            ;   in Loop: Header=BB226_52 Depth=1
	v_add3_u32 v13, v10, -1, v12
	v_lshl_add_u32 v14, v13, 2, 0
	v_lshl_add_u32 v13, v13, 3, 0
	v_add_u32_e32 v13, 0x2000, v13
	ds_write_b32 v14, v11
	ds_write2_b32 v13, v4, v5 offset1:1
	s_or_b64 exec, exec, s[72:73]
	s_and_saveexec_b64 s[72:73], s[0:1]
	s_cbranch_execz .LBB226_51
.LBB226_117:                            ;   in Loop: Header=BB226_52 Depth=1
	ds_write_b32 v6, v12 offset:24700
	s_branch .LBB226_51
.LBB226_118:
	s_or_b64 exec, exec, s[66:67]
	s_ashr_i32 s79, s78, 31
	s_lshl_b64 s[0:1], s[78:79], 3
	s_add_u32 s0, s68, s0
	s_addc_u32 s1, s69, s1
	s_load_dwordx4 s[0:3], s[0:1], 0x0
	s_waitcnt lgkmcnt(0)
	s_sub_i32 s8, s2, s0
	v_cmp_gt_i32_e32 vcc, s8, v0
	s_and_saveexec_b64 s[4:5], vcc
	s_cbranch_execz .LBB226_128
; %bb.119:
	s_sub_u32 s4, s0, s74
	s_subb_u32 s5, s1, 0
	s_and_b32 s9, s8, 7
	s_sub_i32 s0, s0, s2
	s_cmp_lt_u32 s0, -7
	s_cselect_b64 s[0:1], -1, 0
	s_and_b32 s10, s8, -8
	s_cmp_lg_u32 s9, 0
	v_cndmask_b32_e64 v1, 0, 1, s[0:1]
	s_cselect_b64 s[2:3], -1, 0
	v_cmp_ne_u32_e64 s[0:1], 1, v1
	v_cndmask_b32_e64 v1, 0, 1, s[2:3]
	s_mov_b64 s[6:7], 0
	s_movk_i32 s11, 0x2000
	v_cmp_ne_u32_e64 s[2:3], 1, v1
	s_branch .LBB226_121
.LBB226_120:                            ;   in Loop: Header=BB226_121 Depth=1
	v_lshlrev_b64 v[6:7], 2, v[4:5]
	v_mov_b32_e32 v8, s71
	v_add_co_u32_e32 v6, vcc, s70, v6
	s_waitcnt lgkmcnt(1)
	v_add_u32_e32 v1, s74, v1
	v_addc_co_u32_e32 v7, vcc, v8, v7, vcc
	v_lshlrev_b64 v[4:5], 3, v[4:5]
	global_store_dword v[6:7], v1, off
	v_mov_b32_e32 v1, s77
	v_add_co_u32_e32 v4, vcc, s76, v4
	v_addc_co_u32_e32 v5, vcc, v1, v5, vcc
	v_add_u32_e32 v0, 0x400, v0
	v_cmp_le_i32_e32 vcc, s8, v0
	s_or_b64 s[6:7], vcc, s[6:7]
	s_waitcnt lgkmcnt(0)
	global_store_dwordx2 v[4:5], v[2:3], off
	s_andn2_b64 exec, exec, s[6:7]
	s_cbranch_execz .LBB226_128
.LBB226_121:                            ; =>This Loop Header: Depth=1
                                        ;     Child Loop BB226_123 Depth 2
                                        ;     Child Loop BB226_127 Depth 2
	v_lshlrev_b32_e32 v1, 2, v0
	v_add_u32_e32 v2, 0, v1
	v_add3_u32 v3, v2, v1, s11
	ds_read_b32 v1, v2
	ds_read2_b32 v[2:3], v3 offset1:1
	s_and_b64 vcc, exec, s[0:1]
	v_pk_mov_b32 v[4:5], s[4:5], s[4:5] op_sel:[0,1]
	s_mov_b32 s12, 0
	s_cbranch_vccnz .LBB226_125
; %bb.122:                              ;   in Loop: Header=BB226_121 Depth=1
	s_mov_b32 s13, 0
	v_pk_mov_b32 v[4:5], s[4:5], s[4:5] op_sel:[0,1]
.LBB226_123:                            ;   Parent Loop BB226_121 Depth=1
                                        ; =>  This Inner Loop Header: Depth=2
	v_mov_b32_e32 v12, s13
	ds_read2_b32 v[6:7], v12 offset1:1
	ds_read2_b32 v[8:9], v12 offset0:2 offset1:3
	ds_read2_b32 v[10:11], v12 offset0:4 offset1:5
	;; [unrolled: 1-line block ×3, first 2 shown]
	s_add_i32 s12, s12, 8
	s_waitcnt lgkmcnt(3)
	v_cmp_gt_i32_e32 vcc, v1, v6
	v_cndmask_b32_e64 v6, 0, 1, vcc
	v_cmp_gt_i32_e32 vcc, v1, v7
	v_cndmask_b32_e64 v7, 0, 1, vcc
	s_waitcnt lgkmcnt(2)
	v_cmp_gt_i32_e32 vcc, v1, v8
	v_cndmask_b32_e64 v8, 0, 1, vcc
	v_cmp_gt_i32_e32 vcc, v1, v9
	v_cndmask_b32_e64 v9, 0, 1, vcc
	;; [unrolled: 5-line block ×4, first 2 shown]
	v_add_co_u32_e32 v4, vcc, v4, v6
	v_addc_co_u32_e32 v5, vcc, 0, v5, vcc
	v_add_co_u32_e32 v4, vcc, v4, v7
	v_addc_co_u32_e32 v5, vcc, 0, v5, vcc
	v_add_co_u32_e32 v4, vcc, v4, v8
	v_addc_co_u32_e32 v5, vcc, 0, v5, vcc
	v_add_co_u32_e32 v4, vcc, v4, v9
	v_addc_co_u32_e32 v5, vcc, 0, v5, vcc
	v_add_co_u32_e32 v4, vcc, v4, v10
	v_addc_co_u32_e32 v5, vcc, 0, v5, vcc
	v_add_co_u32_e32 v4, vcc, v4, v11
	v_addc_co_u32_e32 v5, vcc, 0, v5, vcc
	v_add_co_u32_e32 v4, vcc, v4, v12
	v_addc_co_u32_e32 v5, vcc, 0, v5, vcc
	s_add_i32 s13, s13, 32
	v_add_co_u32_e32 v4, vcc, v4, v13
	s_cmp_eq_u32 s10, s12
	v_addc_co_u32_e32 v5, vcc, 0, v5, vcc
	s_cbranch_scc0 .LBB226_123
; %bb.124:                              ;   in Loop: Header=BB226_121 Depth=1
	s_mov_b32 s12, s10
.LBB226_125:                            ;   in Loop: Header=BB226_121 Depth=1
	s_and_b64 vcc, exec, s[2:3]
	s_cbranch_vccnz .LBB226_120
; %bb.126:                              ;   in Loop: Header=BB226_121 Depth=1
	s_lshl_b32 s12, s12, 2
	s_add_i32 s12, s12, 0
	s_mov_b32 s13, s9
.LBB226_127:                            ;   Parent Loop BB226_121 Depth=1
                                        ; =>  This Inner Loop Header: Depth=2
	v_mov_b32_e32 v6, s12
	ds_read_b32 v6, v6
	s_add_i32 s12, s12, 4
	s_add_i32 s13, s13, -1
	s_cmp_lg_u32 s13, 0
	s_waitcnt lgkmcnt(0)
	v_cmp_gt_i32_e32 vcc, v1, v6
	v_cndmask_b32_e64 v6, 0, 1, vcc
	v_add_co_u32_e32 v4, vcc, v4, v6
	v_addc_co_u32_e32 v5, vcc, 0, v5, vcc
	s_cbranch_scc1 .LBB226_127
	s_branch .LBB226_120
.LBB226_128:
	s_endpgm
	.section	.rodata,"a",@progbits
	.p2align	6, 0x0
	.amdhsa_kernel _ZN9rocsparseL26csrgemm_fill_block_per_rowILj1024ELj32ELj2048ELj137ELj32Eli21rocsparse_complex_numIfEEEvT5_PKS3_S5_NS_24const_host_device_scalarIT6_EEPKT4_S5_PKS7_SB_S5_SD_S8_SB_S5_SD_SB_PS3_PS7_21rocsparse_index_base_SG_SG_SG_bbb
		.amdhsa_group_segment_fixed_size 0
		.amdhsa_private_segment_fixed_size 0
		.amdhsa_kernarg_size 156
		.amdhsa_user_sgpr_count 6
		.amdhsa_user_sgpr_private_segment_buffer 1
		.amdhsa_user_sgpr_dispatch_ptr 0
		.amdhsa_user_sgpr_queue_ptr 0
		.amdhsa_user_sgpr_kernarg_segment_ptr 1
		.amdhsa_user_sgpr_dispatch_id 0
		.amdhsa_user_sgpr_flat_scratch_init 0
		.amdhsa_user_sgpr_kernarg_preload_length 0
		.amdhsa_user_sgpr_kernarg_preload_offset 0
		.amdhsa_user_sgpr_private_segment_size 0
		.amdhsa_uses_dynamic_stack 0
		.amdhsa_system_sgpr_private_segment_wavefront_offset 0
		.amdhsa_system_sgpr_workgroup_id_x 1
		.amdhsa_system_sgpr_workgroup_id_y 0
		.amdhsa_system_sgpr_workgroup_id_z 0
		.amdhsa_system_sgpr_workgroup_info 0
		.amdhsa_system_vgpr_workitem_id 0
		.amdhsa_next_free_vgpr 24
		.amdhsa_next_free_sgpr 80
		.amdhsa_accum_offset 24
		.amdhsa_reserve_vcc 1
		.amdhsa_reserve_flat_scratch 0
		.amdhsa_float_round_mode_32 0
		.amdhsa_float_round_mode_16_64 0
		.amdhsa_float_denorm_mode_32 3
		.amdhsa_float_denorm_mode_16_64 3
		.amdhsa_dx10_clamp 1
		.amdhsa_ieee_mode 1
		.amdhsa_fp16_overflow 0
		.amdhsa_tg_split 0
		.amdhsa_exception_fp_ieee_invalid_op 0
		.amdhsa_exception_fp_denorm_src 0
		.amdhsa_exception_fp_ieee_div_zero 0
		.amdhsa_exception_fp_ieee_overflow 0
		.amdhsa_exception_fp_ieee_underflow 0
		.amdhsa_exception_fp_ieee_inexact 0
		.amdhsa_exception_int_div_zero 0
	.end_amdhsa_kernel
	.section	.text._ZN9rocsparseL26csrgemm_fill_block_per_rowILj1024ELj32ELj2048ELj137ELj32Eli21rocsparse_complex_numIfEEEvT5_PKS3_S5_NS_24const_host_device_scalarIT6_EEPKT4_S5_PKS7_SB_S5_SD_S8_SB_S5_SD_SB_PS3_PS7_21rocsparse_index_base_SG_SG_SG_bbb,"axG",@progbits,_ZN9rocsparseL26csrgemm_fill_block_per_rowILj1024ELj32ELj2048ELj137ELj32Eli21rocsparse_complex_numIfEEEvT5_PKS3_S5_NS_24const_host_device_scalarIT6_EEPKT4_S5_PKS7_SB_S5_SD_S8_SB_S5_SD_SB_PS3_PS7_21rocsparse_index_base_SG_SG_SG_bbb,comdat
.Lfunc_end226:
	.size	_ZN9rocsparseL26csrgemm_fill_block_per_rowILj1024ELj32ELj2048ELj137ELj32Eli21rocsparse_complex_numIfEEEvT5_PKS3_S5_NS_24const_host_device_scalarIT6_EEPKT4_S5_PKS7_SB_S5_SD_S8_SB_S5_SD_SB_PS3_PS7_21rocsparse_index_base_SG_SG_SG_bbb, .Lfunc_end226-_ZN9rocsparseL26csrgemm_fill_block_per_rowILj1024ELj32ELj2048ELj137ELj32Eli21rocsparse_complex_numIfEEEvT5_PKS3_S5_NS_24const_host_device_scalarIT6_EEPKT4_S5_PKS7_SB_S5_SD_S8_SB_S5_SD_SB_PS3_PS7_21rocsparse_index_base_SG_SG_SG_bbb
                                        ; -- End function
	.section	.AMDGPU.csdata,"",@progbits
; Kernel info:
; codeLenInByte = 4076
; NumSgprs: 84
; NumVgprs: 24
; NumAgprs: 0
; TotalNumVgprs: 24
; ScratchSize: 0
; MemoryBound: 0
; FloatMode: 240
; IeeeMode: 1
; LDSByteSize: 0 bytes/workgroup (compile time only)
; SGPRBlocks: 10
; VGPRBlocks: 2
; NumSGPRsForWavesPerEU: 84
; NumVGPRsForWavesPerEU: 24
; AccumOffset: 24
; Occupancy: 8
; WaveLimiterHint : 1
; COMPUTE_PGM_RSRC2:SCRATCH_EN: 0
; COMPUTE_PGM_RSRC2:USER_SGPR: 6
; COMPUTE_PGM_RSRC2:TRAP_HANDLER: 0
; COMPUTE_PGM_RSRC2:TGID_X_EN: 1
; COMPUTE_PGM_RSRC2:TGID_Y_EN: 0
; COMPUTE_PGM_RSRC2:TGID_Z_EN: 0
; COMPUTE_PGM_RSRC2:TIDIG_COMP_CNT: 0
; COMPUTE_PGM_RSRC3_GFX90A:ACCUM_OFFSET: 5
; COMPUTE_PGM_RSRC3_GFX90A:TG_SPLIT: 0
	.section	.text._ZN9rocsparseL26csrgemm_fill_block_per_rowILj1024ELj32ELj2048ELj137ELj64Eli21rocsparse_complex_numIfEEEvT5_PKS3_S5_NS_24const_host_device_scalarIT6_EEPKT4_S5_PKS7_SB_S5_SD_S8_SB_S5_SD_SB_PS3_PS7_21rocsparse_index_base_SG_SG_SG_bbb,"axG",@progbits,_ZN9rocsparseL26csrgemm_fill_block_per_rowILj1024ELj32ELj2048ELj137ELj64Eli21rocsparse_complex_numIfEEEvT5_PKS3_S5_NS_24const_host_device_scalarIT6_EEPKT4_S5_PKS7_SB_S5_SD_S8_SB_S5_SD_SB_PS3_PS7_21rocsparse_index_base_SG_SG_SG_bbb,comdat
	.globl	_ZN9rocsparseL26csrgemm_fill_block_per_rowILj1024ELj32ELj2048ELj137ELj64Eli21rocsparse_complex_numIfEEEvT5_PKS3_S5_NS_24const_host_device_scalarIT6_EEPKT4_S5_PKS7_SB_S5_SD_S8_SB_S5_SD_SB_PS3_PS7_21rocsparse_index_base_SG_SG_SG_bbb ; -- Begin function _ZN9rocsparseL26csrgemm_fill_block_per_rowILj1024ELj32ELj2048ELj137ELj64Eli21rocsparse_complex_numIfEEEvT5_PKS3_S5_NS_24const_host_device_scalarIT6_EEPKT4_S5_PKS7_SB_S5_SD_S8_SB_S5_SD_SB_PS3_PS7_21rocsparse_index_base_SG_SG_SG_bbb
	.p2align	8
	.type	_ZN9rocsparseL26csrgemm_fill_block_per_rowILj1024ELj32ELj2048ELj137ELj64Eli21rocsparse_complex_numIfEEEvT5_PKS3_S5_NS_24const_host_device_scalarIT6_EEPKT4_S5_PKS7_SB_S5_SD_S8_SB_S5_SD_SB_PS3_PS7_21rocsparse_index_base_SG_SG_SG_bbb,@function
_ZN9rocsparseL26csrgemm_fill_block_per_rowILj1024ELj32ELj2048ELj137ELj64Eli21rocsparse_complex_numIfEEEvT5_PKS3_S5_NS_24const_host_device_scalarIT6_EEPKT4_S5_PKS7_SB_S5_SD_S8_SB_S5_SD_SB_PS3_PS7_21rocsparse_index_base_SG_SG_SG_bbb: ; @_ZN9rocsparseL26csrgemm_fill_block_per_rowILj1024ELj32ELj2048ELj137ELj64Eli21rocsparse_complex_numIfEEEvT5_PKS3_S5_NS_24const_host_device_scalarIT6_EEPKT4_S5_PKS7_SB_S5_SD_S8_SB_S5_SD_SB_PS3_PS7_21rocsparse_index_base_SG_SG_SG_bbb
; %bb.0:
	s_load_dwordx8 s[36:43], s[4:5], 0x60
	s_load_dwordx8 s[8:15], s[4:5], 0x40
	s_load_dword s7, s[4:5], 0x98
	s_load_dwordx4 s[24:27], s[4:5], 0x8
	s_load_dwordx8 s[16:23], s[4:5], 0x20
	s_load_dwordx2 s[34:35], s[4:5], 0x80
	s_load_dwordx4 s[44:47], s[4:5], 0x88
	s_waitcnt lgkmcnt(0)
	s_bitcmp1_b32 s7, 0
	s_cselect_b64 s[30:31], -1, 0
	s_bitcmp1_b32 s7, 16
	s_cselect_b64 s[0:1], -1, 0
	s_xor_b64 s[0:1], s[0:1], -1
	v_cndmask_b32_e64 v1, 0, 1, s[0:1]
	s_mov_b32 s3, 0
	s_bitcmp0_b32 s7, 0
	v_cmp_ne_u32_e64 s[0:1], 1, v1
	s_mov_b32 s58, 0
	s_cbranch_scc1 .LBB227_5
; %bb.1:
	s_load_dwordx2 s[2:3], s[4:5], 0x18
	s_and_b64 vcc, exec, s[0:1]
	s_waitcnt lgkmcnt(0)
	s_mov_b32 s58, s2
	s_cbranch_vccnz .LBB227_3
; %bb.2:
	s_load_dword s58, s[2:3], 0x0
.LBB227_3:
	s_and_b64 vcc, exec, s[0:1]
	s_cbranch_vccnz .LBB227_5
; %bb.4:
	s_load_dword s3, s[2:3], 0x4
.LBB227_5:
	s_bitcmp1_b32 s7, 8
	s_cselect_b64 s[28:29], -1, 0
	s_bfe_u32 s2, s7, 0x10008
	s_mov_b32 s57, 0
	s_cmp_eq_u32 s2, 0
	s_mov_b32 s56, 0
	s_cbranch_scc1 .LBB227_11
; %bb.6:
	s_and_b64 vcc, exec, s[0:1]
	s_mov_b32 s56, s12
	s_cbranch_vccnz .LBB227_8
; %bb.7:
	s_load_dword s56, s[12:13], 0x0
.LBB227_8:
	s_and_b64 vcc, exec, s[0:1]
	s_cbranch_vccnz .LBB227_10
; %bb.9:
	s_load_dword s13, s[12:13], 0x4
.LBB227_10:
	s_waitcnt lgkmcnt(0)
	s_mov_b32 s57, s13
.LBB227_11:
	s_load_dword s33, s[4:5], 0x0
	v_lshl_add_u32 v1, v0, 3, 0
	v_add_u32_e32 v1, 0x2000, v1
	v_or_b32_e32 v8, 0xfffffc00, v0
	v_lshl_add_u32 v9, v0, 2, 0
	s_mov_b64 s[0:1], 0
	s_waitcnt lgkmcnt(0)
	v_mov_b32_e32 v2, s33
	v_mov_b32_e32 v3, 0
	;; [unrolled: 1-line block ×5, first 2 shown]
.LBB227_12:                             ; =>This Inner Loop Header: Depth=1
	v_add_co_u32_e32 v5, vcc, 0x400, v5
	s_xor_b64 s[4:5], vcc, -1
	s_and_b64 s[4:5], exec, s[4:5]
	ds_write_b32 v4, v2
	ds_write2_b32 v6, v3, v3 offset1:1
	v_add_u32_e32 v6, 0x2000, v6
	s_or_b64 s[0:1], s[4:5], s[0:1]
	v_add_u32_e32 v4, 0x1000, v4
	s_andn2_b64 exec, exec, s[0:1]
	s_cbranch_execnz .LBB227_12
; %bb.13:
	s_or_b64 exec, exec, s[0:1]
	s_waitcnt lgkmcnt(0)
	s_barrier
	s_load_dword s0, s[24:25], 0x0
	s_mov_b32 s1, 0
	s_waitcnt lgkmcnt(0)
	s_add_i32 s0, s0, s6
	s_lshl_b64 s[0:1], s[0:1], 2
	s_add_u32 s0, s26, s0
	s_addc_u32 s1, s27, s1
	s_load_dword s48, s[0:1], 0x0
	s_and_b64 vcc, exec, s[30:31]
	s_cbranch_vccz .LBB227_33
; %bb.14:
	s_waitcnt lgkmcnt(0)
	s_ashr_i32 s49, s48, 31
	s_lshl_b64 s[0:1], s[48:49], 3
	s_add_u32 s0, s16, s0
	s_addc_u32 s1, s17, s1
	s_load_dwordx4 s[4:7], s[0:1], 0x0
	v_lshrrev_b32_e32 v2, 5, v0
	v_subrev_co_u32_e32 v2, vcc, s44, v2
	s_waitcnt lgkmcnt(0)
	s_sub_u32 s0, s6, s44
	s_subb_u32 s1, s7, 0
	v_subb_co_u32_e64 v3, s[6:7], 0, 0, vcc
	v_mov_b32_e32 v4, s5
	v_add_co_u32_e32 v2, vcc, s4, v2
	v_addc_co_u32_e32 v3, vcc, v4, v3, vcc
	v_cmp_gt_i64_e32 vcc, s[0:1], v[2:3]
	s_and_saveexec_b64 s[4:5], vcc
	s_cbranch_execz .LBB227_32
; %bb.15:
	v_and_b32_e32 v4, 31, v0
	v_subrev_co_u32_e32 v10, vcc, s45, v4
	s_mov_b32 s12, 0
	v_subb_co_u32_e64 v11, s[6:7], 0, 0, vcc
	s_mov_b32 s2, s45
	s_mov_b64 s[6:7], 0
	v_mov_b32_e32 v12, s19
	v_mov_b32_e32 v13, s23
	;; [unrolled: 1-line block ×3, first 2 shown]
	s_movk_i32 s19, 0x89
	s_branch .LBB227_17
.LBB227_16:                             ;   in Loop: Header=BB227_17 Depth=1
	s_or_b64 exec, exec, s[12:13]
	v_add_co_u32_e32 v2, vcc, 32, v2
	v_addc_co_u32_e32 v3, vcc, 0, v3, vcc
	v_cmp_le_i64_e32 vcc, s[0:1], v[2:3]
	s_or_b64 s[6:7], vcc, s[6:7]
	s_andn2_b64 exec, exec, s[6:7]
	s_cbranch_execz .LBB227_32
.LBB227_17:                             ; =>This Loop Header: Depth=1
                                        ;     Child Loop BB227_20 Depth 2
                                        ;       Child Loop BB227_22 Depth 3
	v_lshlrev_b64 v[4:5], 2, v[2:3]
	v_add_co_u32_e32 v4, vcc, s18, v4
	v_addc_co_u32_e32 v5, vcc, v12, v5, vcc
	global_load_dword v4, v[4:5], off
	s_waitcnt vmcnt(0)
	v_subrev_u32_e32 v4, s44, v4
	v_ashrrev_i32_e32 v5, 31, v4
	v_lshlrev_b64 v[4:5], 3, v[4:5]
	v_add_co_u32_e32 v4, vcc, s22, v4
	v_addc_co_u32_e32 v5, vcc, v13, v5, vcc
	global_load_dwordx4 v[16:19], v[4:5], off
	s_waitcnt vmcnt(0)
	v_subrev_co_u32_e32 v4, vcc, s2, v18
	v_subb_co_u32_e32 v5, vcc, v19, v14, vcc
	v_add_co_u32_e32 v6, vcc, v16, v10
	v_addc_co_u32_e32 v7, vcc, v17, v11, vcc
	v_cmp_lt_i64_e32 vcc, v[6:7], v[4:5]
	s_and_saveexec_b64 s[12:13], vcc
	s_cbranch_execz .LBB227_16
; %bb.18:                               ;   in Loop: Header=BB227_17 Depth=1
	v_lshlrev_b64 v[16:17], 3, v[2:3]
	v_mov_b32_e32 v15, s21
	v_add_co_u32_e32 v16, vcc, s20, v16
	v_addc_co_u32_e32 v17, vcc, v15, v17, vcc
	global_load_dwordx2 v[18:19], v[16:17], off
	s_mov_b64 s[16:17], 0
	s_waitcnt vmcnt(0)
	v_mul_f32_e64 v15, v19, -s3
	v_mul_f32_e32 v16, s58, v19
	v_fmac_f32_e32 v15, s58, v18
	v_fmac_f32_e32 v16, s3, v18
	s_branch .LBB227_20
.LBB227_19:                             ;   in Loop: Header=BB227_20 Depth=2
	s_or_b64 exec, exec, s[24:25]
	v_add_co_u32_e32 v6, vcc, 32, v6
	v_addc_co_u32_e32 v7, vcc, 0, v7, vcc
	v_cmp_ge_i64_e32 vcc, v[6:7], v[4:5]
	s_or_b64 s[16:17], vcc, s[16:17]
	s_andn2_b64 exec, exec, s[16:17]
	s_cbranch_execz .LBB227_16
.LBB227_20:                             ;   Parent Loop BB227_17 Depth=1
                                        ; =>  This Loop Header: Depth=2
                                        ;       Child Loop BB227_22 Depth 3
	v_lshlrev_b64 v[18:19], 2, v[6:7]
	v_mov_b32_e32 v17, s9
	v_add_co_u32_e32 v18, vcc, s8, v18
	v_addc_co_u32_e32 v19, vcc, v17, v19, vcc
	global_load_dword v17, v[18:19], off
	v_lshlrev_b64 v[18:19], 3, v[6:7]
	v_mov_b32_e32 v20, s11
	v_add_co_u32_e32 v18, vcc, s10, v18
	v_addc_co_u32_e32 v19, vcc, v20, v19, vcc
	global_load_dwordx2 v[20:21], v[18:19], off
	s_mov_b64 s[24:25], 0
	s_waitcnt vmcnt(1)
	v_subrev_u32_e32 v17, s45, v17
	s_waitcnt vmcnt(0)
	v_mul_f32_e64 v18, v21, -v16
	v_mul_f32_e32 v19, v15, v21
	v_fmac_f32_e32 v18, v15, v20
	v_fmac_f32_e32 v19, v16, v20
	v_mul_lo_u32 v20, v17, s19
	v_and_b32_e32 v20, 0x7ff, v20
	s_branch .LBB227_22
.LBB227_21:                             ;   in Loop: Header=BB227_22 Depth=3
	s_or_b64 exec, exec, s[26:27]
	s_xor_b64 s[26:27], s[30:31], -1
	s_and_b64 s[26:27], exec, s[26:27]
	s_or_b64 s[24:25], s[26:27], s[24:25]
	s_andn2_b64 exec, exec, s[24:25]
	s_cbranch_execz .LBB227_19
.LBB227_22:                             ;   Parent Loop BB227_17 Depth=1
                                        ;     Parent Loop BB227_20 Depth=2
                                        ; =>    This Inner Loop Header: Depth=3
	v_lshl_add_u32 v21, v20, 2, 0
	ds_read_b32 v22, v21
                                        ; implicit-def: $sgpr30_sgpr31
	s_waitcnt lgkmcnt(0)
	v_cmp_ne_u32_e32 vcc, v22, v17
	s_and_saveexec_b64 s[26:27], vcc
	s_xor_b64 s[26:27], exec, s[26:27]
	s_cbranch_execz .LBB227_30
; %bb.23:                               ;   in Loop: Header=BB227_22 Depth=3
	v_cmp_ne_u32_e32 vcc, s33, v22
                                        ; implicit-def: $sgpr30_sgpr31
	s_and_saveexec_b64 s[50:51], vcc
	s_xor_b64 s[50:51], exec, s[50:51]
; %bb.24:                               ;   in Loop: Header=BB227_22 Depth=3
	v_add_u32_e32 v20, 1, v20
	v_and_b32_e32 v20, 0x7ff, v20
	s_mov_b64 s[30:31], -1
                                        ; implicit-def: $vgpr21
; %bb.25:                               ;   in Loop: Header=BB227_22 Depth=3
	s_andn2_saveexec_b64 s[50:51], s[50:51]
	s_cbranch_execz .LBB227_29
; %bb.26:                               ;   in Loop: Header=BB227_22 Depth=3
	v_mov_b32_e32 v22, s33
	ds_cmpst_rtn_b32 v22, v21, v22, v17
	s_mov_b64 s[52:53], -1
	s_waitcnt lgkmcnt(0)
	v_cmp_eq_u32_e32 vcc, s33, v22
	s_and_saveexec_b64 s[54:55], vcc
	s_cbranch_execz .LBB227_28
; %bb.27:                               ;   in Loop: Header=BB227_22 Depth=3
	v_lshl_add_u32 v21, v20, 2, v21
	ds_add_f32 v21, v18 offset:8192
	ds_add_f32 v21, v19 offset:8196
	s_xor_b64 s[52:53], exec, -1
.LBB227_28:                             ;   in Loop: Header=BB227_22 Depth=3
	s_or_b64 exec, exec, s[54:55]
	s_andn2_b64 s[30:31], s[30:31], exec
	s_and_b64 s[52:53], s[52:53], exec
	s_or_b64 s[30:31], s[30:31], s[52:53]
.LBB227_29:                             ;   in Loop: Header=BB227_22 Depth=3
	s_or_b64 exec, exec, s[50:51]
	s_and_b64 s[30:31], s[30:31], exec
                                        ; implicit-def: $vgpr21
.LBB227_30:                             ;   in Loop: Header=BB227_22 Depth=3
	s_andn2_saveexec_b64 s[26:27], s[26:27]
	s_cbranch_execz .LBB227_21
; %bb.31:                               ;   in Loop: Header=BB227_22 Depth=3
	v_lshl_add_u32 v21, v20, 2, v21
	ds_add_f32 v21, v18 offset:8192
	ds_add_f32 v21, v19 offset:8196
	s_andn2_b64 s[30:31], s[30:31], exec
	s_branch .LBB227_21
.LBB227_32:
	s_or_b64 exec, exec, s[4:5]
.LBB227_33:
	s_andn2_b64 vcc, exec, s[28:29]
	s_cbranch_vccnz .LBB227_50
; %bb.34:
	s_waitcnt lgkmcnt(0)
	s_ashr_i32 s49, s48, 31
	s_lshl_b64 s[0:1], s[48:49], 3
	s_add_u32 s0, s14, s0
	s_addc_u32 s1, s15, s1
	s_load_dwordx4 s[4:7], s[0:1], 0x0
	v_subrev_co_u32_e32 v2, vcc, s47, v0
	v_subb_co_u32_e64 v3, s[0:1], 0, 0, vcc
	s_waitcnt lgkmcnt(0)
	s_sub_u32 s0, s6, s47
	v_mov_b32_e32 v4, s5
	v_add_co_u32_e32 v2, vcc, s4, v2
	s_subb_u32 s1, s7, 0
	v_addc_co_u32_e32 v3, vcc, v4, v3, vcc
	v_cmp_gt_i64_e32 vcc, s[0:1], v[2:3]
	s_and_saveexec_b64 s[2:3], vcc
	s_cbranch_execz .LBB227_49
; %bb.35:
	s_mov_b64 s[4:5], 0
	v_mov_b32_e32 v4, s37
	v_mov_b32_e32 v5, s39
	s_movk_i32 s18, 0x89
	s_branch .LBB227_37
.LBB227_36:                             ;   in Loop: Header=BB227_37 Depth=1
	s_or_b64 exec, exec, s[6:7]
	v_add_co_u32_e32 v2, vcc, 0x400, v2
	v_addc_co_u32_e32 v3, vcc, 0, v3, vcc
	v_cmp_le_i64_e32 vcc, s[0:1], v[2:3]
	s_or_b64 s[4:5], vcc, s[4:5]
	s_andn2_b64 exec, exec, s[4:5]
	s_cbranch_execz .LBB227_49
.LBB227_37:                             ; =>This Loop Header: Depth=1
                                        ;     Child Loop BB227_39 Depth 2
	v_lshlrev_b64 v[6:7], 2, v[2:3]
	v_add_co_u32_e32 v6, vcc, s36, v6
	v_addc_co_u32_e32 v7, vcc, v4, v7, vcc
	global_load_dword v10, v[6:7], off
	v_lshlrev_b64 v[6:7], 3, v[2:3]
	v_add_co_u32_e32 v6, vcc, s38, v6
	v_addc_co_u32_e32 v7, vcc, v5, v7, vcc
	global_load_dwordx2 v[12:13], v[6:7], off
	s_mov_b64 s[6:7], 0
	s_waitcnt vmcnt(1)
	v_subrev_u32_e32 v6, s47, v10
	v_mul_lo_u32 v11, v6, s18
	v_and_b32_e32 v11, 0x7ff, v11
	s_waitcnt vmcnt(0)
	v_mul_f32_e64 v7, v13, -s57
	v_mul_f32_e32 v10, s56, v13
	v_fmac_f32_e32 v7, s56, v12
	v_fmac_f32_e32 v10, s57, v12
	s_branch .LBB227_39
.LBB227_38:                             ;   in Loop: Header=BB227_39 Depth=2
	s_or_b64 exec, exec, s[8:9]
	s_xor_b64 s[8:9], s[10:11], -1
	s_and_b64 s[8:9], exec, s[8:9]
	s_or_b64 s[6:7], s[8:9], s[6:7]
	s_andn2_b64 exec, exec, s[6:7]
	s_cbranch_execz .LBB227_36
.LBB227_39:                             ;   Parent Loop BB227_37 Depth=1
                                        ; =>  This Inner Loop Header: Depth=2
	v_lshl_add_u32 v12, v11, 2, 0
	ds_read_b32 v13, v12
                                        ; implicit-def: $sgpr10_sgpr11
	s_waitcnt lgkmcnt(0)
	v_cmp_ne_u32_e32 vcc, v13, v6
	s_and_saveexec_b64 s[8:9], vcc
	s_xor_b64 s[8:9], exec, s[8:9]
	s_cbranch_execz .LBB227_47
; %bb.40:                               ;   in Loop: Header=BB227_39 Depth=2
	v_cmp_ne_u32_e32 vcc, s33, v13
                                        ; implicit-def: $sgpr10_sgpr11
	s_and_saveexec_b64 s[12:13], vcc
	s_xor_b64 s[12:13], exec, s[12:13]
; %bb.41:                               ;   in Loop: Header=BB227_39 Depth=2
	v_add_u32_e32 v11, 1, v11
	v_and_b32_e32 v11, 0x7ff, v11
	s_mov_b64 s[10:11], -1
                                        ; implicit-def: $vgpr12
; %bb.42:                               ;   in Loop: Header=BB227_39 Depth=2
	s_andn2_saveexec_b64 s[12:13], s[12:13]
	s_cbranch_execz .LBB227_46
; %bb.43:                               ;   in Loop: Header=BB227_39 Depth=2
	v_mov_b32_e32 v13, s33
	ds_cmpst_rtn_b32 v13, v12, v13, v6
	s_mov_b64 s[14:15], -1
	s_waitcnt lgkmcnt(0)
	v_cmp_eq_u32_e32 vcc, s33, v13
	s_and_saveexec_b64 s[16:17], vcc
	s_cbranch_execz .LBB227_45
; %bb.44:                               ;   in Loop: Header=BB227_39 Depth=2
	v_lshl_add_u32 v12, v11, 2, v12
	ds_add_f32 v12, v7 offset:8192
	ds_add_f32 v12, v10 offset:8196
	s_xor_b64 s[14:15], exec, -1
.LBB227_45:                             ;   in Loop: Header=BB227_39 Depth=2
	s_or_b64 exec, exec, s[16:17]
	s_andn2_b64 s[10:11], s[10:11], exec
	s_and_b64 s[14:15], s[14:15], exec
	s_or_b64 s[10:11], s[10:11], s[14:15]
.LBB227_46:                             ;   in Loop: Header=BB227_39 Depth=2
	s_or_b64 exec, exec, s[12:13]
	s_and_b64 s[10:11], s[10:11], exec
                                        ; implicit-def: $vgpr12
.LBB227_47:                             ;   in Loop: Header=BB227_39 Depth=2
	s_andn2_saveexec_b64 s[8:9], s[8:9]
	s_cbranch_execz .LBB227_38
; %bb.48:                               ;   in Loop: Header=BB227_39 Depth=2
	v_lshl_add_u32 v12, v11, 2, v12
	ds_add_f32 v12, v7 offset:8192
	ds_add_f32 v12, v10 offset:8196
	s_andn2_b64 s[10:11], s[10:11], exec
	s_branch .LBB227_38
.LBB227_49:
	s_or_b64 exec, exec, s[2:3]
.LBB227_50:
	v_mbcnt_lo_u32_b32 v2, -1, 0
	v_mbcnt_hi_u32_b32 v2, -1, v2
	v_lshrrev_b32_e32 v4, 4, v0
	v_sub_u32_e32 v2, 63, v2
	v_and_b32_e32 v4, 60, v4
	s_movk_i32 s0, 0x3ff
	s_movk_i32 s4, 0x7f
	;; [unrolled: 1-line block ×15, first 2 shown]
	v_mov_b32_e32 v6, 0
	v_lshrrev_b64 v[2:3], v2, -1
	v_add_u32_e32 v7, 0, v4
	v_cmp_eq_u32_e64 s[0:1], s0, v0
	v_cmp_lt_u32_e64 s[2:3], 63, v0
	v_cmp_lt_u32_e64 s[4:5], s4, v0
	;; [unrolled: 1-line block ×15, first 2 shown]
	s_mov_b64 s[36:37], 0
	v_mov_b32_e32 v10, 0
	s_waitcnt lgkmcnt(0)
	s_barrier
	s_branch .LBB227_52
.LBB227_51:                             ;   in Loop: Header=BB227_52 Depth=1
	s_or_b64 exec, exec, s[38:39]
	s_waitcnt lgkmcnt(0)
	s_barrier
	ds_read_b32 v4, v6 offset:24636
	v_add_co_u32_e32 v8, vcc, 0x400, v8
	s_xor_b64 s[38:39], vcc, -1
	s_and_b64 s[38:39], exec, s[38:39]
	v_add_u32_e32 v1, 0x2000, v1
	s_waitcnt lgkmcnt(0)
	v_add_u32_e32 v10, v4, v10
	s_or_b64 s[36:37], s[38:39], s[36:37]
	v_add_u32_e32 v9, 0x1000, v9
	s_andn2_b64 exec, exec, s[36:37]
	s_cbranch_execz .LBB227_86
.LBB227_52:                             ; =>This Inner Loop Header: Depth=1
	ds_read_b32 v11, v9
	ds_read2_b32 v[4:5], v1 offset1:1
	s_waitcnt lgkmcnt(0)
	s_barrier
	v_cmp_gt_i32_e32 vcc, s33, v11
	v_and_b32_e32 v13, vcc_lo, v2
	s_bcnt1_i32_b64 s38, vcc
	v_and_b32_e32 v12, vcc_hi, v3
	v_bcnt_u32_b32 v13, v13, 0
	v_bcnt_u32_b32 v12, v12, v13
	v_mov_b32_e32 v13, s38
	ds_write_b32 v7, v13 offset:24576
	s_waitcnt lgkmcnt(0)
	s_barrier
	s_and_saveexec_b64 s[38:39], s[2:3]
	s_cbranch_execnz .LBB227_69
; %bb.53:                               ;   in Loop: Header=BB227_52 Depth=1
	s_or_b64 exec, exec, s[38:39]
	s_and_saveexec_b64 s[38:39], s[4:5]
	s_cbranch_execnz .LBB227_70
.LBB227_54:                             ;   in Loop: Header=BB227_52 Depth=1
	s_or_b64 exec, exec, s[38:39]
	s_and_saveexec_b64 s[38:39], s[6:7]
	s_cbranch_execnz .LBB227_71
.LBB227_55:                             ;   in Loop: Header=BB227_52 Depth=1
	s_or_b64 exec, exec, s[38:39]
	s_and_saveexec_b64 s[38:39], s[8:9]
	s_cbranch_execnz .LBB227_72
.LBB227_56:                             ;   in Loop: Header=BB227_52 Depth=1
	s_or_b64 exec, exec, s[38:39]
	s_and_saveexec_b64 s[38:39], s[10:11]
	s_cbranch_execnz .LBB227_73
.LBB227_57:                             ;   in Loop: Header=BB227_52 Depth=1
	s_or_b64 exec, exec, s[38:39]
	s_and_saveexec_b64 s[38:39], s[12:13]
	s_cbranch_execnz .LBB227_74
.LBB227_58:                             ;   in Loop: Header=BB227_52 Depth=1
	s_or_b64 exec, exec, s[38:39]
	s_and_saveexec_b64 s[38:39], s[14:15]
	s_cbranch_execnz .LBB227_75
.LBB227_59:                             ;   in Loop: Header=BB227_52 Depth=1
	s_or_b64 exec, exec, s[38:39]
	s_and_saveexec_b64 s[38:39], s[16:17]
	s_cbranch_execnz .LBB227_76
.LBB227_60:                             ;   in Loop: Header=BB227_52 Depth=1
	s_or_b64 exec, exec, s[38:39]
	s_and_saveexec_b64 s[38:39], s[18:19]
	s_cbranch_execnz .LBB227_77
.LBB227_61:                             ;   in Loop: Header=BB227_52 Depth=1
	s_or_b64 exec, exec, s[38:39]
	s_and_saveexec_b64 s[38:39], s[20:21]
	s_cbranch_execnz .LBB227_78
.LBB227_62:                             ;   in Loop: Header=BB227_52 Depth=1
	s_or_b64 exec, exec, s[38:39]
	s_and_saveexec_b64 s[38:39], s[22:23]
	s_cbranch_execnz .LBB227_79
.LBB227_63:                             ;   in Loop: Header=BB227_52 Depth=1
	s_or_b64 exec, exec, s[38:39]
	s_and_saveexec_b64 s[38:39], s[24:25]
	s_cbranch_execnz .LBB227_80
.LBB227_64:                             ;   in Loop: Header=BB227_52 Depth=1
	s_or_b64 exec, exec, s[38:39]
	s_and_saveexec_b64 s[38:39], s[26:27]
	s_cbranch_execnz .LBB227_81
.LBB227_65:                             ;   in Loop: Header=BB227_52 Depth=1
	s_or_b64 exec, exec, s[38:39]
	s_and_saveexec_b64 s[38:39], s[28:29]
	s_cbranch_execnz .LBB227_82
.LBB227_66:                             ;   in Loop: Header=BB227_52 Depth=1
	s_or_b64 exec, exec, s[38:39]
	s_and_saveexec_b64 s[38:39], s[30:31]
	s_cbranch_execnz .LBB227_83
.LBB227_67:                             ;   in Loop: Header=BB227_52 Depth=1
	s_or_b64 exec, exec, s[38:39]
	s_and_saveexec_b64 s[38:39], vcc
	s_cbranch_execnz .LBB227_84
.LBB227_68:                             ;   in Loop: Header=BB227_52 Depth=1
	s_or_b64 exec, exec, s[38:39]
	s_and_saveexec_b64 s[38:39], s[0:1]
	s_cbranch_execz .LBB227_51
	s_branch .LBB227_85
.LBB227_69:                             ;   in Loop: Header=BB227_52 Depth=1
	ds_read_b32 v13, v6 offset:24576
	s_waitcnt lgkmcnt(0)
	v_add_u32_e32 v12, v13, v12
	s_or_b64 exec, exec, s[38:39]
	s_and_saveexec_b64 s[38:39], s[4:5]
	s_cbranch_execz .LBB227_54
.LBB227_70:                             ;   in Loop: Header=BB227_52 Depth=1
	ds_read_b32 v13, v6 offset:24580
	s_waitcnt lgkmcnt(0)
	v_add_u32_e32 v12, v13, v12
	s_or_b64 exec, exec, s[38:39]
	s_and_saveexec_b64 s[38:39], s[6:7]
	s_cbranch_execz .LBB227_55
.LBB227_71:                             ;   in Loop: Header=BB227_52 Depth=1
	ds_read_b32 v13, v6 offset:24584
	s_waitcnt lgkmcnt(0)
	v_add_u32_e32 v12, v13, v12
	s_or_b64 exec, exec, s[38:39]
	s_and_saveexec_b64 s[38:39], s[8:9]
	s_cbranch_execz .LBB227_56
.LBB227_72:                             ;   in Loop: Header=BB227_52 Depth=1
	ds_read_b32 v13, v6 offset:24588
	s_waitcnt lgkmcnt(0)
	v_add_u32_e32 v12, v13, v12
	s_or_b64 exec, exec, s[38:39]
	s_and_saveexec_b64 s[38:39], s[10:11]
	s_cbranch_execz .LBB227_57
.LBB227_73:                             ;   in Loop: Header=BB227_52 Depth=1
	ds_read_b32 v13, v6 offset:24592
	s_waitcnt lgkmcnt(0)
	v_add_u32_e32 v12, v13, v12
	s_or_b64 exec, exec, s[38:39]
	s_and_saveexec_b64 s[38:39], s[12:13]
	s_cbranch_execz .LBB227_58
.LBB227_74:                             ;   in Loop: Header=BB227_52 Depth=1
	ds_read_b32 v13, v6 offset:24596
	s_waitcnt lgkmcnt(0)
	v_add_u32_e32 v12, v13, v12
	s_or_b64 exec, exec, s[38:39]
	s_and_saveexec_b64 s[38:39], s[14:15]
	s_cbranch_execz .LBB227_59
.LBB227_75:                             ;   in Loop: Header=BB227_52 Depth=1
	ds_read_b32 v13, v6 offset:24600
	s_waitcnt lgkmcnt(0)
	v_add_u32_e32 v12, v13, v12
	s_or_b64 exec, exec, s[38:39]
	s_and_saveexec_b64 s[38:39], s[16:17]
	s_cbranch_execz .LBB227_60
.LBB227_76:                             ;   in Loop: Header=BB227_52 Depth=1
	ds_read_b32 v13, v6 offset:24604
	s_waitcnt lgkmcnt(0)
	v_add_u32_e32 v12, v13, v12
	s_or_b64 exec, exec, s[38:39]
	s_and_saveexec_b64 s[38:39], s[18:19]
	s_cbranch_execz .LBB227_61
.LBB227_77:                             ;   in Loop: Header=BB227_52 Depth=1
	ds_read_b32 v13, v6 offset:24608
	s_waitcnt lgkmcnt(0)
	v_add_u32_e32 v12, v13, v12
	s_or_b64 exec, exec, s[38:39]
	s_and_saveexec_b64 s[38:39], s[20:21]
	s_cbranch_execz .LBB227_62
.LBB227_78:                             ;   in Loop: Header=BB227_52 Depth=1
	ds_read_b32 v13, v6 offset:24612
	s_waitcnt lgkmcnt(0)
	v_add_u32_e32 v12, v13, v12
	s_or_b64 exec, exec, s[38:39]
	s_and_saveexec_b64 s[38:39], s[22:23]
	s_cbranch_execz .LBB227_63
.LBB227_79:                             ;   in Loop: Header=BB227_52 Depth=1
	ds_read_b32 v13, v6 offset:24616
	s_waitcnt lgkmcnt(0)
	v_add_u32_e32 v12, v13, v12
	s_or_b64 exec, exec, s[38:39]
	s_and_saveexec_b64 s[38:39], s[24:25]
	s_cbranch_execz .LBB227_64
.LBB227_80:                             ;   in Loop: Header=BB227_52 Depth=1
	ds_read_b32 v13, v6 offset:24620
	s_waitcnt lgkmcnt(0)
	v_add_u32_e32 v12, v13, v12
	s_or_b64 exec, exec, s[38:39]
	s_and_saveexec_b64 s[38:39], s[26:27]
	s_cbranch_execz .LBB227_65
.LBB227_81:                             ;   in Loop: Header=BB227_52 Depth=1
	ds_read_b32 v13, v6 offset:24624
	s_waitcnt lgkmcnt(0)
	v_add_u32_e32 v12, v13, v12
	s_or_b64 exec, exec, s[38:39]
	s_and_saveexec_b64 s[38:39], s[28:29]
	s_cbranch_execz .LBB227_66
.LBB227_82:                             ;   in Loop: Header=BB227_52 Depth=1
	ds_read_b32 v13, v6 offset:24628
	s_waitcnt lgkmcnt(0)
	v_add_u32_e32 v12, v13, v12
	s_or_b64 exec, exec, s[38:39]
	s_and_saveexec_b64 s[38:39], s[30:31]
	s_cbranch_execz .LBB227_67
.LBB227_83:                             ;   in Loop: Header=BB227_52 Depth=1
	ds_read_b32 v13, v6 offset:24632
	s_waitcnt lgkmcnt(0)
	v_add_u32_e32 v12, v13, v12
	s_or_b64 exec, exec, s[38:39]
	s_and_saveexec_b64 s[38:39], vcc
	s_cbranch_execz .LBB227_68
.LBB227_84:                             ;   in Loop: Header=BB227_52 Depth=1
	v_add3_u32 v13, v10, -1, v12
	v_lshl_add_u32 v14, v13, 2, 0
	v_lshl_add_u32 v13, v13, 3, 0
	v_add_u32_e32 v13, 0x2000, v13
	ds_write_b32 v14, v11
	ds_write2_b32 v13, v4, v5 offset1:1
	s_or_b64 exec, exec, s[38:39]
	s_and_saveexec_b64 s[38:39], s[0:1]
	s_cbranch_execz .LBB227_51
.LBB227_85:                             ;   in Loop: Header=BB227_52 Depth=1
	ds_write_b32 v6, v12 offset:24636
	s_branch .LBB227_51
.LBB227_86:
	s_or_b64 exec, exec, s[36:37]
	s_ashr_i32 s49, s48, 31
	s_lshl_b64 s[0:1], s[48:49], 3
	s_add_u32 s0, s40, s0
	s_addc_u32 s1, s41, s1
	s_load_dwordx4 s[0:3], s[0:1], 0x0
	s_waitcnt lgkmcnt(0)
	s_sub_i32 s8, s2, s0
	v_cmp_gt_i32_e32 vcc, s8, v0
	s_and_saveexec_b64 s[4:5], vcc
	s_cbranch_execz .LBB227_96
; %bb.87:
	s_sub_u32 s4, s0, s46
	s_subb_u32 s5, s1, 0
	s_and_b32 s9, s8, 7
	s_sub_i32 s0, s0, s2
	s_cmp_lt_u32 s0, -7
	s_cselect_b64 s[0:1], -1, 0
	s_and_b32 s10, s8, -8
	s_cmp_lg_u32 s9, 0
	v_cndmask_b32_e64 v1, 0, 1, s[0:1]
	s_cselect_b64 s[2:3], -1, 0
	v_cmp_ne_u32_e64 s[0:1], 1, v1
	v_cndmask_b32_e64 v1, 0, 1, s[2:3]
	s_mov_b64 s[6:7], 0
	s_movk_i32 s11, 0x2000
	v_cmp_ne_u32_e64 s[2:3], 1, v1
	s_branch .LBB227_89
.LBB227_88:                             ;   in Loop: Header=BB227_89 Depth=1
	v_lshlrev_b64 v[6:7], 2, v[4:5]
	v_mov_b32_e32 v8, s43
	v_add_co_u32_e32 v6, vcc, s42, v6
	s_waitcnt lgkmcnt(1)
	v_add_u32_e32 v1, s46, v1
	v_addc_co_u32_e32 v7, vcc, v8, v7, vcc
	v_lshlrev_b64 v[4:5], 3, v[4:5]
	global_store_dword v[6:7], v1, off
	v_mov_b32_e32 v1, s35
	v_add_co_u32_e32 v4, vcc, s34, v4
	v_addc_co_u32_e32 v5, vcc, v1, v5, vcc
	v_add_u32_e32 v0, 0x400, v0
	v_cmp_le_i32_e32 vcc, s8, v0
	s_or_b64 s[6:7], vcc, s[6:7]
	s_waitcnt lgkmcnt(0)
	global_store_dwordx2 v[4:5], v[2:3], off
	s_andn2_b64 exec, exec, s[6:7]
	s_cbranch_execz .LBB227_96
.LBB227_89:                             ; =>This Loop Header: Depth=1
                                        ;     Child Loop BB227_91 Depth 2
                                        ;     Child Loop BB227_95 Depth 2
	v_lshlrev_b32_e32 v1, 2, v0
	v_add_u32_e32 v2, 0, v1
	v_add3_u32 v3, v2, v1, s11
	ds_read_b32 v1, v2
	ds_read2_b32 v[2:3], v3 offset1:1
	s_and_b64 vcc, exec, s[0:1]
	v_pk_mov_b32 v[4:5], s[4:5], s[4:5] op_sel:[0,1]
	s_mov_b32 s12, 0
	s_cbranch_vccnz .LBB227_93
; %bb.90:                               ;   in Loop: Header=BB227_89 Depth=1
	s_mov_b32 s13, 0
	v_pk_mov_b32 v[4:5], s[4:5], s[4:5] op_sel:[0,1]
.LBB227_91:                             ;   Parent Loop BB227_89 Depth=1
                                        ; =>  This Inner Loop Header: Depth=2
	v_mov_b32_e32 v12, s13
	ds_read2_b32 v[6:7], v12 offset1:1
	ds_read2_b32 v[8:9], v12 offset0:2 offset1:3
	ds_read2_b32 v[10:11], v12 offset0:4 offset1:5
	;; [unrolled: 1-line block ×3, first 2 shown]
	s_add_i32 s12, s12, 8
	s_waitcnt lgkmcnt(3)
	v_cmp_gt_i32_e32 vcc, v1, v6
	v_cndmask_b32_e64 v6, 0, 1, vcc
	v_cmp_gt_i32_e32 vcc, v1, v7
	v_cndmask_b32_e64 v7, 0, 1, vcc
	s_waitcnt lgkmcnt(2)
	v_cmp_gt_i32_e32 vcc, v1, v8
	v_cndmask_b32_e64 v8, 0, 1, vcc
	v_cmp_gt_i32_e32 vcc, v1, v9
	v_cndmask_b32_e64 v9, 0, 1, vcc
	;; [unrolled: 5-line block ×4, first 2 shown]
	v_add_co_u32_e32 v4, vcc, v4, v6
	v_addc_co_u32_e32 v5, vcc, 0, v5, vcc
	v_add_co_u32_e32 v4, vcc, v4, v7
	v_addc_co_u32_e32 v5, vcc, 0, v5, vcc
	;; [unrolled: 2-line block ×7, first 2 shown]
	s_add_i32 s13, s13, 32
	v_add_co_u32_e32 v4, vcc, v4, v13
	s_cmp_eq_u32 s10, s12
	v_addc_co_u32_e32 v5, vcc, 0, v5, vcc
	s_cbranch_scc0 .LBB227_91
; %bb.92:                               ;   in Loop: Header=BB227_89 Depth=1
	s_mov_b32 s12, s10
.LBB227_93:                             ;   in Loop: Header=BB227_89 Depth=1
	s_and_b64 vcc, exec, s[2:3]
	s_cbranch_vccnz .LBB227_88
; %bb.94:                               ;   in Loop: Header=BB227_89 Depth=1
	s_lshl_b32 s12, s12, 2
	s_add_i32 s12, s12, 0
	s_mov_b32 s13, s9
.LBB227_95:                             ;   Parent Loop BB227_89 Depth=1
                                        ; =>  This Inner Loop Header: Depth=2
	v_mov_b32_e32 v6, s12
	ds_read_b32 v6, v6
	s_add_i32 s12, s12, 4
	s_add_i32 s13, s13, -1
	s_cmp_lg_u32 s13, 0
	s_waitcnt lgkmcnt(0)
	v_cmp_gt_i32_e32 vcc, v1, v6
	v_cndmask_b32_e64 v6, 0, 1, vcc
	v_add_co_u32_e32 v4, vcc, v4, v6
	v_addc_co_u32_e32 v5, vcc, 0, v5, vcc
	s_cbranch_scc1 .LBB227_95
	s_branch .LBB227_88
.LBB227_96:
	s_endpgm
	.section	.rodata,"a",@progbits
	.p2align	6, 0x0
	.amdhsa_kernel _ZN9rocsparseL26csrgemm_fill_block_per_rowILj1024ELj32ELj2048ELj137ELj64Eli21rocsparse_complex_numIfEEEvT5_PKS3_S5_NS_24const_host_device_scalarIT6_EEPKT4_S5_PKS7_SB_S5_SD_S8_SB_S5_SD_SB_PS3_PS7_21rocsparse_index_base_SG_SG_SG_bbb
		.amdhsa_group_segment_fixed_size 0
		.amdhsa_private_segment_fixed_size 0
		.amdhsa_kernarg_size 156
		.amdhsa_user_sgpr_count 6
		.amdhsa_user_sgpr_private_segment_buffer 1
		.amdhsa_user_sgpr_dispatch_ptr 0
		.amdhsa_user_sgpr_queue_ptr 0
		.amdhsa_user_sgpr_kernarg_segment_ptr 1
		.amdhsa_user_sgpr_dispatch_id 0
		.amdhsa_user_sgpr_flat_scratch_init 0
		.amdhsa_user_sgpr_kernarg_preload_length 0
		.amdhsa_user_sgpr_kernarg_preload_offset 0
		.amdhsa_user_sgpr_private_segment_size 0
		.amdhsa_uses_dynamic_stack 0
		.amdhsa_system_sgpr_private_segment_wavefront_offset 0
		.amdhsa_system_sgpr_workgroup_id_x 1
		.amdhsa_system_sgpr_workgroup_id_y 0
		.amdhsa_system_sgpr_workgroup_id_z 0
		.amdhsa_system_sgpr_workgroup_info 0
		.amdhsa_system_vgpr_workitem_id 0
		.amdhsa_next_free_vgpr 23
		.amdhsa_next_free_sgpr 59
		.amdhsa_accum_offset 24
		.amdhsa_reserve_vcc 1
		.amdhsa_reserve_flat_scratch 0
		.amdhsa_float_round_mode_32 0
		.amdhsa_float_round_mode_16_64 0
		.amdhsa_float_denorm_mode_32 3
		.amdhsa_float_denorm_mode_16_64 3
		.amdhsa_dx10_clamp 1
		.amdhsa_ieee_mode 1
		.amdhsa_fp16_overflow 0
		.amdhsa_tg_split 0
		.amdhsa_exception_fp_ieee_invalid_op 0
		.amdhsa_exception_fp_denorm_src 0
		.amdhsa_exception_fp_ieee_div_zero 0
		.amdhsa_exception_fp_ieee_overflow 0
		.amdhsa_exception_fp_ieee_underflow 0
		.amdhsa_exception_fp_ieee_inexact 0
		.amdhsa_exception_int_div_zero 0
	.end_amdhsa_kernel
	.section	.text._ZN9rocsparseL26csrgemm_fill_block_per_rowILj1024ELj32ELj2048ELj137ELj64Eli21rocsparse_complex_numIfEEEvT5_PKS3_S5_NS_24const_host_device_scalarIT6_EEPKT4_S5_PKS7_SB_S5_SD_S8_SB_S5_SD_SB_PS3_PS7_21rocsparse_index_base_SG_SG_SG_bbb,"axG",@progbits,_ZN9rocsparseL26csrgemm_fill_block_per_rowILj1024ELj32ELj2048ELj137ELj64Eli21rocsparse_complex_numIfEEEvT5_PKS3_S5_NS_24const_host_device_scalarIT6_EEPKT4_S5_PKS7_SB_S5_SD_S8_SB_S5_SD_SB_PS3_PS7_21rocsparse_index_base_SG_SG_SG_bbb,comdat
.Lfunc_end227:
	.size	_ZN9rocsparseL26csrgemm_fill_block_per_rowILj1024ELj32ELj2048ELj137ELj64Eli21rocsparse_complex_numIfEEEvT5_PKS3_S5_NS_24const_host_device_scalarIT6_EEPKT4_S5_PKS7_SB_S5_SD_S8_SB_S5_SD_SB_PS3_PS7_21rocsparse_index_base_SG_SG_SG_bbb, .Lfunc_end227-_ZN9rocsparseL26csrgemm_fill_block_per_rowILj1024ELj32ELj2048ELj137ELj64Eli21rocsparse_complex_numIfEEEvT5_PKS3_S5_NS_24const_host_device_scalarIT6_EEPKT4_S5_PKS7_SB_S5_SD_S8_SB_S5_SD_SB_PS3_PS7_21rocsparse_index_base_SG_SG_SG_bbb
                                        ; -- End function
	.section	.AMDGPU.csdata,"",@progbits
; Kernel info:
; codeLenInByte = 3252
; NumSgprs: 63
; NumVgprs: 23
; NumAgprs: 0
; TotalNumVgprs: 23
; ScratchSize: 0
; MemoryBound: 0
; FloatMode: 240
; IeeeMode: 1
; LDSByteSize: 0 bytes/workgroup (compile time only)
; SGPRBlocks: 7
; VGPRBlocks: 2
; NumSGPRsForWavesPerEU: 63
; NumVGPRsForWavesPerEU: 23
; AccumOffset: 24
; Occupancy: 8
; WaveLimiterHint : 1
; COMPUTE_PGM_RSRC2:SCRATCH_EN: 0
; COMPUTE_PGM_RSRC2:USER_SGPR: 6
; COMPUTE_PGM_RSRC2:TRAP_HANDLER: 0
; COMPUTE_PGM_RSRC2:TGID_X_EN: 1
; COMPUTE_PGM_RSRC2:TGID_Y_EN: 0
; COMPUTE_PGM_RSRC2:TGID_Z_EN: 0
; COMPUTE_PGM_RSRC2:TIDIG_COMP_CNT: 0
; COMPUTE_PGM_RSRC3_GFX90A:ACCUM_OFFSET: 5
; COMPUTE_PGM_RSRC3_GFX90A:TG_SPLIT: 0
	.section	.text._ZN9rocsparseL26csrgemm_fill_block_per_rowILj1024ELj64ELj4096ELj137ELj32Eli21rocsparse_complex_numIfEEEvT5_PKS3_S5_NS_24const_host_device_scalarIT6_EEPKT4_S5_PKS7_SB_S5_SD_S8_SB_S5_SD_SB_PS3_PS7_21rocsparse_index_base_SG_SG_SG_bbb,"axG",@progbits,_ZN9rocsparseL26csrgemm_fill_block_per_rowILj1024ELj64ELj4096ELj137ELj32Eli21rocsparse_complex_numIfEEEvT5_PKS3_S5_NS_24const_host_device_scalarIT6_EEPKT4_S5_PKS7_SB_S5_SD_S8_SB_S5_SD_SB_PS3_PS7_21rocsparse_index_base_SG_SG_SG_bbb,comdat
	.globl	_ZN9rocsparseL26csrgemm_fill_block_per_rowILj1024ELj64ELj4096ELj137ELj32Eli21rocsparse_complex_numIfEEEvT5_PKS3_S5_NS_24const_host_device_scalarIT6_EEPKT4_S5_PKS7_SB_S5_SD_S8_SB_S5_SD_SB_PS3_PS7_21rocsparse_index_base_SG_SG_SG_bbb ; -- Begin function _ZN9rocsparseL26csrgemm_fill_block_per_rowILj1024ELj64ELj4096ELj137ELj32Eli21rocsparse_complex_numIfEEEvT5_PKS3_S5_NS_24const_host_device_scalarIT6_EEPKT4_S5_PKS7_SB_S5_SD_S8_SB_S5_SD_SB_PS3_PS7_21rocsparse_index_base_SG_SG_SG_bbb
	.p2align	8
	.type	_ZN9rocsparseL26csrgemm_fill_block_per_rowILj1024ELj64ELj4096ELj137ELj32Eli21rocsparse_complex_numIfEEEvT5_PKS3_S5_NS_24const_host_device_scalarIT6_EEPKT4_S5_PKS7_SB_S5_SD_S8_SB_S5_SD_SB_PS3_PS7_21rocsparse_index_base_SG_SG_SG_bbb,@function
_ZN9rocsparseL26csrgemm_fill_block_per_rowILj1024ELj64ELj4096ELj137ELj32Eli21rocsparse_complex_numIfEEEvT5_PKS3_S5_NS_24const_host_device_scalarIT6_EEPKT4_S5_PKS7_SB_S5_SD_S8_SB_S5_SD_SB_PS3_PS7_21rocsparse_index_base_SG_SG_SG_bbb: ; @_ZN9rocsparseL26csrgemm_fill_block_per_rowILj1024ELj64ELj4096ELj137ELj32Eli21rocsparse_complex_numIfEEEvT5_PKS3_S5_NS_24const_host_device_scalarIT6_EEPKT4_S5_PKS7_SB_S5_SD_S8_SB_S5_SD_SB_PS3_PS7_21rocsparse_index_base_SG_SG_SG_bbb
; %bb.0:
	s_load_dwordx8 s[64:71], s[4:5], 0x60
	s_load_dwordx8 s[8:15], s[4:5], 0x40
	s_load_dword s7, s[4:5], 0x98
	s_load_dwordx4 s[24:27], s[4:5], 0x8
	s_load_dwordx8 s[16:23], s[4:5], 0x20
	s_load_dwordx2 s[76:77], s[4:5], 0x80
	s_load_dwordx4 s[72:75], s[4:5], 0x88
	s_waitcnt lgkmcnt(0)
	s_bitcmp1_b32 s7, 0
	s_cselect_b64 s[30:31], -1, 0
	s_bitcmp1_b32 s7, 16
	s_cselect_b64 s[0:1], -1, 0
	s_xor_b64 s[0:1], s[0:1], -1
	v_cndmask_b32_e64 v1, 0, 1, s[0:1]
	s_mov_b32 s3, 0
	s_bitcmp0_b32 s7, 0
	v_cmp_ne_u32_e64 s[0:1], 1, v1
	s_mov_b32 s42, 0
	s_cbranch_scc1 .LBB228_5
; %bb.1:
	s_load_dwordx2 s[2:3], s[4:5], 0x18
	s_and_b64 vcc, exec, s[0:1]
	s_waitcnt lgkmcnt(0)
	s_mov_b32 s42, s2
	s_cbranch_vccnz .LBB228_3
; %bb.2:
	s_load_dword s42, s[2:3], 0x0
.LBB228_3:
	s_and_b64 vcc, exec, s[0:1]
	s_cbranch_vccnz .LBB228_5
; %bb.4:
	s_load_dword s3, s[2:3], 0x4
.LBB228_5:
	s_bitcmp1_b32 s7, 8
	s_cselect_b64 s[28:29], -1, 0
	s_bfe_u32 s2, s7, 0x10008
	s_mov_b32 s41, 0
	s_cmp_eq_u32 s2, 0
	s_mov_b32 s40, 0
	s_cbranch_scc1 .LBB228_11
; %bb.6:
	s_and_b64 vcc, exec, s[0:1]
	s_mov_b32 s40, s12
	s_cbranch_vccnz .LBB228_8
; %bb.7:
	s_load_dword s40, s[12:13], 0x0
.LBB228_8:
	s_and_b64 vcc, exec, s[0:1]
	s_cbranch_vccnz .LBB228_10
; %bb.9:
	s_load_dword s13, s[12:13], 0x4
.LBB228_10:
	s_waitcnt lgkmcnt(0)
	s_mov_b32 s41, s13
.LBB228_11:
	s_load_dword s33, s[4:5], 0x0
	v_lshl_add_u32 v1, v0, 3, 0
	v_add_u32_e32 v1, 0x4000, v1
	v_or_b32_e32 v8, 0xfffffc00, v0
	v_lshl_add_u32 v9, v0, 2, 0
	s_mov_b64 s[0:1], 0
	s_waitcnt lgkmcnt(0)
	v_mov_b32_e32 v2, s33
	v_mov_b32_e32 v3, 0
	s_movk_i32 s2, 0xbff
	v_mov_b32_e32 v4, v9
	v_mov_b32_e32 v5, v8
	;; [unrolled: 1-line block ×3, first 2 shown]
.LBB228_12:                             ; =>This Inner Loop Header: Depth=1
	v_add_u32_e32 v5, 0x400, v5
	v_cmp_lt_u32_e32 vcc, s2, v5
	ds_write_b32 v4, v2
	ds_write2_b32 v6, v3, v3 offset1:1
	v_add_u32_e32 v6, 0x2000, v6
	s_or_b64 s[0:1], vcc, s[0:1]
	v_add_u32_e32 v4, 0x1000, v4
	s_andn2_b64 exec, exec, s[0:1]
	s_cbranch_execnz .LBB228_12
; %bb.13:
	s_or_b64 exec, exec, s[0:1]
	s_waitcnt lgkmcnt(0)
	s_barrier
	s_load_dword s0, s[24:25], 0x0
	s_mov_b32 s1, 0
	s_waitcnt lgkmcnt(0)
	s_add_i32 s0, s0, s6
	s_lshl_b64 s[0:1], s[0:1], 2
	s_add_u32 s0, s26, s0
	s_addc_u32 s1, s27, s1
	s_load_dword s78, s[0:1], 0x0
	s_and_b64 vcc, exec, s[30:31]
	s_cbranch_vccz .LBB228_33
; %bb.14:
	s_waitcnt lgkmcnt(0)
	s_ashr_i32 s79, s78, 31
	s_lshl_b64 s[0:1], s[78:79], 3
	s_add_u32 s0, s16, s0
	s_addc_u32 s1, s17, s1
	s_load_dwordx4 s[4:7], s[0:1], 0x0
	v_lshrrev_b32_e32 v2, 6, v0
	v_subrev_co_u32_e32 v2, vcc, s72, v2
	s_waitcnt lgkmcnt(0)
	s_sub_u32 s0, s6, s72
	s_subb_u32 s1, s7, 0
	v_subb_co_u32_e64 v3, s[6:7], 0, 0, vcc
	v_mov_b32_e32 v4, s5
	v_add_co_u32_e32 v2, vcc, s4, v2
	v_addc_co_u32_e32 v3, vcc, v4, v3, vcc
	v_cmp_gt_i64_e32 vcc, s[0:1], v[2:3]
	s_and_saveexec_b64 s[4:5], vcc
	s_cbranch_execz .LBB228_32
; %bb.15:
	v_and_b32_e32 v4, 63, v0
	v_subrev_co_u32_e32 v10, vcc, s73, v4
	s_mov_b32 s12, 0
	v_subb_co_u32_e64 v11, s[6:7], 0, 0, vcc
	s_mov_b32 s2, s73
	s_mov_b64 s[6:7], 0
	v_mov_b32_e32 v12, s19
	v_mov_b32_e32 v13, s23
	;; [unrolled: 1-line block ×3, first 2 shown]
	s_movk_i32 s19, 0x89
	s_branch .LBB228_17
.LBB228_16:                             ;   in Loop: Header=BB228_17 Depth=1
	s_or_b64 exec, exec, s[12:13]
	v_add_co_u32_e32 v2, vcc, 16, v2
	v_addc_co_u32_e32 v3, vcc, 0, v3, vcc
	v_cmp_le_i64_e32 vcc, s[0:1], v[2:3]
	s_or_b64 s[6:7], vcc, s[6:7]
	s_andn2_b64 exec, exec, s[6:7]
	s_cbranch_execz .LBB228_32
.LBB228_17:                             ; =>This Loop Header: Depth=1
                                        ;     Child Loop BB228_20 Depth 2
                                        ;       Child Loop BB228_22 Depth 3
	v_lshlrev_b64 v[4:5], 2, v[2:3]
	v_add_co_u32_e32 v4, vcc, s18, v4
	v_addc_co_u32_e32 v5, vcc, v12, v5, vcc
	global_load_dword v4, v[4:5], off
	s_waitcnt vmcnt(0)
	v_subrev_u32_e32 v4, s72, v4
	v_ashrrev_i32_e32 v5, 31, v4
	v_lshlrev_b64 v[4:5], 3, v[4:5]
	v_add_co_u32_e32 v4, vcc, s22, v4
	v_addc_co_u32_e32 v5, vcc, v13, v5, vcc
	global_load_dwordx4 v[16:19], v[4:5], off
	s_waitcnt vmcnt(0)
	v_subrev_co_u32_e32 v4, vcc, s2, v18
	v_subb_co_u32_e32 v5, vcc, v19, v14, vcc
	v_add_co_u32_e32 v6, vcc, v16, v10
	v_addc_co_u32_e32 v7, vcc, v17, v11, vcc
	v_cmp_lt_i64_e32 vcc, v[6:7], v[4:5]
	s_and_saveexec_b64 s[12:13], vcc
	s_cbranch_execz .LBB228_16
; %bb.18:                               ;   in Loop: Header=BB228_17 Depth=1
	v_lshlrev_b64 v[16:17], 3, v[2:3]
	v_mov_b32_e32 v15, s21
	v_add_co_u32_e32 v16, vcc, s20, v16
	v_addc_co_u32_e32 v17, vcc, v15, v17, vcc
	global_load_dwordx2 v[18:19], v[16:17], off
	s_mov_b64 s[16:17], 0
	s_waitcnt vmcnt(0)
	v_mul_f32_e64 v15, v19, -s3
	v_mul_f32_e32 v16, s42, v19
	v_fmac_f32_e32 v15, s42, v18
	v_fmac_f32_e32 v16, s3, v18
	s_branch .LBB228_20
.LBB228_19:                             ;   in Loop: Header=BB228_20 Depth=2
	s_or_b64 exec, exec, s[24:25]
	v_add_co_u32_e32 v6, vcc, 64, v6
	v_addc_co_u32_e32 v7, vcc, 0, v7, vcc
	v_cmp_ge_i64_e32 vcc, v[6:7], v[4:5]
	s_or_b64 s[16:17], vcc, s[16:17]
	s_andn2_b64 exec, exec, s[16:17]
	s_cbranch_execz .LBB228_16
.LBB228_20:                             ;   Parent Loop BB228_17 Depth=1
                                        ; =>  This Loop Header: Depth=2
                                        ;       Child Loop BB228_22 Depth 3
	v_lshlrev_b64 v[18:19], 2, v[6:7]
	v_mov_b32_e32 v17, s9
	v_add_co_u32_e32 v18, vcc, s8, v18
	v_addc_co_u32_e32 v19, vcc, v17, v19, vcc
	global_load_dword v17, v[18:19], off
	v_lshlrev_b64 v[18:19], 3, v[6:7]
	v_mov_b32_e32 v20, s11
	v_add_co_u32_e32 v18, vcc, s10, v18
	v_addc_co_u32_e32 v19, vcc, v20, v19, vcc
	global_load_dwordx2 v[20:21], v[18:19], off
	s_mov_b64 s[24:25], 0
	s_waitcnt vmcnt(1)
	v_subrev_u32_e32 v17, s73, v17
	s_waitcnt vmcnt(0)
	v_mul_f32_e64 v18, v21, -v16
	v_mul_f32_e32 v19, v15, v21
	v_fmac_f32_e32 v18, v15, v20
	v_fmac_f32_e32 v19, v16, v20
	v_mul_lo_u32 v20, v17, s19
	v_and_b32_e32 v20, 0xfff, v20
	s_branch .LBB228_22
.LBB228_21:                             ;   in Loop: Header=BB228_22 Depth=3
	s_or_b64 exec, exec, s[26:27]
	s_xor_b64 s[26:27], s[30:31], -1
	s_and_b64 s[26:27], exec, s[26:27]
	s_or_b64 s[24:25], s[26:27], s[24:25]
	s_andn2_b64 exec, exec, s[24:25]
	s_cbranch_execz .LBB228_19
.LBB228_22:                             ;   Parent Loop BB228_17 Depth=1
                                        ;     Parent Loop BB228_20 Depth=2
                                        ; =>    This Inner Loop Header: Depth=3
	v_lshl_add_u32 v21, v20, 2, 0
	ds_read_b32 v22, v21
                                        ; implicit-def: $sgpr30_sgpr31
	s_waitcnt lgkmcnt(0)
	v_cmp_ne_u32_e32 vcc, v22, v17
	s_and_saveexec_b64 s[26:27], vcc
	s_xor_b64 s[26:27], exec, s[26:27]
	s_cbranch_execz .LBB228_30
; %bb.23:                               ;   in Loop: Header=BB228_22 Depth=3
	v_cmp_ne_u32_e32 vcc, s33, v22
                                        ; implicit-def: $sgpr30_sgpr31
	s_and_saveexec_b64 s[34:35], vcc
	s_xor_b64 s[34:35], exec, s[34:35]
; %bb.24:                               ;   in Loop: Header=BB228_22 Depth=3
	v_add_u32_e32 v20, 1, v20
	v_and_b32_e32 v20, 0xfff, v20
	s_mov_b64 s[30:31], -1
                                        ; implicit-def: $vgpr21
; %bb.25:                               ;   in Loop: Header=BB228_22 Depth=3
	s_andn2_saveexec_b64 s[34:35], s[34:35]
	s_cbranch_execz .LBB228_29
; %bb.26:                               ;   in Loop: Header=BB228_22 Depth=3
	v_mov_b32_e32 v22, s33
	ds_cmpst_rtn_b32 v22, v21, v22, v17
	s_mov_b64 s[36:37], -1
	s_waitcnt lgkmcnt(0)
	v_cmp_eq_u32_e32 vcc, s33, v22
	s_and_saveexec_b64 s[38:39], vcc
	s_cbranch_execz .LBB228_28
; %bb.27:                               ;   in Loop: Header=BB228_22 Depth=3
	v_lshl_add_u32 v21, v20, 2, v21
	ds_add_f32 v21, v18 offset:16384
	ds_add_f32 v21, v19 offset:16388
	s_xor_b64 s[36:37], exec, -1
.LBB228_28:                             ;   in Loop: Header=BB228_22 Depth=3
	s_or_b64 exec, exec, s[38:39]
	s_andn2_b64 s[30:31], s[30:31], exec
	s_and_b64 s[36:37], s[36:37], exec
	s_or_b64 s[30:31], s[30:31], s[36:37]
.LBB228_29:                             ;   in Loop: Header=BB228_22 Depth=3
	s_or_b64 exec, exec, s[34:35]
	s_and_b64 s[30:31], s[30:31], exec
                                        ; implicit-def: $vgpr21
.LBB228_30:                             ;   in Loop: Header=BB228_22 Depth=3
	s_andn2_saveexec_b64 s[26:27], s[26:27]
	s_cbranch_execz .LBB228_21
; %bb.31:                               ;   in Loop: Header=BB228_22 Depth=3
	v_lshl_add_u32 v21, v20, 2, v21
	ds_add_f32 v21, v18 offset:16384
	ds_add_f32 v21, v19 offset:16388
	s_andn2_b64 s[30:31], s[30:31], exec
	s_branch .LBB228_21
.LBB228_32:
	s_or_b64 exec, exec, s[4:5]
.LBB228_33:
	s_andn2_b64 vcc, exec, s[28:29]
	s_cbranch_vccnz .LBB228_50
; %bb.34:
	s_waitcnt lgkmcnt(0)
	s_ashr_i32 s79, s78, 31
	s_lshl_b64 s[0:1], s[78:79], 3
	s_add_u32 s0, s14, s0
	s_addc_u32 s1, s15, s1
	s_load_dwordx4 s[4:7], s[0:1], 0x0
	v_subrev_co_u32_e32 v2, vcc, s75, v0
	v_subb_co_u32_e64 v3, s[0:1], 0, 0, vcc
	s_waitcnt lgkmcnt(0)
	s_sub_u32 s0, s6, s75
	v_mov_b32_e32 v4, s5
	v_add_co_u32_e32 v2, vcc, s4, v2
	s_subb_u32 s1, s7, 0
	v_addc_co_u32_e32 v3, vcc, v4, v3, vcc
	v_cmp_gt_i64_e32 vcc, s[0:1], v[2:3]
	s_and_saveexec_b64 s[2:3], vcc
	s_cbranch_execz .LBB228_49
; %bb.35:
	s_mov_b64 s[4:5], 0
	v_mov_b32_e32 v4, s65
	v_mov_b32_e32 v5, s67
	s_movk_i32 s18, 0x89
	s_branch .LBB228_37
.LBB228_36:                             ;   in Loop: Header=BB228_37 Depth=1
	s_or_b64 exec, exec, s[6:7]
	v_add_co_u32_e32 v2, vcc, 0x400, v2
	v_addc_co_u32_e32 v3, vcc, 0, v3, vcc
	v_cmp_le_i64_e32 vcc, s[0:1], v[2:3]
	s_or_b64 s[4:5], vcc, s[4:5]
	s_andn2_b64 exec, exec, s[4:5]
	s_cbranch_execz .LBB228_49
.LBB228_37:                             ; =>This Loop Header: Depth=1
                                        ;     Child Loop BB228_39 Depth 2
	v_lshlrev_b64 v[6:7], 2, v[2:3]
	v_add_co_u32_e32 v6, vcc, s64, v6
	v_addc_co_u32_e32 v7, vcc, v4, v7, vcc
	global_load_dword v10, v[6:7], off
	v_lshlrev_b64 v[6:7], 3, v[2:3]
	v_add_co_u32_e32 v6, vcc, s66, v6
	v_addc_co_u32_e32 v7, vcc, v5, v7, vcc
	global_load_dwordx2 v[12:13], v[6:7], off
	s_mov_b64 s[6:7], 0
	s_waitcnt vmcnt(1)
	v_subrev_u32_e32 v6, s75, v10
	v_mul_lo_u32 v11, v6, s18
	v_and_b32_e32 v11, 0xfff, v11
	s_waitcnt vmcnt(0)
	v_mul_f32_e64 v7, v13, -s41
	v_mul_f32_e32 v10, s40, v13
	v_fmac_f32_e32 v7, s40, v12
	v_fmac_f32_e32 v10, s41, v12
	s_branch .LBB228_39
.LBB228_38:                             ;   in Loop: Header=BB228_39 Depth=2
	s_or_b64 exec, exec, s[8:9]
	s_xor_b64 s[8:9], s[10:11], -1
	s_and_b64 s[8:9], exec, s[8:9]
	s_or_b64 s[6:7], s[8:9], s[6:7]
	s_andn2_b64 exec, exec, s[6:7]
	s_cbranch_execz .LBB228_36
.LBB228_39:                             ;   Parent Loop BB228_37 Depth=1
                                        ; =>  This Inner Loop Header: Depth=2
	v_lshl_add_u32 v12, v11, 2, 0
	ds_read_b32 v13, v12
                                        ; implicit-def: $sgpr10_sgpr11
	s_waitcnt lgkmcnt(0)
	v_cmp_ne_u32_e32 vcc, v13, v6
	s_and_saveexec_b64 s[8:9], vcc
	s_xor_b64 s[8:9], exec, s[8:9]
	s_cbranch_execz .LBB228_47
; %bb.40:                               ;   in Loop: Header=BB228_39 Depth=2
	v_cmp_ne_u32_e32 vcc, s33, v13
                                        ; implicit-def: $sgpr10_sgpr11
	s_and_saveexec_b64 s[12:13], vcc
	s_xor_b64 s[12:13], exec, s[12:13]
; %bb.41:                               ;   in Loop: Header=BB228_39 Depth=2
	v_add_u32_e32 v11, 1, v11
	v_and_b32_e32 v11, 0xfff, v11
	s_mov_b64 s[10:11], -1
                                        ; implicit-def: $vgpr12
; %bb.42:                               ;   in Loop: Header=BB228_39 Depth=2
	s_andn2_saveexec_b64 s[12:13], s[12:13]
	s_cbranch_execz .LBB228_46
; %bb.43:                               ;   in Loop: Header=BB228_39 Depth=2
	v_mov_b32_e32 v13, s33
	ds_cmpst_rtn_b32 v13, v12, v13, v6
	s_mov_b64 s[14:15], -1
	s_waitcnt lgkmcnt(0)
	v_cmp_eq_u32_e32 vcc, s33, v13
	s_and_saveexec_b64 s[16:17], vcc
	s_cbranch_execz .LBB228_45
; %bb.44:                               ;   in Loop: Header=BB228_39 Depth=2
	v_lshl_add_u32 v12, v11, 2, v12
	ds_add_f32 v12, v7 offset:16384
	ds_add_f32 v12, v10 offset:16388
	s_xor_b64 s[14:15], exec, -1
.LBB228_45:                             ;   in Loop: Header=BB228_39 Depth=2
	s_or_b64 exec, exec, s[16:17]
	s_andn2_b64 s[10:11], s[10:11], exec
	s_and_b64 s[14:15], s[14:15], exec
	s_or_b64 s[10:11], s[10:11], s[14:15]
.LBB228_46:                             ;   in Loop: Header=BB228_39 Depth=2
	s_or_b64 exec, exec, s[12:13]
	s_and_b64 s[10:11], s[10:11], exec
                                        ; implicit-def: $vgpr12
.LBB228_47:                             ;   in Loop: Header=BB228_39 Depth=2
	s_andn2_saveexec_b64 s[8:9], s[8:9]
	s_cbranch_execz .LBB228_38
; %bb.48:                               ;   in Loop: Header=BB228_39 Depth=2
	v_lshl_add_u32 v12, v11, 2, v12
	ds_add_f32 v12, v7 offset:16384
	ds_add_f32 v12, v10 offset:16388
	s_andn2_b64 s[10:11], s[10:11], exec
	s_branch .LBB228_38
.LBB228_49:
	s_or_b64 exec, exec, s[2:3]
.LBB228_50:
	v_mbcnt_lo_u32_b32 v2, -1, 0
	v_mbcnt_hi_u32_b32 v2, -1, v2
	v_lshrrev_b32_e32 v4, 3, v0
	v_sub_u32_e32 v2, 63, v2
	v_and_b32_e32 v4, 0x7c, v4
	s_movk_i32 s0, 0x3ff
	s_movk_i32 s4, 0x5f
	;; [unrolled: 1-line block ×30, first 2 shown]
	v_mov_b32_e32 v6, 0
	v_lshrrev_b64 v[2:3], v2, -1
	v_add_u32_e32 v7, 0, v4
	v_cmp_eq_u32_e32 vcc, s0, v0
	v_cmp_lt_u32_e64 s[0:1], 31, v0
	v_cmp_lt_u32_e64 s[2:3], 63, v0
	v_cmp_lt_u32_e64 s[4:5], s4, v0
	v_cmp_lt_u32_e64 s[6:7], s6, v0
	v_cmp_lt_u32_e64 s[8:9], s8, v0
	v_cmp_lt_u32_e64 s[10:11], s10, v0
	v_cmp_lt_u32_e64 s[12:13], s12, v0
	v_cmp_lt_u32_e64 s[14:15], s14, v0
	v_cmp_lt_u32_e64 s[16:17], s16, v0
	v_cmp_lt_u32_e64 s[18:19], s18, v0
	v_cmp_lt_u32_e64 s[20:21], s20, v0
	v_cmp_lt_u32_e64 s[22:23], s22, v0
	v_cmp_lt_u32_e64 s[24:25], s24, v0
	v_cmp_lt_u32_e64 s[26:27], s26, v0
	v_cmp_lt_u32_e64 s[28:29], s28, v0
	v_cmp_lt_u32_e64 s[30:31], s30, v0
	v_cmp_lt_u32_e64 s[34:35], s34, v0
	v_cmp_lt_u32_e64 s[36:37], s36, v0
	v_cmp_lt_u32_e64 s[38:39], s38, v0
	v_cmp_lt_u32_e64 s[40:41], s40, v0
	v_cmp_lt_u32_e64 s[42:43], s42, v0
	v_cmp_lt_u32_e64 s[44:45], s44, v0
	v_cmp_lt_u32_e64 s[46:47], s46, v0
	v_cmp_lt_u32_e64 s[48:49], s48, v0
	v_cmp_lt_u32_e64 s[50:51], s50, v0
	v_cmp_lt_u32_e64 s[52:53], s52, v0
	v_cmp_lt_u32_e64 s[54:55], s54, v0
	v_cmp_lt_u32_e64 s[56:57], s56, v0
	v_cmp_lt_u32_e64 s[58:59], s58, v0
	v_cmp_lt_u32_e64 s[60:61], s60, v0
	v_cmp_lt_u32_e64 s[62:63], s62, v0
	s_mov_b64 s[66:67], 0
	s_movk_i32 s75, 0xbff
	v_mov_b32_e32 v10, 0
	s_waitcnt lgkmcnt(0)
	s_barrier
	s_branch .LBB228_52
.LBB228_51:                             ;   in Loop: Header=BB228_52 Depth=1
	s_or_b64 exec, exec, s[64:65]
	s_waitcnt lgkmcnt(0)
	s_barrier
	ds_read_b32 v4, v6 offset:49276
	v_add_u32_e32 v8, 0x400, v8
	v_cmp_lt_u32_e64 s[64:65], s75, v8
	v_add_u32_e32 v1, 0x2000, v1
	s_or_b64 s[66:67], s[64:65], s[66:67]
	s_waitcnt lgkmcnt(0)
	v_add_u32_e32 v10, v4, v10
	v_add_u32_e32 v9, 0x1000, v9
	s_andn2_b64 exec, exec, s[66:67]
	s_cbranch_execz .LBB228_118
.LBB228_52:                             ; =>This Inner Loop Header: Depth=1
	ds_read_b32 v11, v9
	ds_read2_b32 v[4:5], v1 offset1:1
	s_waitcnt lgkmcnt(0)
	s_barrier
	v_cmp_gt_i32_e64 s[64:65], s33, v11
	v_and_b32_e32 v13, s64, v2
	s_bcnt1_i32_b64 s72, s[64:65]
	v_and_b32_e32 v12, s65, v3
	v_bcnt_u32_b32 v13, v13, 0
	v_bcnt_u32_b32 v12, v12, v13
	v_mov_b32_e32 v13, s72
	ds_write_b32 v7, v13 offset:49152
	s_waitcnt lgkmcnt(0)
	s_barrier
	s_and_saveexec_b64 s[72:73], s[0:1]
	s_cbranch_execnz .LBB228_85
; %bb.53:                               ;   in Loop: Header=BB228_52 Depth=1
	s_or_b64 exec, exec, s[72:73]
	s_and_saveexec_b64 s[72:73], s[2:3]
	s_cbranch_execnz .LBB228_86
.LBB228_54:                             ;   in Loop: Header=BB228_52 Depth=1
	s_or_b64 exec, exec, s[72:73]
	s_and_saveexec_b64 s[72:73], s[4:5]
	s_cbranch_execnz .LBB228_87
.LBB228_55:                             ;   in Loop: Header=BB228_52 Depth=1
	s_or_b64 exec, exec, s[72:73]
	s_and_saveexec_b64 s[72:73], s[6:7]
	s_cbranch_execnz .LBB228_88
.LBB228_56:                             ;   in Loop: Header=BB228_52 Depth=1
	s_or_b64 exec, exec, s[72:73]
	s_and_saveexec_b64 s[72:73], s[8:9]
	s_cbranch_execnz .LBB228_89
.LBB228_57:                             ;   in Loop: Header=BB228_52 Depth=1
	s_or_b64 exec, exec, s[72:73]
	s_and_saveexec_b64 s[72:73], s[10:11]
	s_cbranch_execnz .LBB228_90
.LBB228_58:                             ;   in Loop: Header=BB228_52 Depth=1
	s_or_b64 exec, exec, s[72:73]
	s_and_saveexec_b64 s[72:73], s[12:13]
	s_cbranch_execnz .LBB228_91
.LBB228_59:                             ;   in Loop: Header=BB228_52 Depth=1
	s_or_b64 exec, exec, s[72:73]
	s_and_saveexec_b64 s[72:73], s[14:15]
	s_cbranch_execnz .LBB228_92
.LBB228_60:                             ;   in Loop: Header=BB228_52 Depth=1
	s_or_b64 exec, exec, s[72:73]
	s_and_saveexec_b64 s[72:73], s[16:17]
	s_cbranch_execnz .LBB228_93
.LBB228_61:                             ;   in Loop: Header=BB228_52 Depth=1
	s_or_b64 exec, exec, s[72:73]
	s_and_saveexec_b64 s[72:73], s[18:19]
	s_cbranch_execnz .LBB228_94
.LBB228_62:                             ;   in Loop: Header=BB228_52 Depth=1
	s_or_b64 exec, exec, s[72:73]
	s_and_saveexec_b64 s[72:73], s[20:21]
	s_cbranch_execnz .LBB228_95
.LBB228_63:                             ;   in Loop: Header=BB228_52 Depth=1
	s_or_b64 exec, exec, s[72:73]
	s_and_saveexec_b64 s[72:73], s[22:23]
	s_cbranch_execnz .LBB228_96
.LBB228_64:                             ;   in Loop: Header=BB228_52 Depth=1
	s_or_b64 exec, exec, s[72:73]
	s_and_saveexec_b64 s[72:73], s[24:25]
	s_cbranch_execnz .LBB228_97
.LBB228_65:                             ;   in Loop: Header=BB228_52 Depth=1
	s_or_b64 exec, exec, s[72:73]
	s_and_saveexec_b64 s[72:73], s[26:27]
	s_cbranch_execnz .LBB228_98
.LBB228_66:                             ;   in Loop: Header=BB228_52 Depth=1
	s_or_b64 exec, exec, s[72:73]
	s_and_saveexec_b64 s[72:73], s[28:29]
	s_cbranch_execnz .LBB228_99
.LBB228_67:                             ;   in Loop: Header=BB228_52 Depth=1
	s_or_b64 exec, exec, s[72:73]
	s_and_saveexec_b64 s[72:73], s[30:31]
	s_cbranch_execnz .LBB228_100
.LBB228_68:                             ;   in Loop: Header=BB228_52 Depth=1
	s_or_b64 exec, exec, s[72:73]
	s_and_saveexec_b64 s[72:73], s[34:35]
	s_cbranch_execnz .LBB228_101
.LBB228_69:                             ;   in Loop: Header=BB228_52 Depth=1
	s_or_b64 exec, exec, s[72:73]
	s_and_saveexec_b64 s[72:73], s[36:37]
	s_cbranch_execnz .LBB228_102
.LBB228_70:                             ;   in Loop: Header=BB228_52 Depth=1
	s_or_b64 exec, exec, s[72:73]
	s_and_saveexec_b64 s[72:73], s[38:39]
	s_cbranch_execnz .LBB228_103
.LBB228_71:                             ;   in Loop: Header=BB228_52 Depth=1
	s_or_b64 exec, exec, s[72:73]
	s_and_saveexec_b64 s[72:73], s[40:41]
	s_cbranch_execnz .LBB228_104
.LBB228_72:                             ;   in Loop: Header=BB228_52 Depth=1
	s_or_b64 exec, exec, s[72:73]
	s_and_saveexec_b64 s[72:73], s[42:43]
	s_cbranch_execnz .LBB228_105
.LBB228_73:                             ;   in Loop: Header=BB228_52 Depth=1
	s_or_b64 exec, exec, s[72:73]
	s_and_saveexec_b64 s[72:73], s[44:45]
	s_cbranch_execnz .LBB228_106
.LBB228_74:                             ;   in Loop: Header=BB228_52 Depth=1
	s_or_b64 exec, exec, s[72:73]
	s_and_saveexec_b64 s[72:73], s[46:47]
	s_cbranch_execnz .LBB228_107
.LBB228_75:                             ;   in Loop: Header=BB228_52 Depth=1
	s_or_b64 exec, exec, s[72:73]
	s_and_saveexec_b64 s[72:73], s[48:49]
	s_cbranch_execnz .LBB228_108
.LBB228_76:                             ;   in Loop: Header=BB228_52 Depth=1
	s_or_b64 exec, exec, s[72:73]
	s_and_saveexec_b64 s[72:73], s[50:51]
	s_cbranch_execnz .LBB228_109
.LBB228_77:                             ;   in Loop: Header=BB228_52 Depth=1
	s_or_b64 exec, exec, s[72:73]
	s_and_saveexec_b64 s[72:73], s[52:53]
	s_cbranch_execnz .LBB228_110
.LBB228_78:                             ;   in Loop: Header=BB228_52 Depth=1
	s_or_b64 exec, exec, s[72:73]
	s_and_saveexec_b64 s[72:73], s[54:55]
	s_cbranch_execnz .LBB228_111
.LBB228_79:                             ;   in Loop: Header=BB228_52 Depth=1
	s_or_b64 exec, exec, s[72:73]
	s_and_saveexec_b64 s[72:73], s[56:57]
	s_cbranch_execnz .LBB228_112
.LBB228_80:                             ;   in Loop: Header=BB228_52 Depth=1
	s_or_b64 exec, exec, s[72:73]
	s_and_saveexec_b64 s[72:73], s[58:59]
	s_cbranch_execnz .LBB228_113
.LBB228_81:                             ;   in Loop: Header=BB228_52 Depth=1
	s_or_b64 exec, exec, s[72:73]
	s_and_saveexec_b64 s[72:73], s[60:61]
	s_cbranch_execnz .LBB228_114
.LBB228_82:                             ;   in Loop: Header=BB228_52 Depth=1
	s_or_b64 exec, exec, s[72:73]
	s_and_saveexec_b64 s[72:73], s[62:63]
	s_cbranch_execnz .LBB228_115
.LBB228_83:                             ;   in Loop: Header=BB228_52 Depth=1
	s_or_b64 exec, exec, s[72:73]
	s_and_saveexec_b64 s[72:73], s[64:65]
	s_cbranch_execnz .LBB228_116
.LBB228_84:                             ;   in Loop: Header=BB228_52 Depth=1
	s_or_b64 exec, exec, s[72:73]
	s_and_saveexec_b64 s[64:65], vcc
	s_cbranch_execz .LBB228_51
	s_branch .LBB228_117
.LBB228_85:                             ;   in Loop: Header=BB228_52 Depth=1
	ds_read_b32 v13, v6 offset:49152
	s_waitcnt lgkmcnt(0)
	v_add_u32_e32 v12, v13, v12
	s_or_b64 exec, exec, s[72:73]
	s_and_saveexec_b64 s[72:73], s[2:3]
	s_cbranch_execz .LBB228_54
.LBB228_86:                             ;   in Loop: Header=BB228_52 Depth=1
	ds_read_b32 v13, v6 offset:49156
	s_waitcnt lgkmcnt(0)
	v_add_u32_e32 v12, v13, v12
	s_or_b64 exec, exec, s[72:73]
	s_and_saveexec_b64 s[72:73], s[4:5]
	s_cbranch_execz .LBB228_55
.LBB228_87:                             ;   in Loop: Header=BB228_52 Depth=1
	ds_read_b32 v13, v6 offset:49160
	s_waitcnt lgkmcnt(0)
	v_add_u32_e32 v12, v13, v12
	s_or_b64 exec, exec, s[72:73]
	s_and_saveexec_b64 s[72:73], s[6:7]
	s_cbranch_execz .LBB228_56
.LBB228_88:                             ;   in Loop: Header=BB228_52 Depth=1
	ds_read_b32 v13, v6 offset:49164
	s_waitcnt lgkmcnt(0)
	v_add_u32_e32 v12, v13, v12
	s_or_b64 exec, exec, s[72:73]
	s_and_saveexec_b64 s[72:73], s[8:9]
	s_cbranch_execz .LBB228_57
.LBB228_89:                             ;   in Loop: Header=BB228_52 Depth=1
	ds_read_b32 v13, v6 offset:49168
	s_waitcnt lgkmcnt(0)
	v_add_u32_e32 v12, v13, v12
	s_or_b64 exec, exec, s[72:73]
	s_and_saveexec_b64 s[72:73], s[10:11]
	s_cbranch_execz .LBB228_58
.LBB228_90:                             ;   in Loop: Header=BB228_52 Depth=1
	ds_read_b32 v13, v6 offset:49172
	s_waitcnt lgkmcnt(0)
	v_add_u32_e32 v12, v13, v12
	s_or_b64 exec, exec, s[72:73]
	s_and_saveexec_b64 s[72:73], s[12:13]
	s_cbranch_execz .LBB228_59
.LBB228_91:                             ;   in Loop: Header=BB228_52 Depth=1
	ds_read_b32 v13, v6 offset:49176
	s_waitcnt lgkmcnt(0)
	v_add_u32_e32 v12, v13, v12
	s_or_b64 exec, exec, s[72:73]
	s_and_saveexec_b64 s[72:73], s[14:15]
	s_cbranch_execz .LBB228_60
.LBB228_92:                             ;   in Loop: Header=BB228_52 Depth=1
	ds_read_b32 v13, v6 offset:49180
	s_waitcnt lgkmcnt(0)
	v_add_u32_e32 v12, v13, v12
	s_or_b64 exec, exec, s[72:73]
	s_and_saveexec_b64 s[72:73], s[16:17]
	s_cbranch_execz .LBB228_61
.LBB228_93:                             ;   in Loop: Header=BB228_52 Depth=1
	ds_read_b32 v13, v6 offset:49184
	s_waitcnt lgkmcnt(0)
	v_add_u32_e32 v12, v13, v12
	s_or_b64 exec, exec, s[72:73]
	s_and_saveexec_b64 s[72:73], s[18:19]
	s_cbranch_execz .LBB228_62
.LBB228_94:                             ;   in Loop: Header=BB228_52 Depth=1
	ds_read_b32 v13, v6 offset:49188
	s_waitcnt lgkmcnt(0)
	v_add_u32_e32 v12, v13, v12
	s_or_b64 exec, exec, s[72:73]
	s_and_saveexec_b64 s[72:73], s[20:21]
	s_cbranch_execz .LBB228_63
.LBB228_95:                             ;   in Loop: Header=BB228_52 Depth=1
	ds_read_b32 v13, v6 offset:49192
	s_waitcnt lgkmcnt(0)
	v_add_u32_e32 v12, v13, v12
	s_or_b64 exec, exec, s[72:73]
	s_and_saveexec_b64 s[72:73], s[22:23]
	s_cbranch_execz .LBB228_64
.LBB228_96:                             ;   in Loop: Header=BB228_52 Depth=1
	ds_read_b32 v13, v6 offset:49196
	s_waitcnt lgkmcnt(0)
	v_add_u32_e32 v12, v13, v12
	s_or_b64 exec, exec, s[72:73]
	s_and_saveexec_b64 s[72:73], s[24:25]
	s_cbranch_execz .LBB228_65
.LBB228_97:                             ;   in Loop: Header=BB228_52 Depth=1
	ds_read_b32 v13, v6 offset:49200
	s_waitcnt lgkmcnt(0)
	v_add_u32_e32 v12, v13, v12
	s_or_b64 exec, exec, s[72:73]
	s_and_saveexec_b64 s[72:73], s[26:27]
	s_cbranch_execz .LBB228_66
.LBB228_98:                             ;   in Loop: Header=BB228_52 Depth=1
	ds_read_b32 v13, v6 offset:49204
	s_waitcnt lgkmcnt(0)
	v_add_u32_e32 v12, v13, v12
	s_or_b64 exec, exec, s[72:73]
	s_and_saveexec_b64 s[72:73], s[28:29]
	s_cbranch_execz .LBB228_67
.LBB228_99:                             ;   in Loop: Header=BB228_52 Depth=1
	ds_read_b32 v13, v6 offset:49208
	s_waitcnt lgkmcnt(0)
	v_add_u32_e32 v12, v13, v12
	s_or_b64 exec, exec, s[72:73]
	s_and_saveexec_b64 s[72:73], s[30:31]
	s_cbranch_execz .LBB228_68
.LBB228_100:                            ;   in Loop: Header=BB228_52 Depth=1
	ds_read_b32 v13, v6 offset:49212
	s_waitcnt lgkmcnt(0)
	v_add_u32_e32 v12, v13, v12
	s_or_b64 exec, exec, s[72:73]
	s_and_saveexec_b64 s[72:73], s[34:35]
	s_cbranch_execz .LBB228_69
.LBB228_101:                            ;   in Loop: Header=BB228_52 Depth=1
	ds_read_b32 v13, v6 offset:49216
	s_waitcnt lgkmcnt(0)
	v_add_u32_e32 v12, v13, v12
	s_or_b64 exec, exec, s[72:73]
	s_and_saveexec_b64 s[72:73], s[36:37]
	s_cbranch_execz .LBB228_70
.LBB228_102:                            ;   in Loop: Header=BB228_52 Depth=1
	ds_read_b32 v13, v6 offset:49220
	s_waitcnt lgkmcnt(0)
	v_add_u32_e32 v12, v13, v12
	s_or_b64 exec, exec, s[72:73]
	s_and_saveexec_b64 s[72:73], s[38:39]
	s_cbranch_execz .LBB228_71
.LBB228_103:                            ;   in Loop: Header=BB228_52 Depth=1
	ds_read_b32 v13, v6 offset:49224
	s_waitcnt lgkmcnt(0)
	v_add_u32_e32 v12, v13, v12
	s_or_b64 exec, exec, s[72:73]
	s_and_saveexec_b64 s[72:73], s[40:41]
	s_cbranch_execz .LBB228_72
.LBB228_104:                            ;   in Loop: Header=BB228_52 Depth=1
	ds_read_b32 v13, v6 offset:49228
	s_waitcnt lgkmcnt(0)
	v_add_u32_e32 v12, v13, v12
	s_or_b64 exec, exec, s[72:73]
	s_and_saveexec_b64 s[72:73], s[42:43]
	s_cbranch_execz .LBB228_73
.LBB228_105:                            ;   in Loop: Header=BB228_52 Depth=1
	ds_read_b32 v13, v6 offset:49232
	s_waitcnt lgkmcnt(0)
	v_add_u32_e32 v12, v13, v12
	s_or_b64 exec, exec, s[72:73]
	s_and_saveexec_b64 s[72:73], s[44:45]
	s_cbranch_execz .LBB228_74
.LBB228_106:                            ;   in Loop: Header=BB228_52 Depth=1
	ds_read_b32 v13, v6 offset:49236
	s_waitcnt lgkmcnt(0)
	v_add_u32_e32 v12, v13, v12
	s_or_b64 exec, exec, s[72:73]
	s_and_saveexec_b64 s[72:73], s[46:47]
	s_cbranch_execz .LBB228_75
.LBB228_107:                            ;   in Loop: Header=BB228_52 Depth=1
	ds_read_b32 v13, v6 offset:49240
	s_waitcnt lgkmcnt(0)
	v_add_u32_e32 v12, v13, v12
	s_or_b64 exec, exec, s[72:73]
	s_and_saveexec_b64 s[72:73], s[48:49]
	s_cbranch_execz .LBB228_76
.LBB228_108:                            ;   in Loop: Header=BB228_52 Depth=1
	ds_read_b32 v13, v6 offset:49244
	s_waitcnt lgkmcnt(0)
	v_add_u32_e32 v12, v13, v12
	s_or_b64 exec, exec, s[72:73]
	s_and_saveexec_b64 s[72:73], s[50:51]
	s_cbranch_execz .LBB228_77
.LBB228_109:                            ;   in Loop: Header=BB228_52 Depth=1
	ds_read_b32 v13, v6 offset:49248
	s_waitcnt lgkmcnt(0)
	v_add_u32_e32 v12, v13, v12
	s_or_b64 exec, exec, s[72:73]
	s_and_saveexec_b64 s[72:73], s[52:53]
	s_cbranch_execz .LBB228_78
.LBB228_110:                            ;   in Loop: Header=BB228_52 Depth=1
	ds_read_b32 v13, v6 offset:49252
	s_waitcnt lgkmcnt(0)
	v_add_u32_e32 v12, v13, v12
	s_or_b64 exec, exec, s[72:73]
	s_and_saveexec_b64 s[72:73], s[54:55]
	s_cbranch_execz .LBB228_79
.LBB228_111:                            ;   in Loop: Header=BB228_52 Depth=1
	ds_read_b32 v13, v6 offset:49256
	s_waitcnt lgkmcnt(0)
	v_add_u32_e32 v12, v13, v12
	s_or_b64 exec, exec, s[72:73]
	s_and_saveexec_b64 s[72:73], s[56:57]
	s_cbranch_execz .LBB228_80
.LBB228_112:                            ;   in Loop: Header=BB228_52 Depth=1
	ds_read_b32 v13, v6 offset:49260
	s_waitcnt lgkmcnt(0)
	v_add_u32_e32 v12, v13, v12
	s_or_b64 exec, exec, s[72:73]
	s_and_saveexec_b64 s[72:73], s[58:59]
	s_cbranch_execz .LBB228_81
.LBB228_113:                            ;   in Loop: Header=BB228_52 Depth=1
	ds_read_b32 v13, v6 offset:49264
	s_waitcnt lgkmcnt(0)
	v_add_u32_e32 v12, v13, v12
	s_or_b64 exec, exec, s[72:73]
	s_and_saveexec_b64 s[72:73], s[60:61]
	s_cbranch_execz .LBB228_82
.LBB228_114:                            ;   in Loop: Header=BB228_52 Depth=1
	ds_read_b32 v13, v6 offset:49268
	s_waitcnt lgkmcnt(0)
	v_add_u32_e32 v12, v13, v12
	s_or_b64 exec, exec, s[72:73]
	s_and_saveexec_b64 s[72:73], s[62:63]
	s_cbranch_execz .LBB228_83
.LBB228_115:                            ;   in Loop: Header=BB228_52 Depth=1
	ds_read_b32 v13, v6 offset:49272
	s_waitcnt lgkmcnt(0)
	v_add_u32_e32 v12, v13, v12
	s_or_b64 exec, exec, s[72:73]
	s_and_saveexec_b64 s[72:73], s[64:65]
	s_cbranch_execz .LBB228_84
.LBB228_116:                            ;   in Loop: Header=BB228_52 Depth=1
	v_add3_u32 v13, v10, -1, v12
	v_lshl_add_u32 v14, v13, 2, 0
	v_lshl_add_u32 v13, v13, 3, 0
	v_add_u32_e32 v13, 0x4000, v13
	ds_write_b32 v14, v11
	ds_write2_b32 v13, v4, v5 offset1:1
	s_or_b64 exec, exec, s[72:73]
	s_and_saveexec_b64 s[64:65], vcc
	s_cbranch_execz .LBB228_51
.LBB228_117:                            ;   in Loop: Header=BB228_52 Depth=1
	ds_write_b32 v6, v12 offset:49276
	s_branch .LBB228_51
.LBB228_118:
	s_or_b64 exec, exec, s[66:67]
	s_ashr_i32 s79, s78, 31
	s_lshl_b64 s[0:1], s[78:79], 3
	s_add_u32 s0, s68, s0
	s_addc_u32 s1, s69, s1
	s_load_dwordx4 s[0:3], s[0:1], 0x0
	s_waitcnt lgkmcnt(0)
	s_sub_i32 s8, s2, s0
	v_cmp_gt_i32_e32 vcc, s8, v0
	s_and_saveexec_b64 s[4:5], vcc
	s_cbranch_execz .LBB228_128
; %bb.119:
	s_sub_u32 s4, s0, s74
	s_subb_u32 s5, s1, 0
	s_and_b32 s9, s8, 7
	s_sub_i32 s0, s0, s2
	s_cmp_lt_u32 s0, -7
	s_cselect_b64 s[0:1], -1, 0
	s_and_b32 s10, s8, -8
	s_cmp_lg_u32 s9, 0
	v_cndmask_b32_e64 v1, 0, 1, s[0:1]
	s_cselect_b64 s[2:3], -1, 0
	v_cmp_ne_u32_e64 s[0:1], 1, v1
	v_cndmask_b32_e64 v1, 0, 1, s[2:3]
	s_mov_b64 s[6:7], 0
	s_movk_i32 s11, 0x4000
	v_cmp_ne_u32_e64 s[2:3], 1, v1
	s_branch .LBB228_121
.LBB228_120:                            ;   in Loop: Header=BB228_121 Depth=1
	v_lshlrev_b64 v[6:7], 2, v[4:5]
	v_mov_b32_e32 v8, s71
	v_add_co_u32_e32 v6, vcc, s70, v6
	s_waitcnt lgkmcnt(1)
	v_add_u32_e32 v1, s74, v1
	v_addc_co_u32_e32 v7, vcc, v8, v7, vcc
	v_lshlrev_b64 v[4:5], 3, v[4:5]
	global_store_dword v[6:7], v1, off
	v_mov_b32_e32 v1, s77
	v_add_co_u32_e32 v4, vcc, s76, v4
	v_addc_co_u32_e32 v5, vcc, v1, v5, vcc
	v_add_u32_e32 v0, 0x400, v0
	v_cmp_le_i32_e32 vcc, s8, v0
	s_or_b64 s[6:7], vcc, s[6:7]
	s_waitcnt lgkmcnt(0)
	global_store_dwordx2 v[4:5], v[2:3], off
	s_andn2_b64 exec, exec, s[6:7]
	s_cbranch_execz .LBB228_128
.LBB228_121:                            ; =>This Loop Header: Depth=1
                                        ;     Child Loop BB228_123 Depth 2
                                        ;     Child Loop BB228_127 Depth 2
	v_lshlrev_b32_e32 v1, 2, v0
	v_add_u32_e32 v2, 0, v1
	v_add3_u32 v3, v2, v1, s11
	ds_read_b32 v1, v2
	ds_read2_b32 v[2:3], v3 offset1:1
	s_and_b64 vcc, exec, s[0:1]
	v_pk_mov_b32 v[4:5], s[4:5], s[4:5] op_sel:[0,1]
	s_mov_b32 s12, 0
	s_cbranch_vccnz .LBB228_125
; %bb.122:                              ;   in Loop: Header=BB228_121 Depth=1
	s_mov_b32 s13, 0
	v_pk_mov_b32 v[4:5], s[4:5], s[4:5] op_sel:[0,1]
.LBB228_123:                            ;   Parent Loop BB228_121 Depth=1
                                        ; =>  This Inner Loop Header: Depth=2
	v_mov_b32_e32 v12, s13
	ds_read2_b32 v[6:7], v12 offset1:1
	ds_read2_b32 v[8:9], v12 offset0:2 offset1:3
	ds_read2_b32 v[10:11], v12 offset0:4 offset1:5
	;; [unrolled: 1-line block ×3, first 2 shown]
	s_add_i32 s12, s12, 8
	s_waitcnt lgkmcnt(3)
	v_cmp_gt_i32_e32 vcc, v1, v6
	v_cndmask_b32_e64 v6, 0, 1, vcc
	v_cmp_gt_i32_e32 vcc, v1, v7
	v_cndmask_b32_e64 v7, 0, 1, vcc
	s_waitcnt lgkmcnt(2)
	v_cmp_gt_i32_e32 vcc, v1, v8
	v_cndmask_b32_e64 v8, 0, 1, vcc
	v_cmp_gt_i32_e32 vcc, v1, v9
	v_cndmask_b32_e64 v9, 0, 1, vcc
	s_waitcnt lgkmcnt(1)
	v_cmp_gt_i32_e32 vcc, v1, v10
	v_cndmask_b32_e64 v10, 0, 1, vcc
	v_cmp_gt_i32_e32 vcc, v1, v11
	v_cndmask_b32_e64 v11, 0, 1, vcc
	s_waitcnt lgkmcnt(0)
	v_cmp_gt_i32_e32 vcc, v1, v12
	v_cndmask_b32_e64 v12, 0, 1, vcc
	v_cmp_gt_i32_e32 vcc, v1, v13
	v_cndmask_b32_e64 v13, 0, 1, vcc
	v_add_co_u32_e32 v4, vcc, v4, v6
	v_addc_co_u32_e32 v5, vcc, 0, v5, vcc
	v_add_co_u32_e32 v4, vcc, v4, v7
	v_addc_co_u32_e32 v5, vcc, 0, v5, vcc
	;; [unrolled: 2-line block ×7, first 2 shown]
	s_add_i32 s13, s13, 32
	v_add_co_u32_e32 v4, vcc, v4, v13
	s_cmp_eq_u32 s10, s12
	v_addc_co_u32_e32 v5, vcc, 0, v5, vcc
	s_cbranch_scc0 .LBB228_123
; %bb.124:                              ;   in Loop: Header=BB228_121 Depth=1
	s_mov_b32 s12, s10
.LBB228_125:                            ;   in Loop: Header=BB228_121 Depth=1
	s_and_b64 vcc, exec, s[2:3]
	s_cbranch_vccnz .LBB228_120
; %bb.126:                              ;   in Loop: Header=BB228_121 Depth=1
	s_lshl_b32 s12, s12, 2
	s_add_i32 s12, s12, 0
	s_mov_b32 s13, s9
.LBB228_127:                            ;   Parent Loop BB228_121 Depth=1
                                        ; =>  This Inner Loop Header: Depth=2
	v_mov_b32_e32 v6, s12
	ds_read_b32 v6, v6
	s_add_i32 s12, s12, 4
	s_add_i32 s13, s13, -1
	s_cmp_lg_u32 s13, 0
	s_waitcnt lgkmcnt(0)
	v_cmp_gt_i32_e32 vcc, v1, v6
	v_cndmask_b32_e64 v6, 0, 1, vcc
	v_add_co_u32_e32 v4, vcc, v4, v6
	v_addc_co_u32_e32 v5, vcc, 0, v5, vcc
	s_cbranch_scc1 .LBB228_127
	s_branch .LBB228_120
.LBB228_128:
	s_endpgm
	.section	.rodata,"a",@progbits
	.p2align	6, 0x0
	.amdhsa_kernel _ZN9rocsparseL26csrgemm_fill_block_per_rowILj1024ELj64ELj4096ELj137ELj32Eli21rocsparse_complex_numIfEEEvT5_PKS3_S5_NS_24const_host_device_scalarIT6_EEPKT4_S5_PKS7_SB_S5_SD_S8_SB_S5_SD_SB_PS3_PS7_21rocsparse_index_base_SG_SG_SG_bbb
		.amdhsa_group_segment_fixed_size 0
		.amdhsa_private_segment_fixed_size 0
		.amdhsa_kernarg_size 156
		.amdhsa_user_sgpr_count 6
		.amdhsa_user_sgpr_private_segment_buffer 1
		.amdhsa_user_sgpr_dispatch_ptr 0
		.amdhsa_user_sgpr_queue_ptr 0
		.amdhsa_user_sgpr_kernarg_segment_ptr 1
		.amdhsa_user_sgpr_dispatch_id 0
		.amdhsa_user_sgpr_flat_scratch_init 0
		.amdhsa_user_sgpr_kernarg_preload_length 0
		.amdhsa_user_sgpr_kernarg_preload_offset 0
		.amdhsa_user_sgpr_private_segment_size 0
		.amdhsa_uses_dynamic_stack 0
		.amdhsa_system_sgpr_private_segment_wavefront_offset 0
		.amdhsa_system_sgpr_workgroup_id_x 1
		.amdhsa_system_sgpr_workgroup_id_y 0
		.amdhsa_system_sgpr_workgroup_id_z 0
		.amdhsa_system_sgpr_workgroup_info 0
		.amdhsa_system_vgpr_workitem_id 0
		.amdhsa_next_free_vgpr 23
		.amdhsa_next_free_sgpr 80
		.amdhsa_accum_offset 24
		.amdhsa_reserve_vcc 1
		.amdhsa_reserve_flat_scratch 0
		.amdhsa_float_round_mode_32 0
		.amdhsa_float_round_mode_16_64 0
		.amdhsa_float_denorm_mode_32 3
		.amdhsa_float_denorm_mode_16_64 3
		.amdhsa_dx10_clamp 1
		.amdhsa_ieee_mode 1
		.amdhsa_fp16_overflow 0
		.amdhsa_tg_split 0
		.amdhsa_exception_fp_ieee_invalid_op 0
		.amdhsa_exception_fp_denorm_src 0
		.amdhsa_exception_fp_ieee_div_zero 0
		.amdhsa_exception_fp_ieee_overflow 0
		.amdhsa_exception_fp_ieee_underflow 0
		.amdhsa_exception_fp_ieee_inexact 0
		.amdhsa_exception_int_div_zero 0
	.end_amdhsa_kernel
	.section	.text._ZN9rocsparseL26csrgemm_fill_block_per_rowILj1024ELj64ELj4096ELj137ELj32Eli21rocsparse_complex_numIfEEEvT5_PKS3_S5_NS_24const_host_device_scalarIT6_EEPKT4_S5_PKS7_SB_S5_SD_S8_SB_S5_SD_SB_PS3_PS7_21rocsparse_index_base_SG_SG_SG_bbb,"axG",@progbits,_ZN9rocsparseL26csrgemm_fill_block_per_rowILj1024ELj64ELj4096ELj137ELj32Eli21rocsparse_complex_numIfEEEvT5_PKS3_S5_NS_24const_host_device_scalarIT6_EEPKT4_S5_PKS7_SB_S5_SD_S8_SB_S5_SD_SB_PS3_PS7_21rocsparse_index_base_SG_SG_SG_bbb,comdat
.Lfunc_end228:
	.size	_ZN9rocsparseL26csrgemm_fill_block_per_rowILj1024ELj64ELj4096ELj137ELj32Eli21rocsparse_complex_numIfEEEvT5_PKS3_S5_NS_24const_host_device_scalarIT6_EEPKT4_S5_PKS7_SB_S5_SD_S8_SB_S5_SD_SB_PS3_PS7_21rocsparse_index_base_SG_SG_SG_bbb, .Lfunc_end228-_ZN9rocsparseL26csrgemm_fill_block_per_rowILj1024ELj64ELj4096ELj137ELj32Eli21rocsparse_complex_numIfEEEvT5_PKS3_S5_NS_24const_host_device_scalarIT6_EEPKT4_S5_PKS7_SB_S5_SD_S8_SB_S5_SD_SB_PS3_PS7_21rocsparse_index_base_SG_SG_SG_bbb
                                        ; -- End function
	.section	.AMDGPU.csdata,"",@progbits
; Kernel info:
; codeLenInByte = 4088
; NumSgprs: 84
; NumVgprs: 23
; NumAgprs: 0
; TotalNumVgprs: 23
; ScratchSize: 0
; MemoryBound: 0
; FloatMode: 240
; IeeeMode: 1
; LDSByteSize: 0 bytes/workgroup (compile time only)
; SGPRBlocks: 10
; VGPRBlocks: 2
; NumSGPRsForWavesPerEU: 84
; NumVGPRsForWavesPerEU: 23
; AccumOffset: 24
; Occupancy: 8
; WaveLimiterHint : 1
; COMPUTE_PGM_RSRC2:SCRATCH_EN: 0
; COMPUTE_PGM_RSRC2:USER_SGPR: 6
; COMPUTE_PGM_RSRC2:TRAP_HANDLER: 0
; COMPUTE_PGM_RSRC2:TGID_X_EN: 1
; COMPUTE_PGM_RSRC2:TGID_Y_EN: 0
; COMPUTE_PGM_RSRC2:TGID_Z_EN: 0
; COMPUTE_PGM_RSRC2:TIDIG_COMP_CNT: 0
; COMPUTE_PGM_RSRC3_GFX90A:ACCUM_OFFSET: 5
; COMPUTE_PGM_RSRC3_GFX90A:TG_SPLIT: 0
	.section	.text._ZN9rocsparseL26csrgemm_fill_block_per_rowILj1024ELj64ELj4096ELj137ELj64Eli21rocsparse_complex_numIfEEEvT5_PKS3_S5_NS_24const_host_device_scalarIT6_EEPKT4_S5_PKS7_SB_S5_SD_S8_SB_S5_SD_SB_PS3_PS7_21rocsparse_index_base_SG_SG_SG_bbb,"axG",@progbits,_ZN9rocsparseL26csrgemm_fill_block_per_rowILj1024ELj64ELj4096ELj137ELj64Eli21rocsparse_complex_numIfEEEvT5_PKS3_S5_NS_24const_host_device_scalarIT6_EEPKT4_S5_PKS7_SB_S5_SD_S8_SB_S5_SD_SB_PS3_PS7_21rocsparse_index_base_SG_SG_SG_bbb,comdat
	.globl	_ZN9rocsparseL26csrgemm_fill_block_per_rowILj1024ELj64ELj4096ELj137ELj64Eli21rocsparse_complex_numIfEEEvT5_PKS3_S5_NS_24const_host_device_scalarIT6_EEPKT4_S5_PKS7_SB_S5_SD_S8_SB_S5_SD_SB_PS3_PS7_21rocsparse_index_base_SG_SG_SG_bbb ; -- Begin function _ZN9rocsparseL26csrgemm_fill_block_per_rowILj1024ELj64ELj4096ELj137ELj64Eli21rocsparse_complex_numIfEEEvT5_PKS3_S5_NS_24const_host_device_scalarIT6_EEPKT4_S5_PKS7_SB_S5_SD_S8_SB_S5_SD_SB_PS3_PS7_21rocsparse_index_base_SG_SG_SG_bbb
	.p2align	8
	.type	_ZN9rocsparseL26csrgemm_fill_block_per_rowILj1024ELj64ELj4096ELj137ELj64Eli21rocsparse_complex_numIfEEEvT5_PKS3_S5_NS_24const_host_device_scalarIT6_EEPKT4_S5_PKS7_SB_S5_SD_S8_SB_S5_SD_SB_PS3_PS7_21rocsparse_index_base_SG_SG_SG_bbb,@function
_ZN9rocsparseL26csrgemm_fill_block_per_rowILj1024ELj64ELj4096ELj137ELj64Eli21rocsparse_complex_numIfEEEvT5_PKS3_S5_NS_24const_host_device_scalarIT6_EEPKT4_S5_PKS7_SB_S5_SD_S8_SB_S5_SD_SB_PS3_PS7_21rocsparse_index_base_SG_SG_SG_bbb: ; @_ZN9rocsparseL26csrgemm_fill_block_per_rowILj1024ELj64ELj4096ELj137ELj64Eli21rocsparse_complex_numIfEEEvT5_PKS3_S5_NS_24const_host_device_scalarIT6_EEPKT4_S5_PKS7_SB_S5_SD_S8_SB_S5_SD_SB_PS3_PS7_21rocsparse_index_base_SG_SG_SG_bbb
; %bb.0:
	s_load_dwordx8 s[36:43], s[4:5], 0x60
	s_load_dwordx8 s[8:15], s[4:5], 0x40
	s_load_dword s7, s[4:5], 0x98
	s_load_dwordx4 s[24:27], s[4:5], 0x8
	s_load_dwordx8 s[16:23], s[4:5], 0x20
	s_load_dwordx2 s[34:35], s[4:5], 0x80
	s_load_dwordx4 s[44:47], s[4:5], 0x88
	s_waitcnt lgkmcnt(0)
	s_bitcmp1_b32 s7, 0
	s_cselect_b64 s[30:31], -1, 0
	s_bitcmp1_b32 s7, 16
	s_cselect_b64 s[0:1], -1, 0
	s_xor_b64 s[0:1], s[0:1], -1
	v_cndmask_b32_e64 v1, 0, 1, s[0:1]
	s_mov_b32 s3, 0
	s_bitcmp0_b32 s7, 0
	v_cmp_ne_u32_e64 s[0:1], 1, v1
	s_mov_b32 s58, 0
	s_cbranch_scc1 .LBB229_5
; %bb.1:
	s_load_dwordx2 s[2:3], s[4:5], 0x18
	s_and_b64 vcc, exec, s[0:1]
	s_waitcnt lgkmcnt(0)
	s_mov_b32 s58, s2
	s_cbranch_vccnz .LBB229_3
; %bb.2:
	s_load_dword s58, s[2:3], 0x0
.LBB229_3:
	s_and_b64 vcc, exec, s[0:1]
	s_cbranch_vccnz .LBB229_5
; %bb.4:
	s_load_dword s3, s[2:3], 0x4
.LBB229_5:
	s_bitcmp1_b32 s7, 8
	s_cselect_b64 s[28:29], -1, 0
	s_bfe_u32 s2, s7, 0x10008
	s_mov_b32 s57, 0
	s_cmp_eq_u32 s2, 0
	s_mov_b32 s56, 0
	s_cbranch_scc1 .LBB229_11
; %bb.6:
	s_and_b64 vcc, exec, s[0:1]
	s_mov_b32 s56, s12
	s_cbranch_vccnz .LBB229_8
; %bb.7:
	s_load_dword s56, s[12:13], 0x0
.LBB229_8:
	s_and_b64 vcc, exec, s[0:1]
	s_cbranch_vccnz .LBB229_10
; %bb.9:
	s_load_dword s13, s[12:13], 0x4
.LBB229_10:
	s_waitcnt lgkmcnt(0)
	s_mov_b32 s57, s13
.LBB229_11:
	s_load_dword s33, s[4:5], 0x0
	v_lshl_add_u32 v1, v0, 3, 0
	v_add_u32_e32 v1, 0x4000, v1
	v_or_b32_e32 v8, 0xfffffc00, v0
	v_lshl_add_u32 v9, v0, 2, 0
	s_mov_b64 s[0:1], 0
	s_waitcnt lgkmcnt(0)
	v_mov_b32_e32 v2, s33
	v_mov_b32_e32 v3, 0
	s_movk_i32 s2, 0xbff
	v_mov_b32_e32 v4, v9
	v_mov_b32_e32 v5, v8
	;; [unrolled: 1-line block ×3, first 2 shown]
.LBB229_12:                             ; =>This Inner Loop Header: Depth=1
	v_add_u32_e32 v5, 0x400, v5
	v_cmp_lt_u32_e32 vcc, s2, v5
	ds_write_b32 v4, v2
	ds_write2_b32 v6, v3, v3 offset1:1
	v_add_u32_e32 v6, 0x2000, v6
	s_or_b64 s[0:1], vcc, s[0:1]
	v_add_u32_e32 v4, 0x1000, v4
	s_andn2_b64 exec, exec, s[0:1]
	s_cbranch_execnz .LBB229_12
; %bb.13:
	s_or_b64 exec, exec, s[0:1]
	s_waitcnt lgkmcnt(0)
	s_barrier
	s_load_dword s0, s[24:25], 0x0
	s_mov_b32 s1, 0
	v_lshrrev_b32_e32 v10, 6, v0
	s_waitcnt lgkmcnt(0)
	s_add_i32 s0, s0, s6
	s_lshl_b64 s[0:1], s[0:1], 2
	s_add_u32 s0, s26, s0
	s_addc_u32 s1, s27, s1
	s_load_dword s48, s[0:1], 0x0
	s_and_b64 vcc, exec, s[30:31]
	s_cbranch_vccz .LBB229_33
; %bb.14:
	s_waitcnt lgkmcnt(0)
	s_ashr_i32 s49, s48, 31
	s_lshl_b64 s[0:1], s[48:49], 3
	s_add_u32 s0, s16, s0
	s_addc_u32 s1, s17, s1
	s_load_dwordx4 s[4:7], s[0:1], 0x0
	v_subrev_co_u32_e32 v2, vcc, s44, v10
	v_subb_co_u32_e64 v3, s[0:1], 0, 0, vcc
	s_waitcnt lgkmcnt(0)
	s_sub_u32 s0, s6, s44
	v_mov_b32_e32 v4, s5
	v_add_co_u32_e32 v2, vcc, s4, v2
	s_subb_u32 s1, s7, 0
	v_addc_co_u32_e32 v3, vcc, v4, v3, vcc
	v_cmp_gt_i64_e32 vcc, s[0:1], v[2:3]
	s_and_saveexec_b64 s[4:5], vcc
	s_cbranch_execz .LBB229_32
; %bb.15:
	v_and_b32_e32 v4, 63, v0
	v_subrev_co_u32_e32 v11, vcc, s45, v4
	s_mov_b32 s12, 0
	v_subb_co_u32_e64 v12, s[6:7], 0, 0, vcc
	s_mov_b32 s2, s45
	s_mov_b64 s[6:7], 0
	v_mov_b32_e32 v13, s19
	v_mov_b32_e32 v14, s23
	;; [unrolled: 1-line block ×3, first 2 shown]
	s_movk_i32 s19, 0x89
	s_branch .LBB229_17
.LBB229_16:                             ;   in Loop: Header=BB229_17 Depth=1
	s_or_b64 exec, exec, s[12:13]
	v_add_co_u32_e32 v2, vcc, 16, v2
	v_addc_co_u32_e32 v3, vcc, 0, v3, vcc
	v_cmp_le_i64_e32 vcc, s[0:1], v[2:3]
	s_or_b64 s[6:7], vcc, s[6:7]
	s_andn2_b64 exec, exec, s[6:7]
	s_cbranch_execz .LBB229_32
.LBB229_17:                             ; =>This Loop Header: Depth=1
                                        ;     Child Loop BB229_20 Depth 2
                                        ;       Child Loop BB229_22 Depth 3
	v_lshlrev_b64 v[4:5], 2, v[2:3]
	v_add_co_u32_e32 v4, vcc, s18, v4
	v_addc_co_u32_e32 v5, vcc, v13, v5, vcc
	global_load_dword v4, v[4:5], off
	s_waitcnt vmcnt(0)
	v_subrev_u32_e32 v4, s44, v4
	v_ashrrev_i32_e32 v5, 31, v4
	v_lshlrev_b64 v[4:5], 3, v[4:5]
	v_add_co_u32_e32 v4, vcc, s22, v4
	v_addc_co_u32_e32 v5, vcc, v14, v5, vcc
	global_load_dwordx4 v[16:19], v[4:5], off
	s_waitcnt vmcnt(0)
	v_subrev_co_u32_e32 v4, vcc, s2, v18
	v_subb_co_u32_e32 v5, vcc, v19, v15, vcc
	v_add_co_u32_e32 v6, vcc, v16, v11
	v_addc_co_u32_e32 v7, vcc, v17, v12, vcc
	v_cmp_lt_i64_e32 vcc, v[6:7], v[4:5]
	s_and_saveexec_b64 s[12:13], vcc
	s_cbranch_execz .LBB229_16
; %bb.18:                               ;   in Loop: Header=BB229_17 Depth=1
	v_lshlrev_b64 v[16:17], 3, v[2:3]
	v_mov_b32_e32 v18, s21
	v_add_co_u32_e32 v16, vcc, s20, v16
	v_addc_co_u32_e32 v17, vcc, v18, v17, vcc
	global_load_dwordx2 v[18:19], v[16:17], off
	s_mov_b64 s[16:17], 0
	s_waitcnt vmcnt(0)
	v_mul_f32_e64 v16, v19, -s3
	v_mul_f32_e32 v17, s58, v19
	v_fmac_f32_e32 v16, s58, v18
	v_fmac_f32_e32 v17, s3, v18
	s_branch .LBB229_20
.LBB229_19:                             ;   in Loop: Header=BB229_20 Depth=2
	s_or_b64 exec, exec, s[24:25]
	v_add_co_u32_e32 v6, vcc, 64, v6
	v_addc_co_u32_e32 v7, vcc, 0, v7, vcc
	v_cmp_ge_i64_e32 vcc, v[6:7], v[4:5]
	s_or_b64 s[16:17], vcc, s[16:17]
	s_andn2_b64 exec, exec, s[16:17]
	s_cbranch_execz .LBB229_16
.LBB229_20:                             ;   Parent Loop BB229_17 Depth=1
                                        ; =>  This Loop Header: Depth=2
                                        ;       Child Loop BB229_22 Depth 3
	v_lshlrev_b64 v[18:19], 2, v[6:7]
	v_mov_b32_e32 v20, s9
	v_add_co_u32_e32 v18, vcc, s8, v18
	v_addc_co_u32_e32 v19, vcc, v20, v19, vcc
	global_load_dword v20, v[18:19], off
	v_lshlrev_b64 v[18:19], 3, v[6:7]
	v_mov_b32_e32 v21, s11
	v_add_co_u32_e32 v18, vcc, s10, v18
	v_addc_co_u32_e32 v19, vcc, v21, v19, vcc
	global_load_dwordx2 v[22:23], v[18:19], off
	s_mov_b64 s[24:25], 0
	s_waitcnt vmcnt(1)
	v_subrev_u32_e32 v18, s45, v20
	v_mul_lo_u32 v21, v18, s19
	v_and_b32_e32 v21, 0xfff, v21
	s_waitcnt vmcnt(0)
	v_mul_f32_e64 v19, v23, -v17
	v_mul_f32_e32 v20, v16, v23
	v_fmac_f32_e32 v19, v16, v22
	v_fmac_f32_e32 v20, v17, v22
	s_branch .LBB229_22
.LBB229_21:                             ;   in Loop: Header=BB229_22 Depth=3
	s_or_b64 exec, exec, s[26:27]
	s_xor_b64 s[26:27], s[30:31], -1
	s_and_b64 s[26:27], exec, s[26:27]
	s_or_b64 s[24:25], s[26:27], s[24:25]
	s_andn2_b64 exec, exec, s[24:25]
	s_cbranch_execz .LBB229_19
.LBB229_22:                             ;   Parent Loop BB229_17 Depth=1
                                        ;     Parent Loop BB229_20 Depth=2
                                        ; =>    This Inner Loop Header: Depth=3
	v_lshl_add_u32 v22, v21, 2, 0
	ds_read_b32 v23, v22
                                        ; implicit-def: $sgpr30_sgpr31
	s_waitcnt lgkmcnt(0)
	v_cmp_ne_u32_e32 vcc, v23, v18
	s_and_saveexec_b64 s[26:27], vcc
	s_xor_b64 s[26:27], exec, s[26:27]
	s_cbranch_execz .LBB229_30
; %bb.23:                               ;   in Loop: Header=BB229_22 Depth=3
	v_cmp_ne_u32_e32 vcc, s33, v23
                                        ; implicit-def: $sgpr30_sgpr31
	s_and_saveexec_b64 s[50:51], vcc
	s_xor_b64 s[50:51], exec, s[50:51]
; %bb.24:                               ;   in Loop: Header=BB229_22 Depth=3
	v_add_u32_e32 v21, 1, v21
	v_and_b32_e32 v21, 0xfff, v21
	s_mov_b64 s[30:31], -1
                                        ; implicit-def: $vgpr22
; %bb.25:                               ;   in Loop: Header=BB229_22 Depth=3
	s_andn2_saveexec_b64 s[50:51], s[50:51]
	s_cbranch_execz .LBB229_29
; %bb.26:                               ;   in Loop: Header=BB229_22 Depth=3
	v_mov_b32_e32 v23, s33
	ds_cmpst_rtn_b32 v23, v22, v23, v18
	s_mov_b64 s[52:53], -1
	s_waitcnt lgkmcnt(0)
	v_cmp_eq_u32_e32 vcc, s33, v23
	s_and_saveexec_b64 s[54:55], vcc
	s_cbranch_execz .LBB229_28
; %bb.27:                               ;   in Loop: Header=BB229_22 Depth=3
	v_lshl_add_u32 v22, v21, 2, v22
	ds_add_f32 v22, v19 offset:16384
	ds_add_f32 v22, v20 offset:16388
	s_xor_b64 s[52:53], exec, -1
.LBB229_28:                             ;   in Loop: Header=BB229_22 Depth=3
	s_or_b64 exec, exec, s[54:55]
	s_andn2_b64 s[30:31], s[30:31], exec
	s_and_b64 s[52:53], s[52:53], exec
	s_or_b64 s[30:31], s[30:31], s[52:53]
.LBB229_29:                             ;   in Loop: Header=BB229_22 Depth=3
	s_or_b64 exec, exec, s[50:51]
	s_and_b64 s[30:31], s[30:31], exec
                                        ; implicit-def: $vgpr22
.LBB229_30:                             ;   in Loop: Header=BB229_22 Depth=3
	s_andn2_saveexec_b64 s[26:27], s[26:27]
	s_cbranch_execz .LBB229_21
; %bb.31:                               ;   in Loop: Header=BB229_22 Depth=3
	v_lshl_add_u32 v22, v21, 2, v22
	ds_add_f32 v22, v19 offset:16384
	ds_add_f32 v22, v20 offset:16388
	s_andn2_b64 s[30:31], s[30:31], exec
	s_branch .LBB229_21
.LBB229_32:
	s_or_b64 exec, exec, s[4:5]
.LBB229_33:
	s_andn2_b64 vcc, exec, s[28:29]
	s_cbranch_vccnz .LBB229_50
; %bb.34:
	s_waitcnt lgkmcnt(0)
	s_ashr_i32 s49, s48, 31
	s_lshl_b64 s[0:1], s[48:49], 3
	s_add_u32 s0, s14, s0
	s_addc_u32 s1, s15, s1
	s_load_dwordx4 s[4:7], s[0:1], 0x0
	v_subrev_co_u32_e32 v2, vcc, s47, v0
	v_subb_co_u32_e64 v3, s[0:1], 0, 0, vcc
	s_waitcnt lgkmcnt(0)
	s_sub_u32 s0, s6, s47
	v_mov_b32_e32 v4, s5
	v_add_co_u32_e32 v2, vcc, s4, v2
	s_subb_u32 s1, s7, 0
	v_addc_co_u32_e32 v3, vcc, v4, v3, vcc
	v_cmp_gt_i64_e32 vcc, s[0:1], v[2:3]
	s_and_saveexec_b64 s[2:3], vcc
	s_cbranch_execz .LBB229_49
; %bb.35:
	s_mov_b64 s[4:5], 0
	v_mov_b32_e32 v4, s37
	v_mov_b32_e32 v5, s39
	s_movk_i32 s18, 0x89
	s_branch .LBB229_37
.LBB229_36:                             ;   in Loop: Header=BB229_37 Depth=1
	s_or_b64 exec, exec, s[6:7]
	v_add_co_u32_e32 v2, vcc, 0x400, v2
	v_addc_co_u32_e32 v3, vcc, 0, v3, vcc
	v_cmp_le_i64_e32 vcc, s[0:1], v[2:3]
	s_or_b64 s[4:5], vcc, s[4:5]
	s_andn2_b64 exec, exec, s[4:5]
	s_cbranch_execz .LBB229_49
.LBB229_37:                             ; =>This Loop Header: Depth=1
                                        ;     Child Loop BB229_39 Depth 2
	v_lshlrev_b64 v[6:7], 2, v[2:3]
	v_add_co_u32_e32 v6, vcc, s36, v6
	v_addc_co_u32_e32 v7, vcc, v4, v7, vcc
	global_load_dword v11, v[6:7], off
	v_lshlrev_b64 v[6:7], 3, v[2:3]
	v_add_co_u32_e32 v6, vcc, s38, v6
	v_addc_co_u32_e32 v7, vcc, v5, v7, vcc
	global_load_dwordx2 v[12:13], v[6:7], off
	s_mov_b64 s[6:7], 0
	s_waitcnt vmcnt(1)
	v_subrev_u32_e32 v6, s47, v11
	s_waitcnt vmcnt(0)
	v_mul_f32_e64 v7, v13, -s57
	v_mul_f32_e32 v11, s56, v13
	v_fmac_f32_e32 v7, s56, v12
	v_fmac_f32_e32 v11, s57, v12
	v_mul_lo_u32 v12, v6, s18
	v_and_b32_e32 v12, 0xfff, v12
	s_branch .LBB229_39
.LBB229_38:                             ;   in Loop: Header=BB229_39 Depth=2
	s_or_b64 exec, exec, s[8:9]
	s_xor_b64 s[8:9], s[10:11], -1
	s_and_b64 s[8:9], exec, s[8:9]
	s_or_b64 s[6:7], s[8:9], s[6:7]
	s_andn2_b64 exec, exec, s[6:7]
	s_cbranch_execz .LBB229_36
.LBB229_39:                             ;   Parent Loop BB229_37 Depth=1
                                        ; =>  This Inner Loop Header: Depth=2
	v_lshl_add_u32 v13, v12, 2, 0
	ds_read_b32 v14, v13
                                        ; implicit-def: $sgpr10_sgpr11
	s_waitcnt lgkmcnt(0)
	v_cmp_ne_u32_e32 vcc, v14, v6
	s_and_saveexec_b64 s[8:9], vcc
	s_xor_b64 s[8:9], exec, s[8:9]
	s_cbranch_execz .LBB229_47
; %bb.40:                               ;   in Loop: Header=BB229_39 Depth=2
	v_cmp_ne_u32_e32 vcc, s33, v14
                                        ; implicit-def: $sgpr10_sgpr11
	s_and_saveexec_b64 s[12:13], vcc
	s_xor_b64 s[12:13], exec, s[12:13]
; %bb.41:                               ;   in Loop: Header=BB229_39 Depth=2
	v_add_u32_e32 v12, 1, v12
	v_and_b32_e32 v12, 0xfff, v12
	s_mov_b64 s[10:11], -1
                                        ; implicit-def: $vgpr13
; %bb.42:                               ;   in Loop: Header=BB229_39 Depth=2
	s_andn2_saveexec_b64 s[12:13], s[12:13]
	s_cbranch_execz .LBB229_46
; %bb.43:                               ;   in Loop: Header=BB229_39 Depth=2
	v_mov_b32_e32 v14, s33
	ds_cmpst_rtn_b32 v14, v13, v14, v6
	s_mov_b64 s[14:15], -1
	s_waitcnt lgkmcnt(0)
	v_cmp_eq_u32_e32 vcc, s33, v14
	s_and_saveexec_b64 s[16:17], vcc
	s_cbranch_execz .LBB229_45
; %bb.44:                               ;   in Loop: Header=BB229_39 Depth=2
	v_lshl_add_u32 v13, v12, 2, v13
	ds_add_f32 v13, v7 offset:16384
	ds_add_f32 v13, v11 offset:16388
	s_xor_b64 s[14:15], exec, -1
.LBB229_45:                             ;   in Loop: Header=BB229_39 Depth=2
	s_or_b64 exec, exec, s[16:17]
	s_andn2_b64 s[10:11], s[10:11], exec
	s_and_b64 s[14:15], s[14:15], exec
	s_or_b64 s[10:11], s[10:11], s[14:15]
.LBB229_46:                             ;   in Loop: Header=BB229_39 Depth=2
	s_or_b64 exec, exec, s[12:13]
	s_and_b64 s[10:11], s[10:11], exec
                                        ; implicit-def: $vgpr13
.LBB229_47:                             ;   in Loop: Header=BB229_39 Depth=2
	s_andn2_saveexec_b64 s[8:9], s[8:9]
	s_cbranch_execz .LBB229_38
; %bb.48:                               ;   in Loop: Header=BB229_39 Depth=2
	v_lshl_add_u32 v13, v12, 2, v13
	ds_add_f32 v13, v7 offset:16384
	ds_add_f32 v13, v11 offset:16388
	s_andn2_b64 s[10:11], s[10:11], exec
	s_branch .LBB229_38
.LBB229_49:
	s_or_b64 exec, exec, s[2:3]
.LBB229_50:
	v_mbcnt_lo_u32_b32 v2, -1, 0
	v_mbcnt_hi_u32_b32 v2, -1, v2
	v_sub_u32_e32 v2, 63, v2
	s_movk_i32 s0, 0x3ff
	s_movk_i32 s2, 0x7f
	;; [unrolled: 1-line block ×15, first 2 shown]
	v_mov_b32_e32 v6, 0
	v_lshrrev_b64 v[2:3], v2, -1
	v_lshl_add_u32 v7, v10, 2, 0
	v_cmp_eq_u32_e32 vcc, s0, v0
	v_cmp_lt_u32_e64 s[0:1], 63, v0
	v_cmp_lt_u32_e64 s[2:3], s2, v0
	;; [unrolled: 1-line block ×15, first 2 shown]
	s_mov_b64 s[36:37], 0
	s_movk_i32 s44, 0xbff
	v_mov_b32_e32 v10, 0
	s_waitcnt lgkmcnt(0)
	s_barrier
	s_branch .LBB229_52
.LBB229_51:                             ;   in Loop: Header=BB229_52 Depth=1
	s_or_b64 exec, exec, s[30:31]
	s_waitcnt lgkmcnt(0)
	s_barrier
	ds_read_b32 v4, v6 offset:49212
	v_add_u32_e32 v8, 0x400, v8
	v_cmp_lt_u32_e64 s[30:31], s44, v8
	v_add_u32_e32 v1, 0x2000, v1
	s_or_b64 s[36:37], s[30:31], s[36:37]
	s_waitcnt lgkmcnt(0)
	v_add_u32_e32 v10, v4, v10
	v_add_u32_e32 v9, 0x1000, v9
	s_andn2_b64 exec, exec, s[36:37]
	s_cbranch_execz .LBB229_86
.LBB229_52:                             ; =>This Inner Loop Header: Depth=1
	ds_read_b32 v11, v9
	ds_read2_b32 v[4:5], v1 offset1:1
	s_waitcnt lgkmcnt(0)
	s_barrier
	v_cmp_gt_i32_e64 s[30:31], s33, v11
	v_and_b32_e32 v13, s30, v2
	s_bcnt1_i32_b64 s38, s[30:31]
	v_and_b32_e32 v12, s31, v3
	v_bcnt_u32_b32 v13, v13, 0
	v_bcnt_u32_b32 v12, v12, v13
	v_mov_b32_e32 v13, s38
	ds_write_b32 v7, v13 offset:49152
	s_waitcnt lgkmcnt(0)
	s_barrier
	s_and_saveexec_b64 s[38:39], s[0:1]
	s_cbranch_execnz .LBB229_69
; %bb.53:                               ;   in Loop: Header=BB229_52 Depth=1
	s_or_b64 exec, exec, s[38:39]
	s_and_saveexec_b64 s[38:39], s[2:3]
	s_cbranch_execnz .LBB229_70
.LBB229_54:                             ;   in Loop: Header=BB229_52 Depth=1
	s_or_b64 exec, exec, s[38:39]
	s_and_saveexec_b64 s[38:39], s[4:5]
	s_cbranch_execnz .LBB229_71
.LBB229_55:                             ;   in Loop: Header=BB229_52 Depth=1
	s_or_b64 exec, exec, s[38:39]
	s_and_saveexec_b64 s[38:39], s[6:7]
	s_cbranch_execnz .LBB229_72
.LBB229_56:                             ;   in Loop: Header=BB229_52 Depth=1
	s_or_b64 exec, exec, s[38:39]
	s_and_saveexec_b64 s[38:39], s[8:9]
	s_cbranch_execnz .LBB229_73
.LBB229_57:                             ;   in Loop: Header=BB229_52 Depth=1
	s_or_b64 exec, exec, s[38:39]
	s_and_saveexec_b64 s[38:39], s[10:11]
	s_cbranch_execnz .LBB229_74
.LBB229_58:                             ;   in Loop: Header=BB229_52 Depth=1
	s_or_b64 exec, exec, s[38:39]
	s_and_saveexec_b64 s[38:39], s[12:13]
	s_cbranch_execnz .LBB229_75
.LBB229_59:                             ;   in Loop: Header=BB229_52 Depth=1
	s_or_b64 exec, exec, s[38:39]
	s_and_saveexec_b64 s[38:39], s[14:15]
	s_cbranch_execnz .LBB229_76
.LBB229_60:                             ;   in Loop: Header=BB229_52 Depth=1
	s_or_b64 exec, exec, s[38:39]
	s_and_saveexec_b64 s[38:39], s[16:17]
	s_cbranch_execnz .LBB229_77
.LBB229_61:                             ;   in Loop: Header=BB229_52 Depth=1
	s_or_b64 exec, exec, s[38:39]
	s_and_saveexec_b64 s[38:39], s[18:19]
	s_cbranch_execnz .LBB229_78
.LBB229_62:                             ;   in Loop: Header=BB229_52 Depth=1
	s_or_b64 exec, exec, s[38:39]
	s_and_saveexec_b64 s[38:39], s[20:21]
	s_cbranch_execnz .LBB229_79
.LBB229_63:                             ;   in Loop: Header=BB229_52 Depth=1
	s_or_b64 exec, exec, s[38:39]
	s_and_saveexec_b64 s[38:39], s[22:23]
	s_cbranch_execnz .LBB229_80
.LBB229_64:                             ;   in Loop: Header=BB229_52 Depth=1
	s_or_b64 exec, exec, s[38:39]
	s_and_saveexec_b64 s[38:39], s[24:25]
	s_cbranch_execnz .LBB229_81
.LBB229_65:                             ;   in Loop: Header=BB229_52 Depth=1
	s_or_b64 exec, exec, s[38:39]
	s_and_saveexec_b64 s[38:39], s[26:27]
	s_cbranch_execnz .LBB229_82
.LBB229_66:                             ;   in Loop: Header=BB229_52 Depth=1
	s_or_b64 exec, exec, s[38:39]
	s_and_saveexec_b64 s[38:39], s[28:29]
	s_cbranch_execnz .LBB229_83
.LBB229_67:                             ;   in Loop: Header=BB229_52 Depth=1
	s_or_b64 exec, exec, s[38:39]
	s_and_saveexec_b64 s[38:39], s[30:31]
	s_cbranch_execnz .LBB229_84
.LBB229_68:                             ;   in Loop: Header=BB229_52 Depth=1
	s_or_b64 exec, exec, s[38:39]
	s_and_saveexec_b64 s[30:31], vcc
	s_cbranch_execz .LBB229_51
	s_branch .LBB229_85
.LBB229_69:                             ;   in Loop: Header=BB229_52 Depth=1
	ds_read_b32 v13, v6 offset:49152
	s_waitcnt lgkmcnt(0)
	v_add_u32_e32 v12, v13, v12
	s_or_b64 exec, exec, s[38:39]
	s_and_saveexec_b64 s[38:39], s[2:3]
	s_cbranch_execz .LBB229_54
.LBB229_70:                             ;   in Loop: Header=BB229_52 Depth=1
	ds_read_b32 v13, v6 offset:49156
	s_waitcnt lgkmcnt(0)
	v_add_u32_e32 v12, v13, v12
	s_or_b64 exec, exec, s[38:39]
	s_and_saveexec_b64 s[38:39], s[4:5]
	s_cbranch_execz .LBB229_55
.LBB229_71:                             ;   in Loop: Header=BB229_52 Depth=1
	ds_read_b32 v13, v6 offset:49160
	s_waitcnt lgkmcnt(0)
	v_add_u32_e32 v12, v13, v12
	s_or_b64 exec, exec, s[38:39]
	s_and_saveexec_b64 s[38:39], s[6:7]
	s_cbranch_execz .LBB229_56
.LBB229_72:                             ;   in Loop: Header=BB229_52 Depth=1
	ds_read_b32 v13, v6 offset:49164
	s_waitcnt lgkmcnt(0)
	v_add_u32_e32 v12, v13, v12
	s_or_b64 exec, exec, s[38:39]
	s_and_saveexec_b64 s[38:39], s[8:9]
	s_cbranch_execz .LBB229_57
.LBB229_73:                             ;   in Loop: Header=BB229_52 Depth=1
	ds_read_b32 v13, v6 offset:49168
	s_waitcnt lgkmcnt(0)
	v_add_u32_e32 v12, v13, v12
	s_or_b64 exec, exec, s[38:39]
	s_and_saveexec_b64 s[38:39], s[10:11]
	s_cbranch_execz .LBB229_58
.LBB229_74:                             ;   in Loop: Header=BB229_52 Depth=1
	ds_read_b32 v13, v6 offset:49172
	s_waitcnt lgkmcnt(0)
	v_add_u32_e32 v12, v13, v12
	s_or_b64 exec, exec, s[38:39]
	s_and_saveexec_b64 s[38:39], s[12:13]
	s_cbranch_execz .LBB229_59
.LBB229_75:                             ;   in Loop: Header=BB229_52 Depth=1
	ds_read_b32 v13, v6 offset:49176
	s_waitcnt lgkmcnt(0)
	v_add_u32_e32 v12, v13, v12
	s_or_b64 exec, exec, s[38:39]
	s_and_saveexec_b64 s[38:39], s[14:15]
	s_cbranch_execz .LBB229_60
.LBB229_76:                             ;   in Loop: Header=BB229_52 Depth=1
	ds_read_b32 v13, v6 offset:49180
	s_waitcnt lgkmcnt(0)
	v_add_u32_e32 v12, v13, v12
	s_or_b64 exec, exec, s[38:39]
	s_and_saveexec_b64 s[38:39], s[16:17]
	s_cbranch_execz .LBB229_61
.LBB229_77:                             ;   in Loop: Header=BB229_52 Depth=1
	ds_read_b32 v13, v6 offset:49184
	s_waitcnt lgkmcnt(0)
	v_add_u32_e32 v12, v13, v12
	s_or_b64 exec, exec, s[38:39]
	s_and_saveexec_b64 s[38:39], s[18:19]
	s_cbranch_execz .LBB229_62
.LBB229_78:                             ;   in Loop: Header=BB229_52 Depth=1
	ds_read_b32 v13, v6 offset:49188
	s_waitcnt lgkmcnt(0)
	v_add_u32_e32 v12, v13, v12
	s_or_b64 exec, exec, s[38:39]
	s_and_saveexec_b64 s[38:39], s[20:21]
	s_cbranch_execz .LBB229_63
.LBB229_79:                             ;   in Loop: Header=BB229_52 Depth=1
	ds_read_b32 v13, v6 offset:49192
	s_waitcnt lgkmcnt(0)
	v_add_u32_e32 v12, v13, v12
	s_or_b64 exec, exec, s[38:39]
	s_and_saveexec_b64 s[38:39], s[22:23]
	s_cbranch_execz .LBB229_64
.LBB229_80:                             ;   in Loop: Header=BB229_52 Depth=1
	ds_read_b32 v13, v6 offset:49196
	s_waitcnt lgkmcnt(0)
	v_add_u32_e32 v12, v13, v12
	s_or_b64 exec, exec, s[38:39]
	s_and_saveexec_b64 s[38:39], s[24:25]
	s_cbranch_execz .LBB229_65
.LBB229_81:                             ;   in Loop: Header=BB229_52 Depth=1
	ds_read_b32 v13, v6 offset:49200
	s_waitcnt lgkmcnt(0)
	v_add_u32_e32 v12, v13, v12
	s_or_b64 exec, exec, s[38:39]
	s_and_saveexec_b64 s[38:39], s[26:27]
	s_cbranch_execz .LBB229_66
.LBB229_82:                             ;   in Loop: Header=BB229_52 Depth=1
	ds_read_b32 v13, v6 offset:49204
	s_waitcnt lgkmcnt(0)
	v_add_u32_e32 v12, v13, v12
	s_or_b64 exec, exec, s[38:39]
	s_and_saveexec_b64 s[38:39], s[28:29]
	s_cbranch_execz .LBB229_67
.LBB229_83:                             ;   in Loop: Header=BB229_52 Depth=1
	ds_read_b32 v13, v6 offset:49208
	s_waitcnt lgkmcnt(0)
	v_add_u32_e32 v12, v13, v12
	s_or_b64 exec, exec, s[38:39]
	s_and_saveexec_b64 s[38:39], s[30:31]
	s_cbranch_execz .LBB229_68
.LBB229_84:                             ;   in Loop: Header=BB229_52 Depth=1
	v_add3_u32 v13, v10, -1, v12
	v_lshl_add_u32 v14, v13, 2, 0
	v_lshl_add_u32 v13, v13, 3, 0
	v_add_u32_e32 v13, 0x4000, v13
	ds_write_b32 v14, v11
	ds_write2_b32 v13, v4, v5 offset1:1
	s_or_b64 exec, exec, s[38:39]
	s_and_saveexec_b64 s[30:31], vcc
	s_cbranch_execz .LBB229_51
.LBB229_85:                             ;   in Loop: Header=BB229_52 Depth=1
	ds_write_b32 v6, v12 offset:49212
	s_branch .LBB229_51
.LBB229_86:
	s_or_b64 exec, exec, s[36:37]
	s_ashr_i32 s49, s48, 31
	s_lshl_b64 s[0:1], s[48:49], 3
	s_add_u32 s0, s40, s0
	s_addc_u32 s1, s41, s1
	s_load_dwordx4 s[0:3], s[0:1], 0x0
	s_waitcnt lgkmcnt(0)
	s_sub_i32 s8, s2, s0
	v_cmp_gt_i32_e32 vcc, s8, v0
	s_and_saveexec_b64 s[4:5], vcc
	s_cbranch_execz .LBB229_96
; %bb.87:
	s_sub_u32 s4, s0, s46
	s_subb_u32 s5, s1, 0
	s_and_b32 s9, s8, 7
	s_sub_i32 s0, s0, s2
	s_cmp_lt_u32 s0, -7
	s_cselect_b64 s[0:1], -1, 0
	s_and_b32 s10, s8, -8
	s_cmp_lg_u32 s9, 0
	v_cndmask_b32_e64 v1, 0, 1, s[0:1]
	s_cselect_b64 s[2:3], -1, 0
	v_cmp_ne_u32_e64 s[0:1], 1, v1
	v_cndmask_b32_e64 v1, 0, 1, s[2:3]
	s_mov_b64 s[6:7], 0
	s_movk_i32 s11, 0x4000
	v_cmp_ne_u32_e64 s[2:3], 1, v1
	s_branch .LBB229_89
.LBB229_88:                             ;   in Loop: Header=BB229_89 Depth=1
	v_lshlrev_b64 v[6:7], 2, v[4:5]
	v_mov_b32_e32 v8, s43
	v_add_co_u32_e32 v6, vcc, s42, v6
	s_waitcnt lgkmcnt(1)
	v_add_u32_e32 v1, s46, v1
	v_addc_co_u32_e32 v7, vcc, v8, v7, vcc
	v_lshlrev_b64 v[4:5], 3, v[4:5]
	global_store_dword v[6:7], v1, off
	v_mov_b32_e32 v1, s35
	v_add_co_u32_e32 v4, vcc, s34, v4
	v_addc_co_u32_e32 v5, vcc, v1, v5, vcc
	v_add_u32_e32 v0, 0x400, v0
	v_cmp_le_i32_e32 vcc, s8, v0
	s_or_b64 s[6:7], vcc, s[6:7]
	s_waitcnt lgkmcnt(0)
	global_store_dwordx2 v[4:5], v[2:3], off
	s_andn2_b64 exec, exec, s[6:7]
	s_cbranch_execz .LBB229_96
.LBB229_89:                             ; =>This Loop Header: Depth=1
                                        ;     Child Loop BB229_91 Depth 2
                                        ;     Child Loop BB229_95 Depth 2
	v_lshlrev_b32_e32 v1, 2, v0
	v_add_u32_e32 v2, 0, v1
	v_add3_u32 v3, v2, v1, s11
	ds_read_b32 v1, v2
	ds_read2_b32 v[2:3], v3 offset1:1
	s_and_b64 vcc, exec, s[0:1]
	v_pk_mov_b32 v[4:5], s[4:5], s[4:5] op_sel:[0,1]
	s_mov_b32 s12, 0
	s_cbranch_vccnz .LBB229_93
; %bb.90:                               ;   in Loop: Header=BB229_89 Depth=1
	s_mov_b32 s13, 0
	v_pk_mov_b32 v[4:5], s[4:5], s[4:5] op_sel:[0,1]
.LBB229_91:                             ;   Parent Loop BB229_89 Depth=1
                                        ; =>  This Inner Loop Header: Depth=2
	v_mov_b32_e32 v12, s13
	ds_read2_b32 v[6:7], v12 offset1:1
	ds_read2_b32 v[8:9], v12 offset0:2 offset1:3
	ds_read2_b32 v[10:11], v12 offset0:4 offset1:5
	;; [unrolled: 1-line block ×3, first 2 shown]
	s_add_i32 s12, s12, 8
	s_waitcnt lgkmcnt(3)
	v_cmp_gt_i32_e32 vcc, v1, v6
	v_cndmask_b32_e64 v6, 0, 1, vcc
	v_cmp_gt_i32_e32 vcc, v1, v7
	v_cndmask_b32_e64 v7, 0, 1, vcc
	s_waitcnt lgkmcnt(2)
	v_cmp_gt_i32_e32 vcc, v1, v8
	v_cndmask_b32_e64 v8, 0, 1, vcc
	v_cmp_gt_i32_e32 vcc, v1, v9
	v_cndmask_b32_e64 v9, 0, 1, vcc
	;; [unrolled: 5-line block ×4, first 2 shown]
	v_add_co_u32_e32 v4, vcc, v4, v6
	v_addc_co_u32_e32 v5, vcc, 0, v5, vcc
	v_add_co_u32_e32 v4, vcc, v4, v7
	v_addc_co_u32_e32 v5, vcc, 0, v5, vcc
	;; [unrolled: 2-line block ×7, first 2 shown]
	s_add_i32 s13, s13, 32
	v_add_co_u32_e32 v4, vcc, v4, v13
	s_cmp_eq_u32 s10, s12
	v_addc_co_u32_e32 v5, vcc, 0, v5, vcc
	s_cbranch_scc0 .LBB229_91
; %bb.92:                               ;   in Loop: Header=BB229_89 Depth=1
	s_mov_b32 s12, s10
.LBB229_93:                             ;   in Loop: Header=BB229_89 Depth=1
	s_and_b64 vcc, exec, s[2:3]
	s_cbranch_vccnz .LBB229_88
; %bb.94:                               ;   in Loop: Header=BB229_89 Depth=1
	s_lshl_b32 s12, s12, 2
	s_add_i32 s12, s12, 0
	s_mov_b32 s13, s9
.LBB229_95:                             ;   Parent Loop BB229_89 Depth=1
                                        ; =>  This Inner Loop Header: Depth=2
	v_mov_b32_e32 v6, s12
	ds_read_b32 v6, v6
	s_add_i32 s12, s12, 4
	s_add_i32 s13, s13, -1
	s_cmp_lg_u32 s13, 0
	s_waitcnt lgkmcnt(0)
	v_cmp_gt_i32_e32 vcc, v1, v6
	v_cndmask_b32_e64 v6, 0, 1, vcc
	v_add_co_u32_e32 v4, vcc, v4, v6
	v_addc_co_u32_e32 v5, vcc, 0, v5, vcc
	s_cbranch_scc1 .LBB229_95
	s_branch .LBB229_88
.LBB229_96:
	s_endpgm
	.section	.rodata,"a",@progbits
	.p2align	6, 0x0
	.amdhsa_kernel _ZN9rocsparseL26csrgemm_fill_block_per_rowILj1024ELj64ELj4096ELj137ELj64Eli21rocsparse_complex_numIfEEEvT5_PKS3_S5_NS_24const_host_device_scalarIT6_EEPKT4_S5_PKS7_SB_S5_SD_S8_SB_S5_SD_SB_PS3_PS7_21rocsparse_index_base_SG_SG_SG_bbb
		.amdhsa_group_segment_fixed_size 0
		.amdhsa_private_segment_fixed_size 0
		.amdhsa_kernarg_size 156
		.amdhsa_user_sgpr_count 6
		.amdhsa_user_sgpr_private_segment_buffer 1
		.amdhsa_user_sgpr_dispatch_ptr 0
		.amdhsa_user_sgpr_queue_ptr 0
		.amdhsa_user_sgpr_kernarg_segment_ptr 1
		.amdhsa_user_sgpr_dispatch_id 0
		.amdhsa_user_sgpr_flat_scratch_init 0
		.amdhsa_user_sgpr_kernarg_preload_length 0
		.amdhsa_user_sgpr_kernarg_preload_offset 0
		.amdhsa_user_sgpr_private_segment_size 0
		.amdhsa_uses_dynamic_stack 0
		.amdhsa_system_sgpr_private_segment_wavefront_offset 0
		.amdhsa_system_sgpr_workgroup_id_x 1
		.amdhsa_system_sgpr_workgroup_id_y 0
		.amdhsa_system_sgpr_workgroup_id_z 0
		.amdhsa_system_sgpr_workgroup_info 0
		.amdhsa_system_vgpr_workitem_id 0
		.amdhsa_next_free_vgpr 24
		.amdhsa_next_free_sgpr 59
		.amdhsa_accum_offset 24
		.amdhsa_reserve_vcc 1
		.amdhsa_reserve_flat_scratch 0
		.amdhsa_float_round_mode_32 0
		.amdhsa_float_round_mode_16_64 0
		.amdhsa_float_denorm_mode_32 3
		.amdhsa_float_denorm_mode_16_64 3
		.amdhsa_dx10_clamp 1
		.amdhsa_ieee_mode 1
		.amdhsa_fp16_overflow 0
		.amdhsa_tg_split 0
		.amdhsa_exception_fp_ieee_invalid_op 0
		.amdhsa_exception_fp_denorm_src 0
		.amdhsa_exception_fp_ieee_div_zero 0
		.amdhsa_exception_fp_ieee_overflow 0
		.amdhsa_exception_fp_ieee_underflow 0
		.amdhsa_exception_fp_ieee_inexact 0
		.amdhsa_exception_int_div_zero 0
	.end_amdhsa_kernel
	.section	.text._ZN9rocsparseL26csrgemm_fill_block_per_rowILj1024ELj64ELj4096ELj137ELj64Eli21rocsparse_complex_numIfEEEvT5_PKS3_S5_NS_24const_host_device_scalarIT6_EEPKT4_S5_PKS7_SB_S5_SD_S8_SB_S5_SD_SB_PS3_PS7_21rocsparse_index_base_SG_SG_SG_bbb,"axG",@progbits,_ZN9rocsparseL26csrgemm_fill_block_per_rowILj1024ELj64ELj4096ELj137ELj64Eli21rocsparse_complex_numIfEEEvT5_PKS3_S5_NS_24const_host_device_scalarIT6_EEPKT4_S5_PKS7_SB_S5_SD_S8_SB_S5_SD_SB_PS3_PS7_21rocsparse_index_base_SG_SG_SG_bbb,comdat
.Lfunc_end229:
	.size	_ZN9rocsparseL26csrgemm_fill_block_per_rowILj1024ELj64ELj4096ELj137ELj64Eli21rocsparse_complex_numIfEEEvT5_PKS3_S5_NS_24const_host_device_scalarIT6_EEPKT4_S5_PKS7_SB_S5_SD_S8_SB_S5_SD_SB_PS3_PS7_21rocsparse_index_base_SG_SG_SG_bbb, .Lfunc_end229-_ZN9rocsparseL26csrgemm_fill_block_per_rowILj1024ELj64ELj4096ELj137ELj64Eli21rocsparse_complex_numIfEEEvT5_PKS3_S5_NS_24const_host_device_scalarIT6_EEPKT4_S5_PKS7_SB_S5_SD_S8_SB_S5_SD_SB_PS3_PS7_21rocsparse_index_base_SG_SG_SG_bbb
                                        ; -- End function
	.section	.AMDGPU.csdata,"",@progbits
; Kernel info:
; codeLenInByte = 3252
; NumSgprs: 63
; NumVgprs: 24
; NumAgprs: 0
; TotalNumVgprs: 24
; ScratchSize: 0
; MemoryBound: 0
; FloatMode: 240
; IeeeMode: 1
; LDSByteSize: 0 bytes/workgroup (compile time only)
; SGPRBlocks: 7
; VGPRBlocks: 2
; NumSGPRsForWavesPerEU: 63
; NumVGPRsForWavesPerEU: 24
; AccumOffset: 24
; Occupancy: 8
; WaveLimiterHint : 1
; COMPUTE_PGM_RSRC2:SCRATCH_EN: 0
; COMPUTE_PGM_RSRC2:USER_SGPR: 6
; COMPUTE_PGM_RSRC2:TRAP_HANDLER: 0
; COMPUTE_PGM_RSRC2:TGID_X_EN: 1
; COMPUTE_PGM_RSRC2:TGID_Y_EN: 0
; COMPUTE_PGM_RSRC2:TGID_Z_EN: 0
; COMPUTE_PGM_RSRC2:TIDIG_COMP_CNT: 0
; COMPUTE_PGM_RSRC3_GFX90A:ACCUM_OFFSET: 5
; COMPUTE_PGM_RSRC3_GFX90A:TG_SPLIT: 0
	.section	.text._ZN9rocsparseL26csrgemm_fill_block_per_rowILj1024ELj64ELj8192ELj137ELj32Eli21rocsparse_complex_numIfEEEvT5_PKS3_S5_NS_24const_host_device_scalarIT6_EEPKT4_S5_PKS7_SB_S5_SD_S8_SB_S5_SD_SB_PS3_PS7_21rocsparse_index_base_SG_SG_SG_bbb,"axG",@progbits,_ZN9rocsparseL26csrgemm_fill_block_per_rowILj1024ELj64ELj8192ELj137ELj32Eli21rocsparse_complex_numIfEEEvT5_PKS3_S5_NS_24const_host_device_scalarIT6_EEPKT4_S5_PKS7_SB_S5_SD_S8_SB_S5_SD_SB_PS3_PS7_21rocsparse_index_base_SG_SG_SG_bbb,comdat
	.globl	_ZN9rocsparseL26csrgemm_fill_block_per_rowILj1024ELj64ELj8192ELj137ELj32Eli21rocsparse_complex_numIfEEEvT5_PKS3_S5_NS_24const_host_device_scalarIT6_EEPKT4_S5_PKS7_SB_S5_SD_S8_SB_S5_SD_SB_PS3_PS7_21rocsparse_index_base_SG_SG_SG_bbb ; -- Begin function _ZN9rocsparseL26csrgemm_fill_block_per_rowILj1024ELj64ELj8192ELj137ELj32Eli21rocsparse_complex_numIfEEEvT5_PKS3_S5_NS_24const_host_device_scalarIT6_EEPKT4_S5_PKS7_SB_S5_SD_S8_SB_S5_SD_SB_PS3_PS7_21rocsparse_index_base_SG_SG_SG_bbb
	.p2align	8
	.type	_ZN9rocsparseL26csrgemm_fill_block_per_rowILj1024ELj64ELj8192ELj137ELj32Eli21rocsparse_complex_numIfEEEvT5_PKS3_S5_NS_24const_host_device_scalarIT6_EEPKT4_S5_PKS7_SB_S5_SD_S8_SB_S5_SD_SB_PS3_PS7_21rocsparse_index_base_SG_SG_SG_bbb,@function
_ZN9rocsparseL26csrgemm_fill_block_per_rowILj1024ELj64ELj8192ELj137ELj32Eli21rocsparse_complex_numIfEEEvT5_PKS3_S5_NS_24const_host_device_scalarIT6_EEPKT4_S5_PKS7_SB_S5_SD_S8_SB_S5_SD_SB_PS3_PS7_21rocsparse_index_base_SG_SG_SG_bbb: ; @_ZN9rocsparseL26csrgemm_fill_block_per_rowILj1024ELj64ELj8192ELj137ELj32Eli21rocsparse_complex_numIfEEEvT5_PKS3_S5_NS_24const_host_device_scalarIT6_EEPKT4_S5_PKS7_SB_S5_SD_S8_SB_S5_SD_SB_PS3_PS7_21rocsparse_index_base_SG_SG_SG_bbb
; %bb.0:
	s_load_dwordx8 s[48:55], s[4:5], 0x60
	s_load_dwordx8 s[8:15], s[4:5], 0x40
	s_load_dword s7, s[4:5], 0x98
	s_load_dwordx4 s[24:27], s[4:5], 0x8
	s_load_dwordx8 s[16:23], s[4:5], 0x20
	s_load_dwordx2 s[0:1], s[4:5], 0x80
                                        ; implicit-def: $vgpr21 : SGPR spill to VGPR lane
	s_load_dwordx4 s[72:75], s[4:5], 0x88
	s_waitcnt lgkmcnt(0)
	s_bitcmp1_b32 s7, 0
	s_cselect_b64 s[30:31], -1, 0
	s_bitcmp1_b32 s7, 16
	v_writelane_b32 v21, s0, 0
	v_writelane_b32 v21, s1, 1
	s_cselect_b64 s[0:1], -1, 0
	s_xor_b64 s[0:1], s[0:1], -1
	v_cndmask_b32_e64 v1, 0, 1, s[0:1]
	s_mov_b32 s3, 0
	s_bitcmp0_b32 s7, 0
	v_cmp_ne_u32_e64 s[0:1], 1, v1
	s_mov_b32 s42, 0
	s_cbranch_scc1 .LBB230_5
; %bb.1:
	s_load_dwordx2 s[2:3], s[4:5], 0x18
	s_and_b64 vcc, exec, s[0:1]
	s_waitcnt lgkmcnt(0)
	s_mov_b32 s42, s2
	s_cbranch_vccnz .LBB230_3
; %bb.2:
	s_load_dword s42, s[2:3], 0x0
.LBB230_3:
	s_and_b64 vcc, exec, s[0:1]
	s_cbranch_vccnz .LBB230_5
; %bb.4:
	s_load_dword s3, s[2:3], 0x4
.LBB230_5:
	s_bitcmp1_b32 s7, 8
	s_cselect_b64 s[28:29], -1, 0
	s_bfe_u32 s2, s7, 0x10008
	s_mov_b32 s41, 0
	s_cmp_eq_u32 s2, 0
	s_mov_b32 s40, 0
	s_cbranch_scc1 .LBB230_11
; %bb.6:
	s_and_b64 vcc, exec, s[0:1]
	s_mov_b32 s40, s12
	s_cbranch_vccnz .LBB230_8
; %bb.7:
	s_load_dword s40, s[12:13], 0x0
.LBB230_8:
	s_and_b64 vcc, exec, s[0:1]
	s_cbranch_vccnz .LBB230_10
; %bb.9:
	s_load_dword s13, s[12:13], 0x4
.LBB230_10:
	s_waitcnt lgkmcnt(0)
	s_mov_b32 s41, s13
.LBB230_11:
	s_load_dword s33, s[4:5], 0x0
	v_lshlrev_b32_e32 v2, 2, v0
	s_mov_b32 s0, 0x8000
	v_add_u32_e32 v1, 0, v2
	v_add3_u32 v2, v1, v2, s0
	v_mov_b32_e32 v4, 0
	s_waitcnt lgkmcnt(0)
	v_mov_b32_e32 v3, s33
	ds_write2_b32 v2, v4, v4 offset1:1
	v_mov_b32_e32 v2, s33
	s_add_i32 s0, 0, 0x8000
	ds_write2st64_b32 v1, v3, v2 offset1:16
	v_lshl_add_u32 v2, v0, 3, s0
	v_add_u32_e32 v3, 0x2000, v2
	v_add_u32_e32 v5, 0x4000, v2
	ds_write2_b32 v3, v4, v4 offset1:1
	v_mov_b32_e32 v3, s33
	ds_write2_b32 v5, v4, v4 offset1:1
	v_mov_b32_e32 v5, s33
	ds_write2st64_b32 v1, v3, v5 offset0:32 offset1:48
	v_add_u32_e32 v3, 0x6000, v2
	v_add_u32_e32 v5, 0x8000, v2
	ds_write2_b32 v3, v4, v4 offset1:1
	v_mov_b32_e32 v3, s33
	ds_write2_b32 v5, v4, v4 offset1:1
	v_mov_b32_e32 v5, s33
	ds_write2st64_b32 v1, v3, v5 offset0:64 offset1:80
	v_add_u32_e32 v3, 0xa000, v2
	v_add_u32_e32 v5, 0xc000, v2
	ds_write2_b32 v3, v4, v4 offset1:1
	v_mov_b32_e32 v3, s33
	ds_write2_b32 v5, v4, v4 offset1:1
	v_mov_b32_e32 v5, s33
	v_add_u32_e32 v2, 0xe000, v2
	ds_write2st64_b32 v1, v3, v5 offset0:96 offset1:112
	ds_write2_b32 v2, v4, v4 offset1:1
	s_waitcnt lgkmcnt(0)
	s_barrier
	s_load_dword s0, s[24:25], 0x0
	s_mov_b32 s1, 0
	s_waitcnt lgkmcnt(0)
	s_add_i32 s0, s0, s6
	s_lshl_b64 s[0:1], s[0:1], 2
	s_add_u32 s0, s26, s0
	s_addc_u32 s1, s27, s1
	s_load_dword s46, s[0:1], 0x0
	s_andn2_b64 vcc, exec, s[30:31]
	s_cbranch_vccnz .LBB230_31
; %bb.12:
	s_waitcnt lgkmcnt(0)
	s_ashr_i32 s47, s46, 31
	s_lshl_b64 s[0:1], s[46:47], 3
	s_add_u32 s0, s16, s0
	s_addc_u32 s1, s17, s1
	s_load_dwordx4 s[4:7], s[0:1], 0x0
	v_lshrrev_b32_e32 v2, 6, v0
	v_subrev_co_u32_e32 v2, vcc, s72, v2
	s_waitcnt lgkmcnt(0)
	s_sub_u32 s0, s6, s72
	s_subb_u32 s1, s7, 0
	v_subb_co_u32_e64 v3, s[6:7], 0, 0, vcc
	v_mov_b32_e32 v4, s5
	v_add_co_u32_e32 v2, vcc, s4, v2
	v_addc_co_u32_e32 v3, vcc, v4, v3, vcc
	v_cmp_gt_i64_e32 vcc, s[0:1], v[2:3]
	s_and_saveexec_b64 s[4:5], vcc
	s_cbranch_execz .LBB230_30
; %bb.13:
	v_and_b32_e32 v4, 63, v0
	v_subrev_co_u32_e32 v8, vcc, s73, v4
	s_mov_b32 s12, 0
	v_subb_co_u32_e64 v9, s[6:7], 0, 0, vcc
	s_mov_b32 s2, s73
	s_mov_b64 s[6:7], 0
	v_mov_b32_e32 v10, s19
	v_mov_b32_e32 v11, s23
	;; [unrolled: 1-line block ×3, first 2 shown]
	s_movk_i32 s19, 0x89
	s_branch .LBB230_15
.LBB230_14:                             ;   in Loop: Header=BB230_15 Depth=1
	s_or_b64 exec, exec, s[12:13]
	v_add_co_u32_e32 v2, vcc, 16, v2
	v_addc_co_u32_e32 v3, vcc, 0, v3, vcc
	v_cmp_le_i64_e32 vcc, s[0:1], v[2:3]
	s_or_b64 s[6:7], vcc, s[6:7]
	s_andn2_b64 exec, exec, s[6:7]
	s_cbranch_execz .LBB230_30
.LBB230_15:                             ; =>This Loop Header: Depth=1
                                        ;     Child Loop BB230_18 Depth 2
                                        ;       Child Loop BB230_20 Depth 3
	v_lshlrev_b64 v[4:5], 2, v[2:3]
	v_add_co_u32_e32 v4, vcc, s18, v4
	v_addc_co_u32_e32 v5, vcc, v10, v5, vcc
	global_load_dword v4, v[4:5], off
	s_waitcnt vmcnt(0)
	v_subrev_u32_e32 v4, s72, v4
	v_ashrrev_i32_e32 v5, 31, v4
	v_lshlrev_b64 v[4:5], 3, v[4:5]
	v_add_co_u32_e32 v4, vcc, s22, v4
	v_addc_co_u32_e32 v5, vcc, v11, v5, vcc
	global_load_dwordx4 v[14:17], v[4:5], off
	s_waitcnt vmcnt(0)
	v_subrev_co_u32_e32 v4, vcc, s2, v16
	v_subb_co_u32_e32 v5, vcc, v17, v12, vcc
	v_add_co_u32_e32 v6, vcc, v14, v8
	v_addc_co_u32_e32 v7, vcc, v15, v9, vcc
	v_cmp_lt_i64_e32 vcc, v[6:7], v[4:5]
	s_and_saveexec_b64 s[12:13], vcc
	s_cbranch_execz .LBB230_14
; %bb.16:                               ;   in Loop: Header=BB230_15 Depth=1
	v_lshlrev_b64 v[14:15], 3, v[2:3]
	v_mov_b32_e32 v13, s21
	v_add_co_u32_e32 v14, vcc, s20, v14
	v_addc_co_u32_e32 v15, vcc, v13, v15, vcc
	global_load_dwordx2 v[16:17], v[14:15], off
	s_mov_b64 s[16:17], 0
	s_waitcnt vmcnt(0)
	v_mul_f32_e64 v13, v17, -s3
	v_mul_f32_e32 v14, s42, v17
	v_fmac_f32_e32 v13, s42, v16
	v_fmac_f32_e32 v14, s3, v16
	s_branch .LBB230_18
.LBB230_17:                             ;   in Loop: Header=BB230_18 Depth=2
	s_or_b64 exec, exec, s[24:25]
	v_add_co_u32_e32 v6, vcc, 64, v6
	v_addc_co_u32_e32 v7, vcc, 0, v7, vcc
	v_cmp_ge_i64_e32 vcc, v[6:7], v[4:5]
	s_or_b64 s[16:17], vcc, s[16:17]
	s_andn2_b64 exec, exec, s[16:17]
	s_cbranch_execz .LBB230_14
.LBB230_18:                             ;   Parent Loop BB230_15 Depth=1
                                        ; =>  This Loop Header: Depth=2
                                        ;       Child Loop BB230_20 Depth 3
	v_lshlrev_b64 v[16:17], 2, v[6:7]
	v_mov_b32_e32 v15, s9
	v_add_co_u32_e32 v16, vcc, s8, v16
	v_addc_co_u32_e32 v17, vcc, v15, v17, vcc
	global_load_dword v15, v[16:17], off
	v_lshlrev_b64 v[16:17], 3, v[6:7]
	v_mov_b32_e32 v18, s11
	v_add_co_u32_e32 v16, vcc, s10, v16
	v_addc_co_u32_e32 v17, vcc, v18, v17, vcc
	global_load_dwordx2 v[18:19], v[16:17], off
	s_mov_b64 s[24:25], 0
	s_waitcnt vmcnt(1)
	v_subrev_u32_e32 v15, s73, v15
	s_waitcnt vmcnt(0)
	v_mul_f32_e64 v16, v19, -v14
	v_mul_f32_e32 v17, v13, v19
	v_fmac_f32_e32 v16, v13, v18
	v_fmac_f32_e32 v17, v14, v18
	v_mul_lo_u32 v18, v15, s19
	v_and_b32_e32 v18, 0x1fff, v18
	s_branch .LBB230_20
.LBB230_19:                             ;   in Loop: Header=BB230_20 Depth=3
	s_or_b64 exec, exec, s[26:27]
	s_xor_b64 s[26:27], s[30:31], -1
	s_and_b64 s[26:27], exec, s[26:27]
	s_or_b64 s[24:25], s[26:27], s[24:25]
	s_andn2_b64 exec, exec, s[24:25]
	s_cbranch_execz .LBB230_17
.LBB230_20:                             ;   Parent Loop BB230_15 Depth=1
                                        ;     Parent Loop BB230_18 Depth=2
                                        ; =>    This Inner Loop Header: Depth=3
	v_lshl_add_u32 v19, v18, 2, 0
	ds_read_b32 v20, v19
                                        ; implicit-def: $sgpr30_sgpr31
	s_waitcnt lgkmcnt(0)
	v_cmp_ne_u32_e32 vcc, v20, v15
	s_and_saveexec_b64 s[26:27], vcc
	s_xor_b64 s[26:27], exec, s[26:27]
	s_cbranch_execz .LBB230_28
; %bb.21:                               ;   in Loop: Header=BB230_20 Depth=3
	v_cmp_ne_u32_e32 vcc, s33, v20
                                        ; implicit-def: $sgpr30_sgpr31
	s_and_saveexec_b64 s[34:35], vcc
	s_xor_b64 s[34:35], exec, s[34:35]
; %bb.22:                               ;   in Loop: Header=BB230_20 Depth=3
	v_add_u32_e32 v18, 1, v18
	v_and_b32_e32 v18, 0x1fff, v18
	s_mov_b64 s[30:31], -1
                                        ; implicit-def: $vgpr19
; %bb.23:                               ;   in Loop: Header=BB230_20 Depth=3
	s_andn2_saveexec_b64 s[34:35], s[34:35]
	s_cbranch_execz .LBB230_27
; %bb.24:                               ;   in Loop: Header=BB230_20 Depth=3
	v_mov_b32_e32 v20, s33
	ds_cmpst_rtn_b32 v20, v19, v20, v15
	s_mov_b64 s[36:37], -1
	s_waitcnt lgkmcnt(0)
	v_cmp_eq_u32_e32 vcc, s33, v20
	s_and_saveexec_b64 s[38:39], vcc
	s_cbranch_execz .LBB230_26
; %bb.25:                               ;   in Loop: Header=BB230_20 Depth=3
	v_lshl_add_u32 v19, v18, 2, v19
	ds_add_f32 v19, v16 offset:32768
	ds_add_f32 v19, v17 offset:32772
	s_xor_b64 s[36:37], exec, -1
.LBB230_26:                             ;   in Loop: Header=BB230_20 Depth=3
	s_or_b64 exec, exec, s[38:39]
	s_andn2_b64 s[30:31], s[30:31], exec
	s_and_b64 s[36:37], s[36:37], exec
	s_or_b64 s[30:31], s[30:31], s[36:37]
.LBB230_27:                             ;   in Loop: Header=BB230_20 Depth=3
	s_or_b64 exec, exec, s[34:35]
	s_and_b64 s[30:31], s[30:31], exec
                                        ; implicit-def: $vgpr19
.LBB230_28:                             ;   in Loop: Header=BB230_20 Depth=3
	s_andn2_saveexec_b64 s[26:27], s[26:27]
	s_cbranch_execz .LBB230_19
; %bb.29:                               ;   in Loop: Header=BB230_20 Depth=3
	v_lshl_add_u32 v19, v18, 2, v19
	ds_add_f32 v19, v16 offset:32768
	ds_add_f32 v19, v17 offset:32772
	s_andn2_b64 s[30:31], s[30:31], exec
	s_branch .LBB230_19
.LBB230_30:
	s_or_b64 exec, exec, s[4:5]
.LBB230_31:
	s_andn2_b64 vcc, exec, s[28:29]
	s_cbranch_vccnz .LBB230_48
; %bb.32:
	s_waitcnt lgkmcnt(0)
	s_ashr_i32 s47, s46, 31
	s_lshl_b64 s[0:1], s[46:47], 3
	s_add_u32 s0, s14, s0
	s_addc_u32 s1, s15, s1
	s_load_dwordx4 s[4:7], s[0:1], 0x0
	v_subrev_co_u32_e32 v2, vcc, s75, v0
	v_subb_co_u32_e64 v3, s[0:1], 0, 0, vcc
	s_waitcnt lgkmcnt(0)
	s_sub_u32 s0, s6, s75
	v_mov_b32_e32 v4, s5
	v_add_co_u32_e32 v2, vcc, s4, v2
	s_subb_u32 s1, s7, 0
	v_addc_co_u32_e32 v3, vcc, v4, v3, vcc
	v_cmp_gt_i64_e32 vcc, s[0:1], v[2:3]
	s_and_saveexec_b64 s[2:3], vcc
	s_cbranch_execz .LBB230_47
; %bb.33:
	s_mov_b64 s[4:5], 0
	v_mov_b32_e32 v4, s49
	v_mov_b32_e32 v5, s51
	s_movk_i32 s18, 0x89
	s_branch .LBB230_35
.LBB230_34:                             ;   in Loop: Header=BB230_35 Depth=1
	s_or_b64 exec, exec, s[6:7]
	v_add_co_u32_e32 v2, vcc, 0x400, v2
	v_addc_co_u32_e32 v3, vcc, 0, v3, vcc
	v_cmp_le_i64_e32 vcc, s[0:1], v[2:3]
	s_or_b64 s[4:5], vcc, s[4:5]
	s_andn2_b64 exec, exec, s[4:5]
	s_cbranch_execz .LBB230_47
.LBB230_35:                             ; =>This Loop Header: Depth=1
                                        ;     Child Loop BB230_37 Depth 2
	v_lshlrev_b64 v[6:7], 2, v[2:3]
	v_add_co_u32_e32 v6, vcc, s48, v6
	v_addc_co_u32_e32 v7, vcc, v4, v7, vcc
	global_load_dword v8, v[6:7], off
	v_lshlrev_b64 v[6:7], 3, v[2:3]
	v_add_co_u32_e32 v6, vcc, s50, v6
	v_addc_co_u32_e32 v7, vcc, v5, v7, vcc
	global_load_dwordx2 v[10:11], v[6:7], off
	s_mov_b64 s[6:7], 0
	s_waitcnt vmcnt(1)
	v_subrev_u32_e32 v6, s75, v8
	v_mul_lo_u32 v9, v6, s18
	v_and_b32_e32 v9, 0x1fff, v9
	s_waitcnt vmcnt(0)
	v_mul_f32_e64 v7, v11, -s41
	v_mul_f32_e32 v8, s40, v11
	v_fmac_f32_e32 v7, s40, v10
	v_fmac_f32_e32 v8, s41, v10
	s_branch .LBB230_37
.LBB230_36:                             ;   in Loop: Header=BB230_37 Depth=2
	s_or_b64 exec, exec, s[8:9]
	s_xor_b64 s[8:9], s[10:11], -1
	s_and_b64 s[8:9], exec, s[8:9]
	s_or_b64 s[6:7], s[8:9], s[6:7]
	s_andn2_b64 exec, exec, s[6:7]
	s_cbranch_execz .LBB230_34
.LBB230_37:                             ;   Parent Loop BB230_35 Depth=1
                                        ; =>  This Inner Loop Header: Depth=2
	v_lshl_add_u32 v10, v9, 2, 0
	ds_read_b32 v11, v10
                                        ; implicit-def: $sgpr10_sgpr11
	s_waitcnt lgkmcnt(0)
	v_cmp_ne_u32_e32 vcc, v11, v6
	s_and_saveexec_b64 s[8:9], vcc
	s_xor_b64 s[8:9], exec, s[8:9]
	s_cbranch_execz .LBB230_45
; %bb.38:                               ;   in Loop: Header=BB230_37 Depth=2
	v_cmp_ne_u32_e32 vcc, s33, v11
                                        ; implicit-def: $sgpr10_sgpr11
	s_and_saveexec_b64 s[12:13], vcc
	s_xor_b64 s[12:13], exec, s[12:13]
; %bb.39:                               ;   in Loop: Header=BB230_37 Depth=2
	v_add_u32_e32 v9, 1, v9
	v_and_b32_e32 v9, 0x1fff, v9
	s_mov_b64 s[10:11], -1
                                        ; implicit-def: $vgpr10
; %bb.40:                               ;   in Loop: Header=BB230_37 Depth=2
	s_andn2_saveexec_b64 s[12:13], s[12:13]
	s_cbranch_execz .LBB230_44
; %bb.41:                               ;   in Loop: Header=BB230_37 Depth=2
	v_mov_b32_e32 v11, s33
	ds_cmpst_rtn_b32 v11, v10, v11, v6
	s_mov_b64 s[14:15], -1
	s_waitcnt lgkmcnt(0)
	v_cmp_eq_u32_e32 vcc, s33, v11
	s_and_saveexec_b64 s[16:17], vcc
	s_cbranch_execz .LBB230_43
; %bb.42:                               ;   in Loop: Header=BB230_37 Depth=2
	v_lshl_add_u32 v10, v9, 2, v10
	ds_add_f32 v10, v7 offset:32768
	ds_add_f32 v10, v8 offset:32772
	s_xor_b64 s[14:15], exec, -1
.LBB230_43:                             ;   in Loop: Header=BB230_37 Depth=2
	s_or_b64 exec, exec, s[16:17]
	s_andn2_b64 s[10:11], s[10:11], exec
	s_and_b64 s[14:15], s[14:15], exec
	s_or_b64 s[10:11], s[10:11], s[14:15]
.LBB230_44:                             ;   in Loop: Header=BB230_37 Depth=2
	s_or_b64 exec, exec, s[12:13]
	s_and_b64 s[10:11], s[10:11], exec
                                        ; implicit-def: $vgpr10
.LBB230_45:                             ;   in Loop: Header=BB230_37 Depth=2
	s_andn2_saveexec_b64 s[8:9], s[8:9]
	s_cbranch_execz .LBB230_36
; %bb.46:                               ;   in Loop: Header=BB230_37 Depth=2
	v_lshl_add_u32 v10, v9, 2, v10
	ds_add_f32 v10, v7 offset:32768
	ds_add_f32 v10, v8 offset:32772
	s_andn2_b64 s[10:11], s[10:11], exec
	s_branch .LBB230_36
.LBB230_47:
	s_or_b64 exec, exec, s[2:3]
.LBB230_48:
	s_waitcnt lgkmcnt(0)
	v_writelane_b32 v21, s46, 2
	v_writelane_b32 v21, s47, 3
	v_writelane_b32 v21, s48, 4
	v_writelane_b32 v21, s49, 5
	v_writelane_b32 v21, s50, 6
	v_writelane_b32 v21, s51, 7
	v_writelane_b32 v21, s52, 8
	v_writelane_b32 v21, s53, 9
	v_writelane_b32 v21, s54, 10
	v_writelane_b32 v21, s55, 11
	s_add_i32 s0, 0, 0x18000
	v_writelane_b32 v21, s0, 12
	s_add_i32 s60, 0, 0x18004
	v_writelane_b32 v21, s60, 13
	;; [unrolled: 2-line block ×5, first 2 shown]
	s_add_i32 s60, 0, 0x18014
	v_lshrrev_b32_e32 v4, 3, v0
	v_writelane_b32 v21, s60, 17
	s_add_i32 s60, 0, 0x18018
	v_mbcnt_lo_u32_b32 v2, -1, 0
	v_and_b32_e32 v4, 0x7c, v4
	v_writelane_b32 v21, s60, 18
	s_add_i32 s60, 0, 0x1801c
	v_mbcnt_hi_u32_b32 v2, -1, v2
	v_add_u32_e32 v7, s0, v4
	s_movk_i32 s0, 0x3ff
	v_writelane_b32 v21, s60, 19
	s_add_i32 s60, 0, 0x18020
	v_sub_u32_e32 v2, 63, v2
	v_cmp_eq_u32_e32 vcc, s0, v0
	s_movk_i32 s0, 0x5f
	s_movk_i32 s2, 0x7f
	s_movk_i32 s4, 0x9f
	s_movk_i32 s6, 0xbf
	s_movk_i32 s8, 0xdf
	s_movk_i32 s10, 0xff
	s_movk_i32 s12, 0x11f
	s_movk_i32 s14, 0x13f
	s_movk_i32 s16, 0x15f
	s_movk_i32 s18, 0x17f
	s_movk_i32 s20, 0x19f
	s_movk_i32 s22, 0x1bf
	s_movk_i32 s24, 0x1df
	s_movk_i32 s26, 0x1ff
	s_movk_i32 s28, 0x21f
	s_movk_i32 s30, 0x23f
	s_movk_i32 s34, 0x25f
	s_movk_i32 s36, 0x27f
	s_movk_i32 s38, 0x29f
	s_movk_i32 s40, 0x2bf
	s_movk_i32 s42, 0x2df
	s_movk_i32 s44, 0x2ff
	s_movk_i32 s46, 0x31f
	s_movk_i32 s48, 0x33f
	s_movk_i32 s50, 0x35f
	s_movk_i32 s52, 0x37f
	s_movk_i32 s54, 0x39f
	s_movk_i32 s56, 0x3bf
	s_movk_i32 s58, 0x3df
	v_lshl_add_u32 v4, v0, 3, 0
	v_writelane_b32 v21, s60, 20
	s_add_i32 s60, 0, 0x18024
	v_mov_b32_e32 v6, 0
	v_lshrrev_b64 v[2:3], v2, -1
	v_cmp_lt_u32_e64 s[0:1], s0, v0
	v_cmp_lt_u32_e64 s[2:3], s2, v0
	;; [unrolled: 1-line block ×29, first 2 shown]
	v_add_u32_e32 v8, 0x8000, v4
	v_or_b32_e32 v9, 0xfffffc00, v0
	v_writelane_b32 v21, s60, 21
	s_add_i32 s88, 0, 0x18028
	s_add_i32 s89, 0, 0x1802c
	;; [unrolled: 1-line block ×22, first 2 shown]
	s_movk_i32 s85, 0x1bff
	v_cmp_lt_u32_e64 s[60:61], 31, v0
	v_cmp_lt_u32_e64 s[62:63], 63, v0
	s_mov_b64 s[66:67], 0
	s_barrier
	s_branch .LBB230_50
.LBB230_49:                             ;   in Loop: Header=BB230_50 Depth=1
	s_or_b64 exec, exec, s[64:65]
	v_mov_b32_e32 v4, s84
	s_waitcnt lgkmcnt(0)
	s_barrier
	ds_read_b32 v4, v4
	v_add_u32_e32 v9, 0x400, v9
	v_cmp_lt_u32_e64 s[64:65], s85, v9
	v_add_u32_e32 v8, 0x2000, v8
	s_or_b64 s[66:67], s[64:65], s[66:67]
	s_waitcnt lgkmcnt(0)
	v_add_u32_e32 v6, v4, v6
	v_add_u32_e32 v1, 0x1000, v1
	s_andn2_b64 exec, exec, s[66:67]
	s_cbranch_execz .LBB230_116
.LBB230_50:                             ; =>This Inner Loop Header: Depth=1
	ds_read_b32 v10, v1
	ds_read2_b32 v[4:5], v8 offset1:1
	s_waitcnt lgkmcnt(0)
	s_barrier
	v_cmp_gt_i32_e64 s[64:65], s33, v10
	v_and_b32_e32 v12, s64, v2
	s_bcnt1_i32_b64 s72, s[64:65]
	v_and_b32_e32 v11, s65, v3
	v_bcnt_u32_b32 v12, v12, 0
	v_bcnt_u32_b32 v11, v11, v12
	v_mov_b32_e32 v12, s72
	ds_write_b32 v7, v12
	s_waitcnt lgkmcnt(0)
	s_barrier
	s_and_saveexec_b64 s[72:73], s[60:61]
	s_cbranch_execnz .LBB230_83
; %bb.51:                               ;   in Loop: Header=BB230_50 Depth=1
	s_or_b64 exec, exec, s[72:73]
	s_and_saveexec_b64 s[72:73], s[62:63]
	s_cbranch_execnz .LBB230_84
.LBB230_52:                             ;   in Loop: Header=BB230_50 Depth=1
	s_or_b64 exec, exec, s[72:73]
	s_and_saveexec_b64 s[72:73], s[0:1]
	s_cbranch_execnz .LBB230_85
.LBB230_53:                             ;   in Loop: Header=BB230_50 Depth=1
	s_or_b64 exec, exec, s[72:73]
	s_and_saveexec_b64 s[72:73], s[2:3]
	s_cbranch_execnz .LBB230_86
.LBB230_54:                             ;   in Loop: Header=BB230_50 Depth=1
	s_or_b64 exec, exec, s[72:73]
	s_and_saveexec_b64 s[72:73], s[4:5]
	s_cbranch_execnz .LBB230_87
.LBB230_55:                             ;   in Loop: Header=BB230_50 Depth=1
	s_or_b64 exec, exec, s[72:73]
	s_and_saveexec_b64 s[72:73], s[6:7]
	s_cbranch_execnz .LBB230_88
.LBB230_56:                             ;   in Loop: Header=BB230_50 Depth=1
	s_or_b64 exec, exec, s[72:73]
	s_and_saveexec_b64 s[72:73], s[8:9]
	s_cbranch_execnz .LBB230_89
.LBB230_57:                             ;   in Loop: Header=BB230_50 Depth=1
	s_or_b64 exec, exec, s[72:73]
	s_and_saveexec_b64 s[72:73], s[10:11]
	s_cbranch_execnz .LBB230_90
.LBB230_58:                             ;   in Loop: Header=BB230_50 Depth=1
	s_or_b64 exec, exec, s[72:73]
	s_and_saveexec_b64 s[72:73], s[12:13]
	s_cbranch_execnz .LBB230_91
.LBB230_59:                             ;   in Loop: Header=BB230_50 Depth=1
	s_or_b64 exec, exec, s[72:73]
	s_and_saveexec_b64 s[72:73], s[14:15]
	s_cbranch_execnz .LBB230_92
.LBB230_60:                             ;   in Loop: Header=BB230_50 Depth=1
	s_or_b64 exec, exec, s[72:73]
	s_and_saveexec_b64 s[72:73], s[16:17]
	s_cbranch_execnz .LBB230_93
.LBB230_61:                             ;   in Loop: Header=BB230_50 Depth=1
	s_or_b64 exec, exec, s[72:73]
	s_and_saveexec_b64 s[72:73], s[18:19]
	s_cbranch_execnz .LBB230_94
.LBB230_62:                             ;   in Loop: Header=BB230_50 Depth=1
	s_or_b64 exec, exec, s[72:73]
	s_and_saveexec_b64 s[72:73], s[20:21]
	s_cbranch_execnz .LBB230_95
.LBB230_63:                             ;   in Loop: Header=BB230_50 Depth=1
	s_or_b64 exec, exec, s[72:73]
	s_and_saveexec_b64 s[72:73], s[22:23]
	s_cbranch_execnz .LBB230_96
.LBB230_64:                             ;   in Loop: Header=BB230_50 Depth=1
	s_or_b64 exec, exec, s[72:73]
	s_and_saveexec_b64 s[72:73], s[24:25]
	s_cbranch_execnz .LBB230_97
.LBB230_65:                             ;   in Loop: Header=BB230_50 Depth=1
	s_or_b64 exec, exec, s[72:73]
	s_and_saveexec_b64 s[72:73], s[26:27]
	s_cbranch_execnz .LBB230_98
.LBB230_66:                             ;   in Loop: Header=BB230_50 Depth=1
	s_or_b64 exec, exec, s[72:73]
	s_and_saveexec_b64 s[72:73], s[28:29]
	s_cbranch_execnz .LBB230_99
.LBB230_67:                             ;   in Loop: Header=BB230_50 Depth=1
	s_or_b64 exec, exec, s[72:73]
	s_and_saveexec_b64 s[72:73], s[30:31]
	s_cbranch_execnz .LBB230_100
.LBB230_68:                             ;   in Loop: Header=BB230_50 Depth=1
	s_or_b64 exec, exec, s[72:73]
	s_and_saveexec_b64 s[72:73], s[34:35]
	s_cbranch_execnz .LBB230_101
.LBB230_69:                             ;   in Loop: Header=BB230_50 Depth=1
	s_or_b64 exec, exec, s[72:73]
	s_and_saveexec_b64 s[72:73], s[36:37]
	s_cbranch_execnz .LBB230_102
.LBB230_70:                             ;   in Loop: Header=BB230_50 Depth=1
	s_or_b64 exec, exec, s[72:73]
	s_and_saveexec_b64 s[72:73], s[38:39]
	s_cbranch_execnz .LBB230_103
.LBB230_71:                             ;   in Loop: Header=BB230_50 Depth=1
	s_or_b64 exec, exec, s[72:73]
	s_and_saveexec_b64 s[72:73], s[40:41]
	s_cbranch_execnz .LBB230_104
.LBB230_72:                             ;   in Loop: Header=BB230_50 Depth=1
	s_or_b64 exec, exec, s[72:73]
	s_and_saveexec_b64 s[72:73], s[42:43]
	s_cbranch_execnz .LBB230_105
.LBB230_73:                             ;   in Loop: Header=BB230_50 Depth=1
	s_or_b64 exec, exec, s[72:73]
	s_and_saveexec_b64 s[72:73], s[44:45]
	s_cbranch_execnz .LBB230_106
.LBB230_74:                             ;   in Loop: Header=BB230_50 Depth=1
	s_or_b64 exec, exec, s[72:73]
	s_and_saveexec_b64 s[72:73], s[46:47]
	s_cbranch_execnz .LBB230_107
.LBB230_75:                             ;   in Loop: Header=BB230_50 Depth=1
	s_or_b64 exec, exec, s[72:73]
	s_and_saveexec_b64 s[72:73], s[48:49]
	s_cbranch_execnz .LBB230_108
.LBB230_76:                             ;   in Loop: Header=BB230_50 Depth=1
	s_or_b64 exec, exec, s[72:73]
	s_and_saveexec_b64 s[72:73], s[50:51]
	s_cbranch_execnz .LBB230_109
.LBB230_77:                             ;   in Loop: Header=BB230_50 Depth=1
	s_or_b64 exec, exec, s[72:73]
	s_and_saveexec_b64 s[72:73], s[52:53]
	s_cbranch_execnz .LBB230_110
.LBB230_78:                             ;   in Loop: Header=BB230_50 Depth=1
	s_or_b64 exec, exec, s[72:73]
	s_and_saveexec_b64 s[72:73], s[54:55]
	s_cbranch_execnz .LBB230_111
.LBB230_79:                             ;   in Loop: Header=BB230_50 Depth=1
	s_or_b64 exec, exec, s[72:73]
	s_and_saveexec_b64 s[72:73], s[56:57]
	s_cbranch_execnz .LBB230_112
.LBB230_80:                             ;   in Loop: Header=BB230_50 Depth=1
	s_or_b64 exec, exec, s[72:73]
	s_and_saveexec_b64 s[72:73], s[58:59]
	s_cbranch_execnz .LBB230_113
.LBB230_81:                             ;   in Loop: Header=BB230_50 Depth=1
	s_or_b64 exec, exec, s[72:73]
	s_and_saveexec_b64 s[72:73], s[64:65]
	s_cbranch_execnz .LBB230_114
.LBB230_82:                             ;   in Loop: Header=BB230_50 Depth=1
	s_or_b64 exec, exec, s[72:73]
	s_and_saveexec_b64 s[64:65], vcc
	s_cbranch_execz .LBB230_49
	s_branch .LBB230_115
.LBB230_83:                             ;   in Loop: Header=BB230_50 Depth=1
	v_readlane_b32 s86, v21, 12
	v_mov_b32_e32 v12, s86
	ds_read_b32 v12, v12
	s_waitcnt lgkmcnt(0)
	v_add_u32_e32 v11, v12, v11
	s_or_b64 exec, exec, s[72:73]
	s_and_saveexec_b64 s[72:73], s[62:63]
	s_cbranch_execz .LBB230_52
.LBB230_84:                             ;   in Loop: Header=BB230_50 Depth=1
	v_readlane_b32 s86, v21, 13
	v_mov_b32_e32 v12, s86
	ds_read_b32 v12, v12
	s_waitcnt lgkmcnt(0)
	v_add_u32_e32 v11, v12, v11
	s_or_b64 exec, exec, s[72:73]
	s_and_saveexec_b64 s[72:73], s[0:1]
	s_cbranch_execz .LBB230_53
.LBB230_85:                             ;   in Loop: Header=BB230_50 Depth=1
	v_readlane_b32 s86, v21, 14
	v_mov_b32_e32 v12, s86
	ds_read_b32 v12, v12
	s_waitcnt lgkmcnt(0)
	v_add_u32_e32 v11, v12, v11
	s_or_b64 exec, exec, s[72:73]
	s_and_saveexec_b64 s[72:73], s[2:3]
	s_cbranch_execz .LBB230_54
.LBB230_86:                             ;   in Loop: Header=BB230_50 Depth=1
	v_readlane_b32 s86, v21, 15
	v_mov_b32_e32 v12, s86
	ds_read_b32 v12, v12
	s_waitcnt lgkmcnt(0)
	v_add_u32_e32 v11, v12, v11
	s_or_b64 exec, exec, s[72:73]
	s_and_saveexec_b64 s[72:73], s[4:5]
	s_cbranch_execz .LBB230_55
.LBB230_87:                             ;   in Loop: Header=BB230_50 Depth=1
	v_readlane_b32 s86, v21, 16
	v_mov_b32_e32 v12, s86
	ds_read_b32 v12, v12
	s_waitcnt lgkmcnt(0)
	v_add_u32_e32 v11, v12, v11
	s_or_b64 exec, exec, s[72:73]
	s_and_saveexec_b64 s[72:73], s[6:7]
	s_cbranch_execz .LBB230_56
.LBB230_88:                             ;   in Loop: Header=BB230_50 Depth=1
	v_readlane_b32 s86, v21, 17
	v_mov_b32_e32 v12, s86
	ds_read_b32 v12, v12
	s_waitcnt lgkmcnt(0)
	v_add_u32_e32 v11, v12, v11
	s_or_b64 exec, exec, s[72:73]
	s_and_saveexec_b64 s[72:73], s[8:9]
	s_cbranch_execz .LBB230_57
.LBB230_89:                             ;   in Loop: Header=BB230_50 Depth=1
	v_readlane_b32 s86, v21, 18
	v_mov_b32_e32 v12, s86
	ds_read_b32 v12, v12
	s_waitcnt lgkmcnt(0)
	v_add_u32_e32 v11, v12, v11
	s_or_b64 exec, exec, s[72:73]
	s_and_saveexec_b64 s[72:73], s[10:11]
	s_cbranch_execz .LBB230_58
.LBB230_90:                             ;   in Loop: Header=BB230_50 Depth=1
	v_readlane_b32 s86, v21, 19
	v_mov_b32_e32 v12, s86
	ds_read_b32 v12, v12
	s_waitcnt lgkmcnt(0)
	v_add_u32_e32 v11, v12, v11
	s_or_b64 exec, exec, s[72:73]
	s_and_saveexec_b64 s[72:73], s[12:13]
	s_cbranch_execz .LBB230_59
.LBB230_91:                             ;   in Loop: Header=BB230_50 Depth=1
	v_readlane_b32 s86, v21, 20
	v_mov_b32_e32 v12, s86
	ds_read_b32 v12, v12
	s_waitcnt lgkmcnt(0)
	v_add_u32_e32 v11, v12, v11
	s_or_b64 exec, exec, s[72:73]
	s_and_saveexec_b64 s[72:73], s[14:15]
	s_cbranch_execz .LBB230_60
.LBB230_92:                             ;   in Loop: Header=BB230_50 Depth=1
	v_readlane_b32 s86, v21, 21
	v_mov_b32_e32 v12, s86
	ds_read_b32 v12, v12
	s_waitcnt lgkmcnt(0)
	v_add_u32_e32 v11, v12, v11
	s_or_b64 exec, exec, s[72:73]
	s_and_saveexec_b64 s[72:73], s[16:17]
	s_cbranch_execz .LBB230_61
.LBB230_93:                             ;   in Loop: Header=BB230_50 Depth=1
	v_mov_b32_e32 v12, s88
	ds_read_b32 v12, v12
	s_waitcnt lgkmcnt(0)
	v_add_u32_e32 v11, v12, v11
	s_or_b64 exec, exec, s[72:73]
	s_and_saveexec_b64 s[72:73], s[18:19]
	s_cbranch_execz .LBB230_62
.LBB230_94:                             ;   in Loop: Header=BB230_50 Depth=1
	v_mov_b32_e32 v12, s89
	ds_read_b32 v12, v12
	s_waitcnt lgkmcnt(0)
	v_add_u32_e32 v11, v12, v11
	s_or_b64 exec, exec, s[72:73]
	s_and_saveexec_b64 s[72:73], s[20:21]
	s_cbranch_execz .LBB230_63
.LBB230_95:                             ;   in Loop: Header=BB230_50 Depth=1
	v_mov_b32_e32 v12, s90
	ds_read_b32 v12, v12
	s_waitcnt lgkmcnt(0)
	v_add_u32_e32 v11, v12, v11
	s_or_b64 exec, exec, s[72:73]
	s_and_saveexec_b64 s[72:73], s[22:23]
	s_cbranch_execz .LBB230_64
.LBB230_96:                             ;   in Loop: Header=BB230_50 Depth=1
	v_mov_b32_e32 v12, s91
	ds_read_b32 v12, v12
	s_waitcnt lgkmcnt(0)
	v_add_u32_e32 v11, v12, v11
	s_or_b64 exec, exec, s[72:73]
	s_and_saveexec_b64 s[72:73], s[24:25]
	s_cbranch_execz .LBB230_65
.LBB230_97:                             ;   in Loop: Header=BB230_50 Depth=1
	v_mov_b32_e32 v12, s92
	ds_read_b32 v12, v12
	s_waitcnt lgkmcnt(0)
	v_add_u32_e32 v11, v12, v11
	s_or_b64 exec, exec, s[72:73]
	s_and_saveexec_b64 s[72:73], s[26:27]
	s_cbranch_execz .LBB230_66
.LBB230_98:                             ;   in Loop: Header=BB230_50 Depth=1
	v_mov_b32_e32 v12, s93
	ds_read_b32 v12, v12
	s_waitcnt lgkmcnt(0)
	v_add_u32_e32 v11, v12, v11
	s_or_b64 exec, exec, s[72:73]
	s_and_saveexec_b64 s[72:73], s[28:29]
	s_cbranch_execz .LBB230_67
.LBB230_99:                             ;   in Loop: Header=BB230_50 Depth=1
	v_mov_b32_e32 v12, s94
	ds_read_b32 v12, v12
	s_waitcnt lgkmcnt(0)
	v_add_u32_e32 v11, v12, v11
	s_or_b64 exec, exec, s[72:73]
	s_and_saveexec_b64 s[72:73], s[30:31]
	s_cbranch_execz .LBB230_68
.LBB230_100:                            ;   in Loop: Header=BB230_50 Depth=1
	v_mov_b32_e32 v12, s95
	ds_read_b32 v12, v12
	s_waitcnt lgkmcnt(0)
	v_add_u32_e32 v11, v12, v11
	s_or_b64 exec, exec, s[72:73]
	s_and_saveexec_b64 s[72:73], s[34:35]
	s_cbranch_execz .LBB230_69
.LBB230_101:                            ;   in Loop: Header=BB230_50 Depth=1
	v_mov_b32_e32 v12, s78
	ds_read_b32 v12, v12
	s_waitcnt lgkmcnt(0)
	v_add_u32_e32 v11, v12, v11
	s_or_b64 exec, exec, s[72:73]
	s_and_saveexec_b64 s[72:73], s[36:37]
	s_cbranch_execz .LBB230_70
.LBB230_102:                            ;   in Loop: Header=BB230_50 Depth=1
	v_mov_b32_e32 v12, s76
	ds_read_b32 v12, v12
	s_waitcnt lgkmcnt(0)
	v_add_u32_e32 v11, v12, v11
	s_or_b64 exec, exec, s[72:73]
	s_and_saveexec_b64 s[72:73], s[38:39]
	s_cbranch_execz .LBB230_71
.LBB230_103:                            ;   in Loop: Header=BB230_50 Depth=1
	v_mov_b32_e32 v12, s77
	ds_read_b32 v12, v12
	s_waitcnt lgkmcnt(0)
	v_add_u32_e32 v11, v12, v11
	s_or_b64 exec, exec, s[72:73]
	s_and_saveexec_b64 s[72:73], s[40:41]
	s_cbranch_execz .LBB230_72
.LBB230_104:                            ;   in Loop: Header=BB230_50 Depth=1
	v_mov_b32_e32 v12, s68
	ds_read_b32 v12, v12
	s_waitcnt lgkmcnt(0)
	v_add_u32_e32 v11, v12, v11
	s_or_b64 exec, exec, s[72:73]
	s_and_saveexec_b64 s[72:73], s[42:43]
	s_cbranch_execz .LBB230_73
.LBB230_105:                            ;   in Loop: Header=BB230_50 Depth=1
	v_mov_b32_e32 v12, s69
	ds_read_b32 v12, v12
	s_waitcnt lgkmcnt(0)
	v_add_u32_e32 v11, v12, v11
	s_or_b64 exec, exec, s[72:73]
	s_and_saveexec_b64 s[72:73], s[44:45]
	s_cbranch_execz .LBB230_74
.LBB230_106:                            ;   in Loop: Header=BB230_50 Depth=1
	v_mov_b32_e32 v12, s70
	ds_read_b32 v12, v12
	s_waitcnt lgkmcnt(0)
	v_add_u32_e32 v11, v12, v11
	s_or_b64 exec, exec, s[72:73]
	s_and_saveexec_b64 s[72:73], s[46:47]
	s_cbranch_execz .LBB230_75
.LBB230_107:                            ;   in Loop: Header=BB230_50 Depth=1
	v_mov_b32_e32 v12, s71
	ds_read_b32 v12, v12
	s_waitcnt lgkmcnt(0)
	v_add_u32_e32 v11, v12, v11
	s_or_b64 exec, exec, s[72:73]
	s_and_saveexec_b64 s[72:73], s[48:49]
	s_cbranch_execz .LBB230_76
.LBB230_108:                            ;   in Loop: Header=BB230_50 Depth=1
	v_mov_b32_e32 v12, s75
	ds_read_b32 v12, v12
	s_waitcnt lgkmcnt(0)
	v_add_u32_e32 v11, v12, v11
	s_or_b64 exec, exec, s[72:73]
	s_and_saveexec_b64 s[72:73], s[50:51]
	s_cbranch_execz .LBB230_77
.LBB230_109:                            ;   in Loop: Header=BB230_50 Depth=1
	v_mov_b32_e32 v12, s79
	ds_read_b32 v12, v12
	s_waitcnt lgkmcnt(0)
	v_add_u32_e32 v11, v12, v11
	s_or_b64 exec, exec, s[72:73]
	s_and_saveexec_b64 s[72:73], s[52:53]
	s_cbranch_execz .LBB230_78
.LBB230_110:                            ;   in Loop: Header=BB230_50 Depth=1
	v_mov_b32_e32 v12, s80
	ds_read_b32 v12, v12
	s_waitcnt lgkmcnt(0)
	v_add_u32_e32 v11, v12, v11
	s_or_b64 exec, exec, s[72:73]
	s_and_saveexec_b64 s[72:73], s[54:55]
	s_cbranch_execz .LBB230_79
.LBB230_111:                            ;   in Loop: Header=BB230_50 Depth=1
	v_mov_b32_e32 v12, s81
	ds_read_b32 v12, v12
	s_waitcnt lgkmcnt(0)
	v_add_u32_e32 v11, v12, v11
	s_or_b64 exec, exec, s[72:73]
	s_and_saveexec_b64 s[72:73], s[56:57]
	s_cbranch_execz .LBB230_80
.LBB230_112:                            ;   in Loop: Header=BB230_50 Depth=1
	v_mov_b32_e32 v12, s82
	ds_read_b32 v12, v12
	s_waitcnt lgkmcnt(0)
	v_add_u32_e32 v11, v12, v11
	s_or_b64 exec, exec, s[72:73]
	s_and_saveexec_b64 s[72:73], s[58:59]
	s_cbranch_execz .LBB230_81
.LBB230_113:                            ;   in Loop: Header=BB230_50 Depth=1
	v_mov_b32_e32 v12, s83
	ds_read_b32 v12, v12
	s_waitcnt lgkmcnt(0)
	v_add_u32_e32 v11, v12, v11
	s_or_b64 exec, exec, s[72:73]
	s_and_saveexec_b64 s[72:73], s[64:65]
	s_cbranch_execz .LBB230_82
.LBB230_114:                            ;   in Loop: Header=BB230_50 Depth=1
	v_add3_u32 v12, v6, -1, v11
	v_lshl_add_u32 v13, v12, 2, 0
	v_lshl_add_u32 v12, v12, 3, 0
	v_add_u32_e32 v12, 0x8000, v12
	ds_write_b32 v13, v10
	ds_write2_b32 v12, v4, v5 offset1:1
	s_or_b64 exec, exec, s[72:73]
	s_and_saveexec_b64 s[64:65], vcc
	s_cbranch_execz .LBB230_49
.LBB230_115:                            ;   in Loop: Header=BB230_50 Depth=1
	v_mov_b32_e32 v4, s84
	ds_write_b32 v4, v11
	s_branch .LBB230_49
.LBB230_116:
	s_or_b64 exec, exec, s[66:67]
	v_readlane_b32 s0, v21, 2
	v_readlane_b32 s1, v21, 3
	s_ashr_i32 s1, s0, 31
	v_readlane_b32 s8, v21, 4
	s_lshl_b64 s[0:1], s[0:1], 3
	v_readlane_b32 s12, v21, 8
	v_readlane_b32 s13, v21, 9
	s_add_u32 s0, s12, s0
	s_addc_u32 s1, s13, s1
	s_load_dwordx4 s[0:3], s[0:1], 0x0
	v_readlane_b32 s14, v21, 10
	v_readlane_b32 s15, v21, 11
	;; [unrolled: 1-line block ×4, first 2 shown]
	s_waitcnt lgkmcnt(0)
	s_sub_i32 s8, s2, s0
	v_cmp_gt_i32_e32 vcc, s8, v0
	v_readlane_b32 s11, v21, 7
	s_and_saveexec_b64 s[4:5], vcc
	s_cbranch_execz .LBB230_126
; %bb.117:
	s_sub_u32 s4, s0, s74
	s_subb_u32 s5, s1, 0
	s_and_b32 s9, s8, 7
	s_sub_i32 s0, s0, s2
	s_cmp_lt_u32 s0, -7
	s_cselect_b64 s[0:1], -1, 0
	s_and_b32 s10, s8, -8
	s_cmp_lg_u32 s9, 0
	v_cndmask_b32_e64 v1, 0, 1, s[0:1]
	s_cselect_b64 s[2:3], -1, 0
	v_cmp_ne_u32_e64 s[0:1], 1, v1
	v_cndmask_b32_e64 v1, 0, 1, s[2:3]
	s_mov_b64 s[6:7], 0
	s_mov_b32 s11, 0x8000
	v_cmp_ne_u32_e64 s[2:3], 1, v1
	s_branch .LBB230_119
.LBB230_118:                            ;   in Loop: Header=BB230_119 Depth=1
	v_lshlrev_b64 v[6:7], 2, v[4:5]
	v_mov_b32_e32 v8, s15
	v_add_co_u32_e32 v6, vcc, s14, v6
	v_readlane_b32 s12, v21, 0
	s_waitcnt lgkmcnt(1)
	v_add_u32_e32 v1, s74, v1
	v_addc_co_u32_e32 v7, vcc, v8, v7, vcc
	v_lshlrev_b64 v[4:5], 3, v[4:5]
	v_readlane_b32 s13, v21, 1
	global_store_dword v[6:7], v1, off
	v_mov_b32_e32 v1, s13
	v_add_co_u32_e32 v4, vcc, s12, v4
	v_addc_co_u32_e32 v5, vcc, v1, v5, vcc
	v_add_u32_e32 v0, 0x400, v0
	v_cmp_le_i32_e32 vcc, s8, v0
	s_or_b64 s[6:7], vcc, s[6:7]
	s_waitcnt lgkmcnt(0)
	global_store_dwordx2 v[4:5], v[2:3], off
	s_andn2_b64 exec, exec, s[6:7]
	s_cbranch_execz .LBB230_126
.LBB230_119:                            ; =>This Loop Header: Depth=1
                                        ;     Child Loop BB230_121 Depth 2
                                        ;     Child Loop BB230_125 Depth 2
	v_lshlrev_b32_e32 v1, 2, v0
	v_add_u32_e32 v2, 0, v1
	v_add3_u32 v3, v2, v1, s11
	ds_read_b32 v1, v2
	ds_read2_b32 v[2:3], v3 offset1:1
	s_and_b64 vcc, exec, s[0:1]
	v_pk_mov_b32 v[4:5], s[4:5], s[4:5] op_sel:[0,1]
	s_mov_b32 s12, 0
	s_cbranch_vccnz .LBB230_123
; %bb.120:                              ;   in Loop: Header=BB230_119 Depth=1
	s_mov_b32 s13, 0
	v_pk_mov_b32 v[4:5], s[4:5], s[4:5] op_sel:[0,1]
.LBB230_121:                            ;   Parent Loop BB230_119 Depth=1
                                        ; =>  This Inner Loop Header: Depth=2
	v_mov_b32_e32 v12, s13
	ds_read2_b32 v[6:7], v12 offset1:1
	ds_read2_b32 v[8:9], v12 offset0:2 offset1:3
	ds_read2_b32 v[10:11], v12 offset0:4 offset1:5
	;; [unrolled: 1-line block ×3, first 2 shown]
	s_add_i32 s12, s12, 8
	s_waitcnt lgkmcnt(3)
	v_cmp_gt_i32_e32 vcc, v1, v6
	v_cndmask_b32_e64 v6, 0, 1, vcc
	v_cmp_gt_i32_e32 vcc, v1, v7
	v_cndmask_b32_e64 v7, 0, 1, vcc
	s_waitcnt lgkmcnt(2)
	v_cmp_gt_i32_e32 vcc, v1, v8
	v_cndmask_b32_e64 v8, 0, 1, vcc
	v_cmp_gt_i32_e32 vcc, v1, v9
	v_cndmask_b32_e64 v9, 0, 1, vcc
	;; [unrolled: 5-line block ×4, first 2 shown]
	v_add_co_u32_e32 v4, vcc, v4, v6
	v_addc_co_u32_e32 v5, vcc, 0, v5, vcc
	v_add_co_u32_e32 v4, vcc, v4, v7
	v_addc_co_u32_e32 v5, vcc, 0, v5, vcc
	;; [unrolled: 2-line block ×7, first 2 shown]
	s_add_i32 s13, s13, 32
	v_add_co_u32_e32 v4, vcc, v4, v13
	s_cmp_eq_u32 s10, s12
	v_addc_co_u32_e32 v5, vcc, 0, v5, vcc
	s_cbranch_scc0 .LBB230_121
; %bb.122:                              ;   in Loop: Header=BB230_119 Depth=1
	s_mov_b32 s12, s10
.LBB230_123:                            ;   in Loop: Header=BB230_119 Depth=1
	s_and_b64 vcc, exec, s[2:3]
	s_cbranch_vccnz .LBB230_118
; %bb.124:                              ;   in Loop: Header=BB230_119 Depth=1
	s_lshl_b32 s12, s12, 2
	s_add_i32 s12, s12, 0
	s_mov_b32 s13, s9
.LBB230_125:                            ;   Parent Loop BB230_119 Depth=1
                                        ; =>  This Inner Loop Header: Depth=2
	v_mov_b32_e32 v6, s12
	ds_read_b32 v6, v6
	s_add_i32 s12, s12, 4
	s_add_i32 s13, s13, -1
	s_cmp_lg_u32 s13, 0
	s_waitcnt lgkmcnt(0)
	v_cmp_gt_i32_e32 vcc, v1, v6
	v_cndmask_b32_e64 v6, 0, 1, vcc
	v_add_co_u32_e32 v4, vcc, v4, v6
	v_addc_co_u32_e32 v5, vcc, 0, v5, vcc
	s_cbranch_scc1 .LBB230_125
	s_branch .LBB230_118
.LBB230_126:
	s_endpgm
	.section	.rodata,"a",@progbits
	.p2align	6, 0x0
	.amdhsa_kernel _ZN9rocsparseL26csrgemm_fill_block_per_rowILj1024ELj64ELj8192ELj137ELj32Eli21rocsparse_complex_numIfEEEvT5_PKS3_S5_NS_24const_host_device_scalarIT6_EEPKT4_S5_PKS7_SB_S5_SD_S8_SB_S5_SD_SB_PS3_PS7_21rocsparse_index_base_SG_SG_SG_bbb
		.amdhsa_group_segment_fixed_size 0
		.amdhsa_private_segment_fixed_size 0
		.amdhsa_kernarg_size 156
		.amdhsa_user_sgpr_count 6
		.amdhsa_user_sgpr_private_segment_buffer 1
		.amdhsa_user_sgpr_dispatch_ptr 0
		.amdhsa_user_sgpr_queue_ptr 0
		.amdhsa_user_sgpr_kernarg_segment_ptr 1
		.amdhsa_user_sgpr_dispatch_id 0
		.amdhsa_user_sgpr_flat_scratch_init 0
		.amdhsa_user_sgpr_kernarg_preload_length 0
		.amdhsa_user_sgpr_kernarg_preload_offset 0
		.amdhsa_user_sgpr_private_segment_size 0
		.amdhsa_uses_dynamic_stack 0
		.amdhsa_system_sgpr_private_segment_wavefront_offset 0
		.amdhsa_system_sgpr_workgroup_id_x 1
		.amdhsa_system_sgpr_workgroup_id_y 0
		.amdhsa_system_sgpr_workgroup_id_z 0
		.amdhsa_system_sgpr_workgroup_info 0
		.amdhsa_system_vgpr_workitem_id 0
		.amdhsa_next_free_vgpr 22
		.amdhsa_next_free_sgpr 96
		.amdhsa_accum_offset 24
		.amdhsa_reserve_vcc 1
		.amdhsa_reserve_flat_scratch 0
		.amdhsa_float_round_mode_32 0
		.amdhsa_float_round_mode_16_64 0
		.amdhsa_float_denorm_mode_32 3
		.amdhsa_float_denorm_mode_16_64 3
		.amdhsa_dx10_clamp 1
		.amdhsa_ieee_mode 1
		.amdhsa_fp16_overflow 0
		.amdhsa_tg_split 0
		.amdhsa_exception_fp_ieee_invalid_op 0
		.amdhsa_exception_fp_denorm_src 0
		.amdhsa_exception_fp_ieee_div_zero 0
		.amdhsa_exception_fp_ieee_overflow 0
		.amdhsa_exception_fp_ieee_underflow 0
		.amdhsa_exception_fp_ieee_inexact 0
		.amdhsa_exception_int_div_zero 0
	.end_amdhsa_kernel
	.section	.text._ZN9rocsparseL26csrgemm_fill_block_per_rowILj1024ELj64ELj8192ELj137ELj32Eli21rocsparse_complex_numIfEEEvT5_PKS3_S5_NS_24const_host_device_scalarIT6_EEPKT4_S5_PKS7_SB_S5_SD_S8_SB_S5_SD_SB_PS3_PS7_21rocsparse_index_base_SG_SG_SG_bbb,"axG",@progbits,_ZN9rocsparseL26csrgemm_fill_block_per_rowILj1024ELj64ELj8192ELj137ELj32Eli21rocsparse_complex_numIfEEEvT5_PKS3_S5_NS_24const_host_device_scalarIT6_EEPKT4_S5_PKS7_SB_S5_SD_S8_SB_S5_SD_SB_PS3_PS7_21rocsparse_index_base_SG_SG_SG_bbb,comdat
.Lfunc_end230:
	.size	_ZN9rocsparseL26csrgemm_fill_block_per_rowILj1024ELj64ELj8192ELj137ELj32Eli21rocsparse_complex_numIfEEEvT5_PKS3_S5_NS_24const_host_device_scalarIT6_EEPKT4_S5_PKS7_SB_S5_SD_S8_SB_S5_SD_SB_PS3_PS7_21rocsparse_index_base_SG_SG_SG_bbb, .Lfunc_end230-_ZN9rocsparseL26csrgemm_fill_block_per_rowILj1024ELj64ELj8192ELj137ELj32Eli21rocsparse_complex_numIfEEEvT5_PKS3_S5_NS_24const_host_device_scalarIT6_EEPKT4_S5_PKS7_SB_S5_SD_S8_SB_S5_SD_SB_PS3_PS7_21rocsparse_index_base_SG_SG_SG_bbb
                                        ; -- End function
	.section	.AMDGPU.csdata,"",@progbits
; Kernel info:
; codeLenInByte = 4960
; NumSgprs: 100
; NumVgprs: 22
; NumAgprs: 0
; TotalNumVgprs: 22
; ScratchSize: 0
; MemoryBound: 0
; FloatMode: 240
; IeeeMode: 1
; LDSByteSize: 0 bytes/workgroup (compile time only)
; SGPRBlocks: 12
; VGPRBlocks: 2
; NumSGPRsForWavesPerEU: 100
; NumVGPRsForWavesPerEU: 22
; AccumOffset: 24
; Occupancy: 8
; WaveLimiterHint : 1
; COMPUTE_PGM_RSRC2:SCRATCH_EN: 0
; COMPUTE_PGM_RSRC2:USER_SGPR: 6
; COMPUTE_PGM_RSRC2:TRAP_HANDLER: 0
; COMPUTE_PGM_RSRC2:TGID_X_EN: 1
; COMPUTE_PGM_RSRC2:TGID_Y_EN: 0
; COMPUTE_PGM_RSRC2:TGID_Z_EN: 0
; COMPUTE_PGM_RSRC2:TIDIG_COMP_CNT: 0
; COMPUTE_PGM_RSRC3_GFX90A:ACCUM_OFFSET: 5
; COMPUTE_PGM_RSRC3_GFX90A:TG_SPLIT: 0
	.section	.text._ZN9rocsparseL26csrgemm_fill_block_per_rowILj1024ELj64ELj8192ELj137ELj64Eli21rocsparse_complex_numIfEEEvT5_PKS3_S5_NS_24const_host_device_scalarIT6_EEPKT4_S5_PKS7_SB_S5_SD_S8_SB_S5_SD_SB_PS3_PS7_21rocsparse_index_base_SG_SG_SG_bbb,"axG",@progbits,_ZN9rocsparseL26csrgemm_fill_block_per_rowILj1024ELj64ELj8192ELj137ELj64Eli21rocsparse_complex_numIfEEEvT5_PKS3_S5_NS_24const_host_device_scalarIT6_EEPKT4_S5_PKS7_SB_S5_SD_S8_SB_S5_SD_SB_PS3_PS7_21rocsparse_index_base_SG_SG_SG_bbb,comdat
	.globl	_ZN9rocsparseL26csrgemm_fill_block_per_rowILj1024ELj64ELj8192ELj137ELj64Eli21rocsparse_complex_numIfEEEvT5_PKS3_S5_NS_24const_host_device_scalarIT6_EEPKT4_S5_PKS7_SB_S5_SD_S8_SB_S5_SD_SB_PS3_PS7_21rocsparse_index_base_SG_SG_SG_bbb ; -- Begin function _ZN9rocsparseL26csrgemm_fill_block_per_rowILj1024ELj64ELj8192ELj137ELj64Eli21rocsparse_complex_numIfEEEvT5_PKS3_S5_NS_24const_host_device_scalarIT6_EEPKT4_S5_PKS7_SB_S5_SD_S8_SB_S5_SD_SB_PS3_PS7_21rocsparse_index_base_SG_SG_SG_bbb
	.p2align	8
	.type	_ZN9rocsparseL26csrgemm_fill_block_per_rowILj1024ELj64ELj8192ELj137ELj64Eli21rocsparse_complex_numIfEEEvT5_PKS3_S5_NS_24const_host_device_scalarIT6_EEPKT4_S5_PKS7_SB_S5_SD_S8_SB_S5_SD_SB_PS3_PS7_21rocsparse_index_base_SG_SG_SG_bbb,@function
_ZN9rocsparseL26csrgemm_fill_block_per_rowILj1024ELj64ELj8192ELj137ELj64Eli21rocsparse_complex_numIfEEEvT5_PKS3_S5_NS_24const_host_device_scalarIT6_EEPKT4_S5_PKS7_SB_S5_SD_S8_SB_S5_SD_SB_PS3_PS7_21rocsparse_index_base_SG_SG_SG_bbb: ; @_ZN9rocsparseL26csrgemm_fill_block_per_rowILj1024ELj64ELj8192ELj137ELj64Eli21rocsparse_complex_numIfEEEvT5_PKS3_S5_NS_24const_host_device_scalarIT6_EEPKT4_S5_PKS7_SB_S5_SD_S8_SB_S5_SD_SB_PS3_PS7_21rocsparse_index_base_SG_SG_SG_bbb
; %bb.0:
	s_load_dwordx8 s[36:43], s[4:5], 0x60
	s_load_dwordx8 s[8:15], s[4:5], 0x40
	s_load_dword s7, s[4:5], 0x98
	s_load_dwordx4 s[24:27], s[4:5], 0x8
	s_load_dwordx8 s[16:23], s[4:5], 0x20
	s_load_dwordx2 s[34:35], s[4:5], 0x80
	s_load_dwordx4 s[44:47], s[4:5], 0x88
	s_waitcnt lgkmcnt(0)
	s_bitcmp1_b32 s7, 0
	s_cselect_b64 s[30:31], -1, 0
	s_bitcmp1_b32 s7, 16
	s_cselect_b64 s[0:1], -1, 0
	s_xor_b64 s[0:1], s[0:1], -1
	v_cndmask_b32_e64 v1, 0, 1, s[0:1]
	s_mov_b32 s3, 0
	s_bitcmp0_b32 s7, 0
	v_cmp_ne_u32_e64 s[0:1], 1, v1
	s_mov_b32 s58, 0
	s_cbranch_scc1 .LBB231_5
; %bb.1:
	s_load_dwordx2 s[2:3], s[4:5], 0x18
	s_and_b64 vcc, exec, s[0:1]
	s_waitcnt lgkmcnt(0)
	s_mov_b32 s58, s2
	s_cbranch_vccnz .LBB231_3
; %bb.2:
	s_load_dword s58, s[2:3], 0x0
.LBB231_3:
	s_and_b64 vcc, exec, s[0:1]
	s_cbranch_vccnz .LBB231_5
; %bb.4:
	s_load_dword s3, s[2:3], 0x4
.LBB231_5:
	s_bitcmp1_b32 s7, 8
	s_cselect_b64 s[28:29], -1, 0
	s_bfe_u32 s2, s7, 0x10008
	s_mov_b32 s57, 0
	s_cmp_eq_u32 s2, 0
	s_mov_b32 s56, 0
	s_cbranch_scc1 .LBB231_11
; %bb.6:
	s_and_b64 vcc, exec, s[0:1]
	s_mov_b32 s56, s12
	s_cbranch_vccnz .LBB231_8
; %bb.7:
	s_load_dword s56, s[12:13], 0x0
.LBB231_8:
	s_and_b64 vcc, exec, s[0:1]
	s_cbranch_vccnz .LBB231_10
; %bb.9:
	s_load_dword s13, s[12:13], 0x4
.LBB231_10:
	s_waitcnt lgkmcnt(0)
	s_mov_b32 s57, s13
.LBB231_11:
	s_load_dword s33, s[4:5], 0x0
	v_lshlrev_b32_e32 v2, 2, v0
	s_mov_b32 s0, 0x8000
	v_add_u32_e32 v1, 0, v2
	v_add3_u32 v2, v1, v2, s0
	v_mov_b32_e32 v4, 0
	s_waitcnt lgkmcnt(0)
	v_mov_b32_e32 v3, s33
	ds_write2_b32 v2, v4, v4 offset1:1
	v_mov_b32_e32 v2, s33
	s_add_i32 s0, 0, 0x8000
	ds_write2st64_b32 v1, v3, v2 offset1:16
	v_lshl_add_u32 v2, v0, 3, s0
	v_add_u32_e32 v3, 0x2000, v2
	v_add_u32_e32 v5, 0x4000, v2
	ds_write2_b32 v3, v4, v4 offset1:1
	v_mov_b32_e32 v3, s33
	ds_write2_b32 v5, v4, v4 offset1:1
	v_mov_b32_e32 v5, s33
	ds_write2st64_b32 v1, v3, v5 offset0:32 offset1:48
	v_add_u32_e32 v3, 0x6000, v2
	v_add_u32_e32 v5, 0x8000, v2
	ds_write2_b32 v3, v4, v4 offset1:1
	v_mov_b32_e32 v3, s33
	ds_write2_b32 v5, v4, v4 offset1:1
	v_mov_b32_e32 v5, s33
	ds_write2st64_b32 v1, v3, v5 offset0:64 offset1:80
	v_add_u32_e32 v3, 0xa000, v2
	v_add_u32_e32 v5, 0xc000, v2
	ds_write2_b32 v3, v4, v4 offset1:1
	v_mov_b32_e32 v3, s33
	ds_write2_b32 v5, v4, v4 offset1:1
	v_mov_b32_e32 v5, s33
	v_add_u32_e32 v2, 0xe000, v2
	ds_write2st64_b32 v1, v3, v5 offset0:96 offset1:112
	ds_write2_b32 v2, v4, v4 offset1:1
	s_waitcnt lgkmcnt(0)
	s_barrier
	s_load_dword s0, s[24:25], 0x0
	s_mov_b32 s1, 0
	v_lshrrev_b32_e32 v8, 6, v0
	s_waitcnt lgkmcnt(0)
	s_add_i32 s0, s0, s6
	s_lshl_b64 s[0:1], s[0:1], 2
	s_add_u32 s0, s26, s0
	s_addc_u32 s1, s27, s1
	s_load_dword s48, s[0:1], 0x0
	s_andn2_b64 vcc, exec, s[30:31]
	s_cbranch_vccnz .LBB231_31
; %bb.12:
	s_waitcnt lgkmcnt(0)
	s_ashr_i32 s49, s48, 31
	s_lshl_b64 s[0:1], s[48:49], 3
	s_add_u32 s0, s16, s0
	s_addc_u32 s1, s17, s1
	s_load_dwordx4 s[4:7], s[0:1], 0x0
	v_subrev_co_u32_e32 v2, vcc, s44, v8
	v_subb_co_u32_e64 v3, s[0:1], 0, 0, vcc
	s_waitcnt lgkmcnt(0)
	s_sub_u32 s0, s6, s44
	v_mov_b32_e32 v4, s5
	v_add_co_u32_e32 v2, vcc, s4, v2
	s_subb_u32 s1, s7, 0
	v_addc_co_u32_e32 v3, vcc, v4, v3, vcc
	v_cmp_gt_i64_e32 vcc, s[0:1], v[2:3]
	s_and_saveexec_b64 s[4:5], vcc
	s_cbranch_execz .LBB231_30
; %bb.13:
	v_and_b32_e32 v4, 63, v0
	v_subrev_co_u32_e32 v9, vcc, s45, v4
	s_mov_b32 s12, 0
	v_subb_co_u32_e64 v10, s[6:7], 0, 0, vcc
	s_mov_b32 s2, s45
	s_mov_b64 s[6:7], 0
	v_mov_b32_e32 v11, s19
	v_mov_b32_e32 v12, s23
	;; [unrolled: 1-line block ×3, first 2 shown]
	s_movk_i32 s19, 0x89
	s_branch .LBB231_15
.LBB231_14:                             ;   in Loop: Header=BB231_15 Depth=1
	s_or_b64 exec, exec, s[12:13]
	v_add_co_u32_e32 v2, vcc, 16, v2
	v_addc_co_u32_e32 v3, vcc, 0, v3, vcc
	v_cmp_le_i64_e32 vcc, s[0:1], v[2:3]
	s_or_b64 s[6:7], vcc, s[6:7]
	s_andn2_b64 exec, exec, s[6:7]
	s_cbranch_execz .LBB231_30
.LBB231_15:                             ; =>This Loop Header: Depth=1
                                        ;     Child Loop BB231_18 Depth 2
                                        ;       Child Loop BB231_20 Depth 3
	v_lshlrev_b64 v[4:5], 2, v[2:3]
	v_add_co_u32_e32 v4, vcc, s18, v4
	v_addc_co_u32_e32 v5, vcc, v11, v5, vcc
	global_load_dword v4, v[4:5], off
	s_waitcnt vmcnt(0)
	v_subrev_u32_e32 v4, s44, v4
	v_ashrrev_i32_e32 v5, 31, v4
	v_lshlrev_b64 v[4:5], 3, v[4:5]
	v_add_co_u32_e32 v4, vcc, s22, v4
	v_addc_co_u32_e32 v5, vcc, v12, v5, vcc
	global_load_dwordx4 v[14:17], v[4:5], off
	s_waitcnt vmcnt(0)
	v_subrev_co_u32_e32 v4, vcc, s2, v16
	v_subb_co_u32_e32 v5, vcc, v17, v13, vcc
	v_add_co_u32_e32 v6, vcc, v14, v9
	v_addc_co_u32_e32 v7, vcc, v15, v10, vcc
	v_cmp_lt_i64_e32 vcc, v[6:7], v[4:5]
	s_and_saveexec_b64 s[12:13], vcc
	s_cbranch_execz .LBB231_14
; %bb.16:                               ;   in Loop: Header=BB231_15 Depth=1
	v_lshlrev_b64 v[14:15], 3, v[2:3]
	v_mov_b32_e32 v16, s21
	v_add_co_u32_e32 v14, vcc, s20, v14
	v_addc_co_u32_e32 v15, vcc, v16, v15, vcc
	global_load_dwordx2 v[16:17], v[14:15], off
	s_mov_b64 s[16:17], 0
	s_waitcnt vmcnt(0)
	v_mul_f32_e64 v14, v17, -s3
	v_mul_f32_e32 v15, s58, v17
	v_fmac_f32_e32 v14, s58, v16
	v_fmac_f32_e32 v15, s3, v16
	s_branch .LBB231_18
.LBB231_17:                             ;   in Loop: Header=BB231_18 Depth=2
	s_or_b64 exec, exec, s[24:25]
	v_add_co_u32_e32 v6, vcc, 64, v6
	v_addc_co_u32_e32 v7, vcc, 0, v7, vcc
	v_cmp_ge_i64_e32 vcc, v[6:7], v[4:5]
	s_or_b64 s[16:17], vcc, s[16:17]
	s_andn2_b64 exec, exec, s[16:17]
	s_cbranch_execz .LBB231_14
.LBB231_18:                             ;   Parent Loop BB231_15 Depth=1
                                        ; =>  This Loop Header: Depth=2
                                        ;       Child Loop BB231_20 Depth 3
	v_lshlrev_b64 v[16:17], 2, v[6:7]
	v_mov_b32_e32 v18, s9
	v_add_co_u32_e32 v16, vcc, s8, v16
	v_addc_co_u32_e32 v17, vcc, v18, v17, vcc
	global_load_dword v18, v[16:17], off
	v_lshlrev_b64 v[16:17], 3, v[6:7]
	v_mov_b32_e32 v19, s11
	v_add_co_u32_e32 v16, vcc, s10, v16
	v_addc_co_u32_e32 v17, vcc, v19, v17, vcc
	global_load_dwordx2 v[20:21], v[16:17], off
	s_mov_b64 s[24:25], 0
	s_waitcnt vmcnt(1)
	v_subrev_u32_e32 v16, s45, v18
	v_mul_lo_u32 v19, v16, s19
	v_and_b32_e32 v19, 0x1fff, v19
	s_waitcnt vmcnt(0)
	v_mul_f32_e64 v17, v21, -v15
	v_mul_f32_e32 v18, v14, v21
	v_fmac_f32_e32 v17, v14, v20
	v_fmac_f32_e32 v18, v15, v20
	s_branch .LBB231_20
.LBB231_19:                             ;   in Loop: Header=BB231_20 Depth=3
	s_or_b64 exec, exec, s[26:27]
	s_xor_b64 s[26:27], s[30:31], -1
	s_and_b64 s[26:27], exec, s[26:27]
	s_or_b64 s[24:25], s[26:27], s[24:25]
	s_andn2_b64 exec, exec, s[24:25]
	s_cbranch_execz .LBB231_17
.LBB231_20:                             ;   Parent Loop BB231_15 Depth=1
                                        ;     Parent Loop BB231_18 Depth=2
                                        ; =>    This Inner Loop Header: Depth=3
	v_lshl_add_u32 v20, v19, 2, 0
	ds_read_b32 v21, v20
                                        ; implicit-def: $sgpr30_sgpr31
	s_waitcnt lgkmcnt(0)
	v_cmp_ne_u32_e32 vcc, v21, v16
	s_and_saveexec_b64 s[26:27], vcc
	s_xor_b64 s[26:27], exec, s[26:27]
	s_cbranch_execz .LBB231_28
; %bb.21:                               ;   in Loop: Header=BB231_20 Depth=3
	v_cmp_ne_u32_e32 vcc, s33, v21
                                        ; implicit-def: $sgpr30_sgpr31
	s_and_saveexec_b64 s[50:51], vcc
	s_xor_b64 s[50:51], exec, s[50:51]
; %bb.22:                               ;   in Loop: Header=BB231_20 Depth=3
	v_add_u32_e32 v19, 1, v19
	v_and_b32_e32 v19, 0x1fff, v19
	s_mov_b64 s[30:31], -1
                                        ; implicit-def: $vgpr20
; %bb.23:                               ;   in Loop: Header=BB231_20 Depth=3
	s_andn2_saveexec_b64 s[50:51], s[50:51]
	s_cbranch_execz .LBB231_27
; %bb.24:                               ;   in Loop: Header=BB231_20 Depth=3
	v_mov_b32_e32 v21, s33
	ds_cmpst_rtn_b32 v21, v20, v21, v16
	s_mov_b64 s[52:53], -1
	s_waitcnt lgkmcnt(0)
	v_cmp_eq_u32_e32 vcc, s33, v21
	s_and_saveexec_b64 s[54:55], vcc
	s_cbranch_execz .LBB231_26
; %bb.25:                               ;   in Loop: Header=BB231_20 Depth=3
	v_lshl_add_u32 v20, v19, 2, v20
	ds_add_f32 v20, v17 offset:32768
	ds_add_f32 v20, v18 offset:32772
	s_xor_b64 s[52:53], exec, -1
.LBB231_26:                             ;   in Loop: Header=BB231_20 Depth=3
	s_or_b64 exec, exec, s[54:55]
	s_andn2_b64 s[30:31], s[30:31], exec
	s_and_b64 s[52:53], s[52:53], exec
	s_or_b64 s[30:31], s[30:31], s[52:53]
.LBB231_27:                             ;   in Loop: Header=BB231_20 Depth=3
	s_or_b64 exec, exec, s[50:51]
	s_and_b64 s[30:31], s[30:31], exec
                                        ; implicit-def: $vgpr20
.LBB231_28:                             ;   in Loop: Header=BB231_20 Depth=3
	s_andn2_saveexec_b64 s[26:27], s[26:27]
	s_cbranch_execz .LBB231_19
; %bb.29:                               ;   in Loop: Header=BB231_20 Depth=3
	v_lshl_add_u32 v20, v19, 2, v20
	ds_add_f32 v20, v17 offset:32768
	ds_add_f32 v20, v18 offset:32772
	s_andn2_b64 s[30:31], s[30:31], exec
	s_branch .LBB231_19
.LBB231_30:
	s_or_b64 exec, exec, s[4:5]
.LBB231_31:
	s_andn2_b64 vcc, exec, s[28:29]
	s_cbranch_vccnz .LBB231_48
; %bb.32:
	s_waitcnt lgkmcnt(0)
	s_ashr_i32 s49, s48, 31
	s_lshl_b64 s[0:1], s[48:49], 3
	s_add_u32 s0, s14, s0
	s_addc_u32 s1, s15, s1
	s_load_dwordx4 s[4:7], s[0:1], 0x0
	v_subrev_co_u32_e32 v2, vcc, s47, v0
	v_subb_co_u32_e64 v3, s[0:1], 0, 0, vcc
	s_waitcnt lgkmcnt(0)
	s_sub_u32 s0, s6, s47
	v_mov_b32_e32 v4, s5
	v_add_co_u32_e32 v2, vcc, s4, v2
	s_subb_u32 s1, s7, 0
	v_addc_co_u32_e32 v3, vcc, v4, v3, vcc
	v_cmp_gt_i64_e32 vcc, s[0:1], v[2:3]
	s_and_saveexec_b64 s[2:3], vcc
	s_cbranch_execz .LBB231_47
; %bb.33:
	s_mov_b64 s[4:5], 0
	v_mov_b32_e32 v4, s37
	v_mov_b32_e32 v5, s39
	s_movk_i32 s18, 0x89
	s_branch .LBB231_35
.LBB231_34:                             ;   in Loop: Header=BB231_35 Depth=1
	s_or_b64 exec, exec, s[6:7]
	v_add_co_u32_e32 v2, vcc, 0x400, v2
	v_addc_co_u32_e32 v3, vcc, 0, v3, vcc
	v_cmp_le_i64_e32 vcc, s[0:1], v[2:3]
	s_or_b64 s[4:5], vcc, s[4:5]
	s_andn2_b64 exec, exec, s[4:5]
	s_cbranch_execz .LBB231_47
.LBB231_35:                             ; =>This Loop Header: Depth=1
                                        ;     Child Loop BB231_37 Depth 2
	v_lshlrev_b64 v[6:7], 2, v[2:3]
	v_add_co_u32_e32 v6, vcc, s36, v6
	v_addc_co_u32_e32 v7, vcc, v4, v7, vcc
	global_load_dword v9, v[6:7], off
	v_lshlrev_b64 v[6:7], 3, v[2:3]
	v_add_co_u32_e32 v6, vcc, s38, v6
	v_addc_co_u32_e32 v7, vcc, v5, v7, vcc
	global_load_dwordx2 v[10:11], v[6:7], off
	s_mov_b64 s[6:7], 0
	s_waitcnt vmcnt(1)
	v_subrev_u32_e32 v6, s47, v9
	s_waitcnt vmcnt(0)
	v_mul_f32_e64 v7, v11, -s57
	v_mul_f32_e32 v9, s56, v11
	v_fmac_f32_e32 v7, s56, v10
	v_fmac_f32_e32 v9, s57, v10
	v_mul_lo_u32 v10, v6, s18
	v_and_b32_e32 v10, 0x1fff, v10
	s_branch .LBB231_37
.LBB231_36:                             ;   in Loop: Header=BB231_37 Depth=2
	s_or_b64 exec, exec, s[8:9]
	s_xor_b64 s[8:9], s[10:11], -1
	s_and_b64 s[8:9], exec, s[8:9]
	s_or_b64 s[6:7], s[8:9], s[6:7]
	s_andn2_b64 exec, exec, s[6:7]
	s_cbranch_execz .LBB231_34
.LBB231_37:                             ;   Parent Loop BB231_35 Depth=1
                                        ; =>  This Inner Loop Header: Depth=2
	v_lshl_add_u32 v11, v10, 2, 0
	ds_read_b32 v12, v11
                                        ; implicit-def: $sgpr10_sgpr11
	s_waitcnt lgkmcnt(0)
	v_cmp_ne_u32_e32 vcc, v12, v6
	s_and_saveexec_b64 s[8:9], vcc
	s_xor_b64 s[8:9], exec, s[8:9]
	s_cbranch_execz .LBB231_45
; %bb.38:                               ;   in Loop: Header=BB231_37 Depth=2
	v_cmp_ne_u32_e32 vcc, s33, v12
                                        ; implicit-def: $sgpr10_sgpr11
	s_and_saveexec_b64 s[12:13], vcc
	s_xor_b64 s[12:13], exec, s[12:13]
; %bb.39:                               ;   in Loop: Header=BB231_37 Depth=2
	v_add_u32_e32 v10, 1, v10
	v_and_b32_e32 v10, 0x1fff, v10
	s_mov_b64 s[10:11], -1
                                        ; implicit-def: $vgpr11
; %bb.40:                               ;   in Loop: Header=BB231_37 Depth=2
	s_andn2_saveexec_b64 s[12:13], s[12:13]
	s_cbranch_execz .LBB231_44
; %bb.41:                               ;   in Loop: Header=BB231_37 Depth=2
	v_mov_b32_e32 v12, s33
	ds_cmpst_rtn_b32 v12, v11, v12, v6
	s_mov_b64 s[14:15], -1
	s_waitcnt lgkmcnt(0)
	v_cmp_eq_u32_e32 vcc, s33, v12
	s_and_saveexec_b64 s[16:17], vcc
	s_cbranch_execz .LBB231_43
; %bb.42:                               ;   in Loop: Header=BB231_37 Depth=2
	v_lshl_add_u32 v11, v10, 2, v11
	ds_add_f32 v11, v7 offset:32768
	ds_add_f32 v11, v9 offset:32772
	s_xor_b64 s[14:15], exec, -1
.LBB231_43:                             ;   in Loop: Header=BB231_37 Depth=2
	s_or_b64 exec, exec, s[16:17]
	s_andn2_b64 s[10:11], s[10:11], exec
	s_and_b64 s[14:15], s[14:15], exec
	s_or_b64 s[10:11], s[10:11], s[14:15]
.LBB231_44:                             ;   in Loop: Header=BB231_37 Depth=2
	s_or_b64 exec, exec, s[12:13]
	s_and_b64 s[10:11], s[10:11], exec
                                        ; implicit-def: $vgpr11
.LBB231_45:                             ;   in Loop: Header=BB231_37 Depth=2
	s_andn2_saveexec_b64 s[8:9], s[8:9]
	s_cbranch_execz .LBB231_36
; %bb.46:                               ;   in Loop: Header=BB231_37 Depth=2
	v_lshl_add_u32 v11, v10, 2, v11
	ds_add_f32 v11, v7 offset:32768
	ds_add_f32 v11, v9 offset:32772
	s_andn2_b64 s[10:11], s[10:11], exec
	s_branch .LBB231_36
.LBB231_47:
	s_or_b64 exec, exec, s[2:3]
.LBB231_48:
	v_mbcnt_lo_u32_b32 v2, -1, 0
	v_mbcnt_hi_u32_b32 v2, -1, v2
	v_sub_u32_e32 v2, 63, v2
	s_add_i32 s44, 0, 0x18000
	s_movk_i32 s0, 0x3ff
	s_movk_i32 s2, 0x7f
	;; [unrolled: 1-line block ×15, first 2 shown]
	v_lshl_add_u32 v4, v0, 3, 0
	s_add_i32 s61, 0, 0x1803c
	v_mov_b32_e32 v6, 0
	v_lshrrev_b64 v[2:3], v2, -1
	v_lshl_add_u32 v7, v8, 2, s44
	v_cmp_eq_u32_e32 vcc, s0, v0
	v_cmp_lt_u32_e64 s[0:1], 63, v0
	v_cmp_lt_u32_e64 s[2:3], s2, v0
	;; [unrolled: 1-line block ×15, first 2 shown]
	v_add_u32_e32 v8, 0x8000, v4
	v_or_b32_e32 v9, 0xfffffc00, v0
	s_mov_b64 s[36:37], 0
	s_add_i32 s45, 0, 0x18004
	s_add_i32 s47, 0, 0x18008
	s_add_i32 s49, 0, 0x1800c
	s_add_i32 s50, 0, 0x18010
	s_add_i32 s51, 0, 0x18014
	s_add_i32 s52, 0, 0x18018
	s_add_i32 s53, 0, 0x1801c
	s_add_i32 s54, 0, 0x18020
	s_add_i32 s55, 0, 0x18024
	s_add_i32 s56, 0, 0x18028
	s_add_i32 s57, 0, 0x1802c
	s_add_i32 s58, 0, 0x18030
	s_add_i32 s59, 0, 0x18034
	s_add_i32 s60, 0, 0x18038
	v_mov_b32_e32 v10, s61
	s_movk_i32 s62, 0x1bff
	s_waitcnt lgkmcnt(0)
	s_barrier
	s_branch .LBB231_50
.LBB231_49:                             ;   in Loop: Header=BB231_50 Depth=1
	s_or_b64 exec, exec, s[30:31]
	s_waitcnt lgkmcnt(0)
	s_barrier
	ds_read_b32 v4, v10
	v_add_u32_e32 v9, 0x400, v9
	v_cmp_lt_u32_e64 s[30:31], s62, v9
	v_add_u32_e32 v8, 0x2000, v8
	s_or_b64 s[36:37], s[30:31], s[36:37]
	s_waitcnt lgkmcnt(0)
	v_add_u32_e32 v6, v4, v6
	v_add_u32_e32 v1, 0x1000, v1
	s_andn2_b64 exec, exec, s[36:37]
	s_cbranch_execz .LBB231_84
.LBB231_50:                             ; =>This Inner Loop Header: Depth=1
	ds_read_b32 v11, v1
	ds_read2_b32 v[4:5], v8 offset1:1
	s_waitcnt lgkmcnt(0)
	s_barrier
	v_cmp_gt_i32_e64 s[30:31], s33, v11
	v_and_b32_e32 v13, s30, v2
	s_bcnt1_i32_b64 s38, s[30:31]
	v_and_b32_e32 v12, s31, v3
	v_bcnt_u32_b32 v13, v13, 0
	v_bcnt_u32_b32 v12, v12, v13
	v_mov_b32_e32 v13, s38
	ds_write_b32 v7, v13
	s_waitcnt lgkmcnt(0)
	s_barrier
	s_and_saveexec_b64 s[38:39], s[0:1]
	s_cbranch_execnz .LBB231_67
; %bb.51:                               ;   in Loop: Header=BB231_50 Depth=1
	s_or_b64 exec, exec, s[38:39]
	s_and_saveexec_b64 s[38:39], s[2:3]
	s_cbranch_execnz .LBB231_68
.LBB231_52:                             ;   in Loop: Header=BB231_50 Depth=1
	s_or_b64 exec, exec, s[38:39]
	s_and_saveexec_b64 s[38:39], s[4:5]
	s_cbranch_execnz .LBB231_69
.LBB231_53:                             ;   in Loop: Header=BB231_50 Depth=1
	s_or_b64 exec, exec, s[38:39]
	s_and_saveexec_b64 s[38:39], s[6:7]
	s_cbranch_execnz .LBB231_70
.LBB231_54:                             ;   in Loop: Header=BB231_50 Depth=1
	s_or_b64 exec, exec, s[38:39]
	s_and_saveexec_b64 s[38:39], s[8:9]
	s_cbranch_execnz .LBB231_71
.LBB231_55:                             ;   in Loop: Header=BB231_50 Depth=1
	s_or_b64 exec, exec, s[38:39]
	s_and_saveexec_b64 s[38:39], s[10:11]
	s_cbranch_execnz .LBB231_72
.LBB231_56:                             ;   in Loop: Header=BB231_50 Depth=1
	s_or_b64 exec, exec, s[38:39]
	s_and_saveexec_b64 s[38:39], s[12:13]
	s_cbranch_execnz .LBB231_73
.LBB231_57:                             ;   in Loop: Header=BB231_50 Depth=1
	s_or_b64 exec, exec, s[38:39]
	s_and_saveexec_b64 s[38:39], s[14:15]
	s_cbranch_execnz .LBB231_74
.LBB231_58:                             ;   in Loop: Header=BB231_50 Depth=1
	s_or_b64 exec, exec, s[38:39]
	s_and_saveexec_b64 s[38:39], s[16:17]
	s_cbranch_execnz .LBB231_75
.LBB231_59:                             ;   in Loop: Header=BB231_50 Depth=1
	s_or_b64 exec, exec, s[38:39]
	s_and_saveexec_b64 s[38:39], s[18:19]
	s_cbranch_execnz .LBB231_76
.LBB231_60:                             ;   in Loop: Header=BB231_50 Depth=1
	s_or_b64 exec, exec, s[38:39]
	s_and_saveexec_b64 s[38:39], s[20:21]
	s_cbranch_execnz .LBB231_77
.LBB231_61:                             ;   in Loop: Header=BB231_50 Depth=1
	s_or_b64 exec, exec, s[38:39]
	s_and_saveexec_b64 s[38:39], s[22:23]
	s_cbranch_execnz .LBB231_78
.LBB231_62:                             ;   in Loop: Header=BB231_50 Depth=1
	s_or_b64 exec, exec, s[38:39]
	s_and_saveexec_b64 s[38:39], s[24:25]
	s_cbranch_execnz .LBB231_79
.LBB231_63:                             ;   in Loop: Header=BB231_50 Depth=1
	s_or_b64 exec, exec, s[38:39]
	s_and_saveexec_b64 s[38:39], s[26:27]
	s_cbranch_execnz .LBB231_80
.LBB231_64:                             ;   in Loop: Header=BB231_50 Depth=1
	s_or_b64 exec, exec, s[38:39]
	s_and_saveexec_b64 s[38:39], s[28:29]
	s_cbranch_execnz .LBB231_81
.LBB231_65:                             ;   in Loop: Header=BB231_50 Depth=1
	s_or_b64 exec, exec, s[38:39]
	s_and_saveexec_b64 s[38:39], s[30:31]
	s_cbranch_execnz .LBB231_82
.LBB231_66:                             ;   in Loop: Header=BB231_50 Depth=1
	s_or_b64 exec, exec, s[38:39]
	s_and_saveexec_b64 s[30:31], vcc
	s_cbranch_execz .LBB231_49
	s_branch .LBB231_83
.LBB231_67:                             ;   in Loop: Header=BB231_50 Depth=1
	v_mov_b32_e32 v13, s44
	ds_read_b32 v13, v13
	s_waitcnt lgkmcnt(0)
	v_add_u32_e32 v12, v13, v12
	s_or_b64 exec, exec, s[38:39]
	s_and_saveexec_b64 s[38:39], s[2:3]
	s_cbranch_execz .LBB231_52
.LBB231_68:                             ;   in Loop: Header=BB231_50 Depth=1
	v_mov_b32_e32 v13, s45
	ds_read_b32 v13, v13
	s_waitcnt lgkmcnt(0)
	v_add_u32_e32 v12, v13, v12
	s_or_b64 exec, exec, s[38:39]
	s_and_saveexec_b64 s[38:39], s[4:5]
	s_cbranch_execz .LBB231_53
.LBB231_69:                             ;   in Loop: Header=BB231_50 Depth=1
	v_mov_b32_e32 v13, s47
	ds_read_b32 v13, v13
	s_waitcnt lgkmcnt(0)
	v_add_u32_e32 v12, v13, v12
	s_or_b64 exec, exec, s[38:39]
	s_and_saveexec_b64 s[38:39], s[6:7]
	s_cbranch_execz .LBB231_54
.LBB231_70:                             ;   in Loop: Header=BB231_50 Depth=1
	v_mov_b32_e32 v13, s49
	ds_read_b32 v13, v13
	s_waitcnt lgkmcnt(0)
	v_add_u32_e32 v12, v13, v12
	s_or_b64 exec, exec, s[38:39]
	s_and_saveexec_b64 s[38:39], s[8:9]
	s_cbranch_execz .LBB231_55
.LBB231_71:                             ;   in Loop: Header=BB231_50 Depth=1
	v_mov_b32_e32 v13, s50
	ds_read_b32 v13, v13
	s_waitcnt lgkmcnt(0)
	v_add_u32_e32 v12, v13, v12
	s_or_b64 exec, exec, s[38:39]
	s_and_saveexec_b64 s[38:39], s[10:11]
	s_cbranch_execz .LBB231_56
.LBB231_72:                             ;   in Loop: Header=BB231_50 Depth=1
	v_mov_b32_e32 v13, s51
	ds_read_b32 v13, v13
	s_waitcnt lgkmcnt(0)
	v_add_u32_e32 v12, v13, v12
	s_or_b64 exec, exec, s[38:39]
	s_and_saveexec_b64 s[38:39], s[12:13]
	s_cbranch_execz .LBB231_57
.LBB231_73:                             ;   in Loop: Header=BB231_50 Depth=1
	v_mov_b32_e32 v13, s52
	ds_read_b32 v13, v13
	s_waitcnt lgkmcnt(0)
	v_add_u32_e32 v12, v13, v12
	s_or_b64 exec, exec, s[38:39]
	s_and_saveexec_b64 s[38:39], s[14:15]
	s_cbranch_execz .LBB231_58
.LBB231_74:                             ;   in Loop: Header=BB231_50 Depth=1
	v_mov_b32_e32 v13, s53
	ds_read_b32 v13, v13
	s_waitcnt lgkmcnt(0)
	v_add_u32_e32 v12, v13, v12
	s_or_b64 exec, exec, s[38:39]
	s_and_saveexec_b64 s[38:39], s[16:17]
	s_cbranch_execz .LBB231_59
.LBB231_75:                             ;   in Loop: Header=BB231_50 Depth=1
	v_mov_b32_e32 v13, s54
	ds_read_b32 v13, v13
	s_waitcnt lgkmcnt(0)
	v_add_u32_e32 v12, v13, v12
	s_or_b64 exec, exec, s[38:39]
	s_and_saveexec_b64 s[38:39], s[18:19]
	s_cbranch_execz .LBB231_60
.LBB231_76:                             ;   in Loop: Header=BB231_50 Depth=1
	v_mov_b32_e32 v13, s55
	ds_read_b32 v13, v13
	s_waitcnt lgkmcnt(0)
	v_add_u32_e32 v12, v13, v12
	s_or_b64 exec, exec, s[38:39]
	s_and_saveexec_b64 s[38:39], s[20:21]
	s_cbranch_execz .LBB231_61
.LBB231_77:                             ;   in Loop: Header=BB231_50 Depth=1
	v_mov_b32_e32 v13, s56
	ds_read_b32 v13, v13
	s_waitcnt lgkmcnt(0)
	v_add_u32_e32 v12, v13, v12
	s_or_b64 exec, exec, s[38:39]
	s_and_saveexec_b64 s[38:39], s[22:23]
	s_cbranch_execz .LBB231_62
.LBB231_78:                             ;   in Loop: Header=BB231_50 Depth=1
	v_mov_b32_e32 v13, s57
	ds_read_b32 v13, v13
	s_waitcnt lgkmcnt(0)
	v_add_u32_e32 v12, v13, v12
	s_or_b64 exec, exec, s[38:39]
	s_and_saveexec_b64 s[38:39], s[24:25]
	s_cbranch_execz .LBB231_63
.LBB231_79:                             ;   in Loop: Header=BB231_50 Depth=1
	v_mov_b32_e32 v13, s58
	ds_read_b32 v13, v13
	s_waitcnt lgkmcnt(0)
	v_add_u32_e32 v12, v13, v12
	s_or_b64 exec, exec, s[38:39]
	s_and_saveexec_b64 s[38:39], s[26:27]
	s_cbranch_execz .LBB231_64
.LBB231_80:                             ;   in Loop: Header=BB231_50 Depth=1
	v_mov_b32_e32 v13, s59
	ds_read_b32 v13, v13
	s_waitcnt lgkmcnt(0)
	v_add_u32_e32 v12, v13, v12
	s_or_b64 exec, exec, s[38:39]
	s_and_saveexec_b64 s[38:39], s[28:29]
	s_cbranch_execz .LBB231_65
.LBB231_81:                             ;   in Loop: Header=BB231_50 Depth=1
	v_mov_b32_e32 v13, s60
	ds_read_b32 v13, v13
	s_waitcnt lgkmcnt(0)
	v_add_u32_e32 v12, v13, v12
	s_or_b64 exec, exec, s[38:39]
	s_and_saveexec_b64 s[38:39], s[30:31]
	s_cbranch_execz .LBB231_66
.LBB231_82:                             ;   in Loop: Header=BB231_50 Depth=1
	v_add3_u32 v13, v6, -1, v12
	v_lshl_add_u32 v14, v13, 2, 0
	v_lshl_add_u32 v13, v13, 3, 0
	v_add_u32_e32 v13, 0x8000, v13
	ds_write_b32 v14, v11
	ds_write2_b32 v13, v4, v5 offset1:1
	s_or_b64 exec, exec, s[38:39]
	s_and_saveexec_b64 s[30:31], vcc
	s_cbranch_execz .LBB231_49
.LBB231_83:                             ;   in Loop: Header=BB231_50 Depth=1
	v_mov_b32_e32 v4, s61
	ds_write_b32 v4, v12
	s_branch .LBB231_49
.LBB231_84:
	s_or_b64 exec, exec, s[36:37]
	s_ashr_i32 s49, s48, 31
	s_lshl_b64 s[0:1], s[48:49], 3
	s_add_u32 s0, s40, s0
	s_addc_u32 s1, s41, s1
	s_load_dwordx4 s[0:3], s[0:1], 0x0
	s_waitcnt lgkmcnt(0)
	s_sub_i32 s8, s2, s0
	v_cmp_gt_i32_e32 vcc, s8, v0
	s_and_saveexec_b64 s[4:5], vcc
	s_cbranch_execz .LBB231_94
; %bb.85:
	s_sub_u32 s4, s0, s46
	s_subb_u32 s5, s1, 0
	s_and_b32 s9, s8, 7
	s_sub_i32 s0, s0, s2
	s_cmp_lt_u32 s0, -7
	s_cselect_b64 s[0:1], -1, 0
	s_and_b32 s10, s8, -8
	s_cmp_lg_u32 s9, 0
	v_cndmask_b32_e64 v1, 0, 1, s[0:1]
	s_cselect_b64 s[2:3], -1, 0
	v_cmp_ne_u32_e64 s[0:1], 1, v1
	v_cndmask_b32_e64 v1, 0, 1, s[2:3]
	s_mov_b64 s[6:7], 0
	s_mov_b32 s11, 0x8000
	v_cmp_ne_u32_e64 s[2:3], 1, v1
	s_branch .LBB231_87
.LBB231_86:                             ;   in Loop: Header=BB231_87 Depth=1
	v_lshlrev_b64 v[6:7], 2, v[4:5]
	v_mov_b32_e32 v8, s43
	v_add_co_u32_e32 v6, vcc, s42, v6
	s_waitcnt lgkmcnt(1)
	v_add_u32_e32 v1, s46, v1
	v_addc_co_u32_e32 v7, vcc, v8, v7, vcc
	v_lshlrev_b64 v[4:5], 3, v[4:5]
	global_store_dword v[6:7], v1, off
	v_mov_b32_e32 v1, s35
	v_add_co_u32_e32 v4, vcc, s34, v4
	v_addc_co_u32_e32 v5, vcc, v1, v5, vcc
	v_add_u32_e32 v0, 0x400, v0
	v_cmp_le_i32_e32 vcc, s8, v0
	s_or_b64 s[6:7], vcc, s[6:7]
	s_waitcnt lgkmcnt(0)
	global_store_dwordx2 v[4:5], v[2:3], off
	s_andn2_b64 exec, exec, s[6:7]
	s_cbranch_execz .LBB231_94
.LBB231_87:                             ; =>This Loop Header: Depth=1
                                        ;     Child Loop BB231_89 Depth 2
                                        ;     Child Loop BB231_93 Depth 2
	v_lshlrev_b32_e32 v1, 2, v0
	v_add_u32_e32 v2, 0, v1
	v_add3_u32 v3, v2, v1, s11
	ds_read_b32 v1, v2
	ds_read2_b32 v[2:3], v3 offset1:1
	s_and_b64 vcc, exec, s[0:1]
	v_pk_mov_b32 v[4:5], s[4:5], s[4:5] op_sel:[0,1]
	s_mov_b32 s12, 0
	s_cbranch_vccnz .LBB231_91
; %bb.88:                               ;   in Loop: Header=BB231_87 Depth=1
	s_mov_b32 s13, 0
	v_pk_mov_b32 v[4:5], s[4:5], s[4:5] op_sel:[0,1]
.LBB231_89:                             ;   Parent Loop BB231_87 Depth=1
                                        ; =>  This Inner Loop Header: Depth=2
	v_mov_b32_e32 v12, s13
	ds_read2_b32 v[6:7], v12 offset1:1
	ds_read2_b32 v[8:9], v12 offset0:2 offset1:3
	ds_read2_b32 v[10:11], v12 offset0:4 offset1:5
	;; [unrolled: 1-line block ×3, first 2 shown]
	s_add_i32 s12, s12, 8
	s_waitcnt lgkmcnt(3)
	v_cmp_gt_i32_e32 vcc, v1, v6
	v_cndmask_b32_e64 v6, 0, 1, vcc
	v_cmp_gt_i32_e32 vcc, v1, v7
	v_cndmask_b32_e64 v7, 0, 1, vcc
	s_waitcnt lgkmcnt(2)
	v_cmp_gt_i32_e32 vcc, v1, v8
	v_cndmask_b32_e64 v8, 0, 1, vcc
	v_cmp_gt_i32_e32 vcc, v1, v9
	v_cndmask_b32_e64 v9, 0, 1, vcc
	;; [unrolled: 5-line block ×4, first 2 shown]
	v_add_co_u32_e32 v4, vcc, v4, v6
	v_addc_co_u32_e32 v5, vcc, 0, v5, vcc
	v_add_co_u32_e32 v4, vcc, v4, v7
	v_addc_co_u32_e32 v5, vcc, 0, v5, vcc
	;; [unrolled: 2-line block ×7, first 2 shown]
	s_add_i32 s13, s13, 32
	v_add_co_u32_e32 v4, vcc, v4, v13
	s_cmp_eq_u32 s10, s12
	v_addc_co_u32_e32 v5, vcc, 0, v5, vcc
	s_cbranch_scc0 .LBB231_89
; %bb.90:                               ;   in Loop: Header=BB231_87 Depth=1
	s_mov_b32 s12, s10
.LBB231_91:                             ;   in Loop: Header=BB231_87 Depth=1
	s_and_b64 vcc, exec, s[2:3]
	s_cbranch_vccnz .LBB231_86
; %bb.92:                               ;   in Loop: Header=BB231_87 Depth=1
	s_lshl_b32 s12, s12, 2
	s_add_i32 s12, s12, 0
	s_mov_b32 s13, s9
.LBB231_93:                             ;   Parent Loop BB231_87 Depth=1
                                        ; =>  This Inner Loop Header: Depth=2
	v_mov_b32_e32 v6, s12
	ds_read_b32 v6, v6
	s_add_i32 s12, s12, 4
	s_add_i32 s13, s13, -1
	s_cmp_lg_u32 s13, 0
	s_waitcnt lgkmcnt(0)
	v_cmp_gt_i32_e32 vcc, v1, v6
	v_cndmask_b32_e64 v6, 0, 1, vcc
	v_add_co_u32_e32 v4, vcc, v4, v6
	v_addc_co_u32_e32 v5, vcc, 0, v5, vcc
	s_cbranch_scc1 .LBB231_93
	s_branch .LBB231_86
.LBB231_94:
	s_endpgm
	.section	.rodata,"a",@progbits
	.p2align	6, 0x0
	.amdhsa_kernel _ZN9rocsparseL26csrgemm_fill_block_per_rowILj1024ELj64ELj8192ELj137ELj64Eli21rocsparse_complex_numIfEEEvT5_PKS3_S5_NS_24const_host_device_scalarIT6_EEPKT4_S5_PKS7_SB_S5_SD_S8_SB_S5_SD_SB_PS3_PS7_21rocsparse_index_base_SG_SG_SG_bbb
		.amdhsa_group_segment_fixed_size 0
		.amdhsa_private_segment_fixed_size 0
		.amdhsa_kernarg_size 156
		.amdhsa_user_sgpr_count 6
		.amdhsa_user_sgpr_private_segment_buffer 1
		.amdhsa_user_sgpr_dispatch_ptr 0
		.amdhsa_user_sgpr_queue_ptr 0
		.amdhsa_user_sgpr_kernarg_segment_ptr 1
		.amdhsa_user_sgpr_dispatch_id 0
		.amdhsa_user_sgpr_flat_scratch_init 0
		.amdhsa_user_sgpr_kernarg_preload_length 0
		.amdhsa_user_sgpr_kernarg_preload_offset 0
		.amdhsa_user_sgpr_private_segment_size 0
		.amdhsa_uses_dynamic_stack 0
		.amdhsa_system_sgpr_private_segment_wavefront_offset 0
		.amdhsa_system_sgpr_workgroup_id_x 1
		.amdhsa_system_sgpr_workgroup_id_y 0
		.amdhsa_system_sgpr_workgroup_id_z 0
		.amdhsa_system_sgpr_workgroup_info 0
		.amdhsa_system_vgpr_workitem_id 0
		.amdhsa_next_free_vgpr 22
		.amdhsa_next_free_sgpr 63
		.amdhsa_accum_offset 24
		.amdhsa_reserve_vcc 1
		.amdhsa_reserve_flat_scratch 0
		.amdhsa_float_round_mode_32 0
		.amdhsa_float_round_mode_16_64 0
		.amdhsa_float_denorm_mode_32 3
		.amdhsa_float_denorm_mode_16_64 3
		.amdhsa_dx10_clamp 1
		.amdhsa_ieee_mode 1
		.amdhsa_fp16_overflow 0
		.amdhsa_tg_split 0
		.amdhsa_exception_fp_ieee_invalid_op 0
		.amdhsa_exception_fp_denorm_src 0
		.amdhsa_exception_fp_ieee_div_zero 0
		.amdhsa_exception_fp_ieee_overflow 0
		.amdhsa_exception_fp_ieee_underflow 0
		.amdhsa_exception_fp_ieee_inexact 0
		.amdhsa_exception_int_div_zero 0
	.end_amdhsa_kernel
	.section	.text._ZN9rocsparseL26csrgemm_fill_block_per_rowILj1024ELj64ELj8192ELj137ELj64Eli21rocsparse_complex_numIfEEEvT5_PKS3_S5_NS_24const_host_device_scalarIT6_EEPKT4_S5_PKS7_SB_S5_SD_S8_SB_S5_SD_SB_PS3_PS7_21rocsparse_index_base_SG_SG_SG_bbb,"axG",@progbits,_ZN9rocsparseL26csrgemm_fill_block_per_rowILj1024ELj64ELj8192ELj137ELj64Eli21rocsparse_complex_numIfEEEvT5_PKS3_S5_NS_24const_host_device_scalarIT6_EEPKT4_S5_PKS7_SB_S5_SD_S8_SB_S5_SD_SB_PS3_PS7_21rocsparse_index_base_SG_SG_SG_bbb,comdat
.Lfunc_end231:
	.size	_ZN9rocsparseL26csrgemm_fill_block_per_rowILj1024ELj64ELj8192ELj137ELj64Eli21rocsparse_complex_numIfEEEvT5_PKS3_S5_NS_24const_host_device_scalarIT6_EEPKT4_S5_PKS7_SB_S5_SD_S8_SB_S5_SD_SB_PS3_PS7_21rocsparse_index_base_SG_SG_SG_bbb, .Lfunc_end231-_ZN9rocsparseL26csrgemm_fill_block_per_rowILj1024ELj64ELj8192ELj137ELj64Eli21rocsparse_complex_numIfEEEvT5_PKS3_S5_NS_24const_host_device_scalarIT6_EEPKT4_S5_PKS7_SB_S5_SD_S8_SB_S5_SD_SB_PS3_PS7_21rocsparse_index_base_SG_SG_SG_bbb
                                        ; -- End function
	.section	.AMDGPU.csdata,"",@progbits
; Kernel info:
; codeLenInByte = 3580
; NumSgprs: 67
; NumVgprs: 22
; NumAgprs: 0
; TotalNumVgprs: 22
; ScratchSize: 0
; MemoryBound: 0
; FloatMode: 240
; IeeeMode: 1
; LDSByteSize: 0 bytes/workgroup (compile time only)
; SGPRBlocks: 8
; VGPRBlocks: 2
; NumSGPRsForWavesPerEU: 67
; NumVGPRsForWavesPerEU: 22
; AccumOffset: 24
; Occupancy: 8
; WaveLimiterHint : 1
; COMPUTE_PGM_RSRC2:SCRATCH_EN: 0
; COMPUTE_PGM_RSRC2:USER_SGPR: 6
; COMPUTE_PGM_RSRC2:TRAP_HANDLER: 0
; COMPUTE_PGM_RSRC2:TGID_X_EN: 1
; COMPUTE_PGM_RSRC2:TGID_Y_EN: 0
; COMPUTE_PGM_RSRC2:TGID_Z_EN: 0
; COMPUTE_PGM_RSRC2:TIDIG_COMP_CNT: 0
; COMPUTE_PGM_RSRC3_GFX90A:ACCUM_OFFSET: 5
; COMPUTE_PGM_RSRC3_GFX90A:TG_SPLIT: 0
	.section	.text._ZN9rocsparseL26csrgemm_fill_block_per_rowILj1024ELj64ELj16384ELj137ELj32Eli21rocsparse_complex_numIfEEEvT5_PKS3_S5_NS_24const_host_device_scalarIT6_EEPKT4_S5_PKS7_SB_S5_SD_S8_SB_S5_SD_SB_PS3_PS7_21rocsparse_index_base_SG_SG_SG_bbb,"axG",@progbits,_ZN9rocsparseL26csrgemm_fill_block_per_rowILj1024ELj64ELj16384ELj137ELj32Eli21rocsparse_complex_numIfEEEvT5_PKS3_S5_NS_24const_host_device_scalarIT6_EEPKT4_S5_PKS7_SB_S5_SD_S8_SB_S5_SD_SB_PS3_PS7_21rocsparse_index_base_SG_SG_SG_bbb,comdat
	.globl	_ZN9rocsparseL26csrgemm_fill_block_per_rowILj1024ELj64ELj16384ELj137ELj32Eli21rocsparse_complex_numIfEEEvT5_PKS3_S5_NS_24const_host_device_scalarIT6_EEPKT4_S5_PKS7_SB_S5_SD_S8_SB_S5_SD_SB_PS3_PS7_21rocsparse_index_base_SG_SG_SG_bbb ; -- Begin function _ZN9rocsparseL26csrgemm_fill_block_per_rowILj1024ELj64ELj16384ELj137ELj32Eli21rocsparse_complex_numIfEEEvT5_PKS3_S5_NS_24const_host_device_scalarIT6_EEPKT4_S5_PKS7_SB_S5_SD_S8_SB_S5_SD_SB_PS3_PS7_21rocsparse_index_base_SG_SG_SG_bbb
	.p2align	8
	.type	_ZN9rocsparseL26csrgemm_fill_block_per_rowILj1024ELj64ELj16384ELj137ELj32Eli21rocsparse_complex_numIfEEEvT5_PKS3_S5_NS_24const_host_device_scalarIT6_EEPKT4_S5_PKS7_SB_S5_SD_S8_SB_S5_SD_SB_PS3_PS7_21rocsparse_index_base_SG_SG_SG_bbb,@function
_ZN9rocsparseL26csrgemm_fill_block_per_rowILj1024ELj64ELj16384ELj137ELj32Eli21rocsparse_complex_numIfEEEvT5_PKS3_S5_NS_24const_host_device_scalarIT6_EEPKT4_S5_PKS7_SB_S5_SD_S8_SB_S5_SD_SB_PS3_PS7_21rocsparse_index_base_SG_SG_SG_bbb: ; @_ZN9rocsparseL26csrgemm_fill_block_per_rowILj1024ELj64ELj16384ELj137ELj32Eli21rocsparse_complex_numIfEEEvT5_PKS3_S5_NS_24const_host_device_scalarIT6_EEPKT4_S5_PKS7_SB_S5_SD_S8_SB_S5_SD_SB_PS3_PS7_21rocsparse_index_base_SG_SG_SG_bbb
; %bb.0:
	s_load_dwordx8 s[48:55], s[4:5], 0x60
	s_load_dwordx8 s[8:15], s[4:5], 0x40
	s_load_dword s7, s[4:5], 0x98
	s_load_dwordx4 s[24:27], s[4:5], 0x8
	s_load_dwordx8 s[16:23], s[4:5], 0x20
	s_load_dwordx2 s[0:1], s[4:5], 0x80
                                        ; implicit-def: $vgpr23 : SGPR spill to VGPR lane
	s_load_dwordx4 s[72:75], s[4:5], 0x88
	s_waitcnt lgkmcnt(0)
	s_bitcmp1_b32 s7, 0
	s_cselect_b64 s[30:31], -1, 0
	s_bitcmp1_b32 s7, 16
	v_writelane_b32 v23, s0, 0
	v_writelane_b32 v23, s1, 1
	s_cselect_b64 s[0:1], -1, 0
	s_xor_b64 s[0:1], s[0:1], -1
	v_cndmask_b32_e64 v1, 0, 1, s[0:1]
	s_mov_b32 s3, 0
	s_bitcmp0_b32 s7, 0
	v_cmp_ne_u32_e64 s[0:1], 1, v1
	s_mov_b32 s42, 0
	s_cbranch_scc1 .LBB232_5
; %bb.1:
	s_load_dwordx2 s[2:3], s[4:5], 0x18
	s_and_b64 vcc, exec, s[0:1]
	s_waitcnt lgkmcnt(0)
	s_mov_b32 s42, s2
	s_cbranch_vccnz .LBB232_3
; %bb.2:
	s_load_dword s42, s[2:3], 0x0
.LBB232_3:
	s_and_b64 vcc, exec, s[0:1]
	s_cbranch_vccnz .LBB232_5
; %bb.4:
	s_load_dword s3, s[2:3], 0x4
.LBB232_5:
	s_bitcmp1_b32 s7, 8
	s_cselect_b64 s[28:29], -1, 0
	s_bfe_u32 s2, s7, 0x10008
	s_mov_b32 s41, 0
	s_cmp_eq_u32 s2, 0
	s_mov_b32 s40, 0
	s_cbranch_scc1 .LBB232_11
; %bb.6:
	s_and_b64 vcc, exec, s[0:1]
	s_mov_b32 s40, s12
	s_cbranch_vccnz .LBB232_8
; %bb.7:
	s_load_dword s40, s[12:13], 0x0
.LBB232_8:
	s_and_b64 vcc, exec, s[0:1]
	s_cbranch_vccnz .LBB232_10
; %bb.9:
	s_load_dword s13, s[12:13], 0x4
.LBB232_10:
	s_waitcnt lgkmcnt(0)
	s_mov_b32 s41, s13
.LBB232_11:
	s_load_dword s33, s[4:5], 0x0
	v_lshl_add_u32 v2, v0, 3, 0
	v_or_b32_e32 v1, 0xfffffc00, v0
	v_add_u32_e32 v8, 0x10000, v2
	v_lshl_add_u32 v9, v0, 2, 0
	s_mov_b64 s[0:1], 0
	s_waitcnt lgkmcnt(0)
	v_mov_b32_e32 v2, s33
	v_mov_b32_e32 v3, 0
	s_movk_i32 s2, 0x3bff
	v_mov_b32_e32 v4, v9
	v_mov_b32_e32 v5, v8
	;; [unrolled: 1-line block ×3, first 2 shown]
.LBB232_12:                             ; =>This Inner Loop Header: Depth=1
	v_add_u32_e32 v6, 0x400, v6
	v_cmp_lt_u32_e32 vcc, s2, v6
	ds_write_b32 v4, v2
	ds_write2_b32 v5, v3, v3 offset1:1
	v_add_u32_e32 v5, 0x2000, v5
	s_or_b64 s[0:1], vcc, s[0:1]
	v_add_u32_e32 v4, 0x1000, v4
	s_andn2_b64 exec, exec, s[0:1]
	s_cbranch_execnz .LBB232_12
; %bb.13:
	s_or_b64 exec, exec, s[0:1]
	s_waitcnt lgkmcnt(0)
	s_barrier
	s_load_dword s0, s[24:25], 0x0
	s_mov_b32 s1, 0
	s_waitcnt lgkmcnt(0)
	s_add_i32 s0, s0, s6
	s_lshl_b64 s[0:1], s[0:1], 2
	s_add_u32 s0, s26, s0
	s_addc_u32 s1, s27, s1
	s_load_dword s46, s[0:1], 0x0
	s_and_b64 vcc, exec, s[30:31]
	s_cbranch_vccz .LBB232_33
; %bb.14:
	s_waitcnt lgkmcnt(0)
	s_ashr_i32 s47, s46, 31
	s_lshl_b64 s[0:1], s[46:47], 3
	s_add_u32 s0, s16, s0
	s_addc_u32 s1, s17, s1
	s_load_dwordx4 s[4:7], s[0:1], 0x0
	v_lshrrev_b32_e32 v2, 6, v0
	v_subrev_co_u32_e32 v2, vcc, s72, v2
	s_waitcnt lgkmcnt(0)
	s_sub_u32 s0, s6, s72
	s_subb_u32 s1, s7, 0
	v_subb_co_u32_e64 v3, s[6:7], 0, 0, vcc
	v_mov_b32_e32 v4, s5
	v_add_co_u32_e32 v2, vcc, s4, v2
	v_addc_co_u32_e32 v3, vcc, v4, v3, vcc
	v_cmp_gt_i64_e32 vcc, s[0:1], v[2:3]
	s_and_saveexec_b64 s[4:5], vcc
	s_cbranch_execz .LBB232_32
; %bb.15:
	v_and_b32_e32 v4, 63, v0
	v_subrev_co_u32_e32 v10, vcc, s73, v4
	s_mov_b32 s12, 0
	v_subb_co_u32_e64 v11, s[6:7], 0, 0, vcc
	s_mov_b32 s2, s73
	s_mov_b64 s[6:7], 0
	v_mov_b32_e32 v12, s19
	v_mov_b32_e32 v13, s23
	;; [unrolled: 1-line block ×3, first 2 shown]
	s_movk_i32 s19, 0x89
	s_branch .LBB232_17
.LBB232_16:                             ;   in Loop: Header=BB232_17 Depth=1
	s_or_b64 exec, exec, s[12:13]
	v_add_co_u32_e32 v2, vcc, 16, v2
	v_addc_co_u32_e32 v3, vcc, 0, v3, vcc
	v_cmp_le_i64_e32 vcc, s[0:1], v[2:3]
	s_or_b64 s[6:7], vcc, s[6:7]
	s_andn2_b64 exec, exec, s[6:7]
	s_cbranch_execz .LBB232_32
.LBB232_17:                             ; =>This Loop Header: Depth=1
                                        ;     Child Loop BB232_20 Depth 2
                                        ;       Child Loop BB232_22 Depth 3
	v_lshlrev_b64 v[4:5], 2, v[2:3]
	v_add_co_u32_e32 v4, vcc, s18, v4
	v_addc_co_u32_e32 v5, vcc, v12, v5, vcc
	global_load_dword v4, v[4:5], off
	s_waitcnt vmcnt(0)
	v_subrev_u32_e32 v4, s72, v4
	v_ashrrev_i32_e32 v5, 31, v4
	v_lshlrev_b64 v[4:5], 3, v[4:5]
	v_add_co_u32_e32 v4, vcc, s22, v4
	v_addc_co_u32_e32 v5, vcc, v13, v5, vcc
	global_load_dwordx4 v[16:19], v[4:5], off
	s_waitcnt vmcnt(0)
	v_subrev_co_u32_e32 v4, vcc, s2, v18
	v_subb_co_u32_e32 v5, vcc, v19, v14, vcc
	v_add_co_u32_e32 v6, vcc, v16, v10
	v_addc_co_u32_e32 v7, vcc, v17, v11, vcc
	v_cmp_lt_i64_e32 vcc, v[6:7], v[4:5]
	s_and_saveexec_b64 s[12:13], vcc
	s_cbranch_execz .LBB232_16
; %bb.18:                               ;   in Loop: Header=BB232_17 Depth=1
	v_lshlrev_b64 v[16:17], 3, v[2:3]
	v_mov_b32_e32 v15, s21
	v_add_co_u32_e32 v16, vcc, s20, v16
	v_addc_co_u32_e32 v17, vcc, v15, v17, vcc
	global_load_dwordx2 v[18:19], v[16:17], off
	s_mov_b64 s[16:17], 0
	s_waitcnt vmcnt(0)
	v_mul_f32_e64 v15, v19, -s3
	v_mul_f32_e32 v16, s42, v19
	v_fmac_f32_e32 v15, s42, v18
	v_fmac_f32_e32 v16, s3, v18
	s_branch .LBB232_20
.LBB232_19:                             ;   in Loop: Header=BB232_20 Depth=2
	s_or_b64 exec, exec, s[24:25]
	v_add_co_u32_e32 v6, vcc, 64, v6
	v_addc_co_u32_e32 v7, vcc, 0, v7, vcc
	v_cmp_ge_i64_e32 vcc, v[6:7], v[4:5]
	s_or_b64 s[16:17], vcc, s[16:17]
	s_andn2_b64 exec, exec, s[16:17]
	s_cbranch_execz .LBB232_16
.LBB232_20:                             ;   Parent Loop BB232_17 Depth=1
                                        ; =>  This Loop Header: Depth=2
                                        ;       Child Loop BB232_22 Depth 3
	v_lshlrev_b64 v[18:19], 2, v[6:7]
	v_mov_b32_e32 v17, s9
	v_add_co_u32_e32 v18, vcc, s8, v18
	v_addc_co_u32_e32 v19, vcc, v17, v19, vcc
	global_load_dword v17, v[18:19], off
	v_lshlrev_b64 v[18:19], 3, v[6:7]
	v_mov_b32_e32 v20, s11
	v_add_co_u32_e32 v18, vcc, s10, v18
	v_addc_co_u32_e32 v19, vcc, v20, v19, vcc
	global_load_dwordx2 v[20:21], v[18:19], off
	s_mov_b64 s[24:25], 0
	s_waitcnt vmcnt(1)
	v_subrev_u32_e32 v17, s73, v17
	s_waitcnt vmcnt(0)
	v_mul_f32_e64 v18, v21, -v16
	v_mul_f32_e32 v19, v15, v21
	v_fmac_f32_e32 v18, v15, v20
	v_fmac_f32_e32 v19, v16, v20
	v_mul_lo_u32 v20, v17, s19
	v_and_b32_e32 v20, 0x3fff, v20
	s_branch .LBB232_22
.LBB232_21:                             ;   in Loop: Header=BB232_22 Depth=3
	s_or_b64 exec, exec, s[26:27]
	s_xor_b64 s[26:27], s[30:31], -1
	s_and_b64 s[26:27], exec, s[26:27]
	s_or_b64 s[24:25], s[26:27], s[24:25]
	s_andn2_b64 exec, exec, s[24:25]
	s_cbranch_execz .LBB232_19
.LBB232_22:                             ;   Parent Loop BB232_17 Depth=1
                                        ;     Parent Loop BB232_20 Depth=2
                                        ; =>    This Inner Loop Header: Depth=3
	v_lshl_add_u32 v21, v20, 2, 0
	ds_read_b32 v22, v21
                                        ; implicit-def: $sgpr30_sgpr31
	s_waitcnt lgkmcnt(0)
	v_cmp_ne_u32_e32 vcc, v22, v17
	s_and_saveexec_b64 s[26:27], vcc
	s_xor_b64 s[26:27], exec, s[26:27]
	s_cbranch_execz .LBB232_30
; %bb.23:                               ;   in Loop: Header=BB232_22 Depth=3
	v_cmp_ne_u32_e32 vcc, s33, v22
                                        ; implicit-def: $sgpr30_sgpr31
	s_and_saveexec_b64 s[34:35], vcc
	s_xor_b64 s[34:35], exec, s[34:35]
; %bb.24:                               ;   in Loop: Header=BB232_22 Depth=3
	v_add_u32_e32 v20, 1, v20
	v_and_b32_e32 v20, 0x3fff, v20
	s_mov_b64 s[30:31], -1
                                        ; implicit-def: $vgpr21
; %bb.25:                               ;   in Loop: Header=BB232_22 Depth=3
	s_andn2_saveexec_b64 s[34:35], s[34:35]
	s_cbranch_execz .LBB232_29
; %bb.26:                               ;   in Loop: Header=BB232_22 Depth=3
	v_mov_b32_e32 v22, s33
	ds_cmpst_rtn_b32 v21, v21, v22, v17
	s_mov_b64 s[38:39], -1
	s_waitcnt lgkmcnt(0)
	v_cmp_eq_u32_e32 vcc, s33, v21
	s_and_saveexec_b64 s[36:37], vcc
	s_cbranch_execz .LBB232_28
; %bb.27:                               ;   in Loop: Header=BB232_22 Depth=3
	v_lshl_add_u32 v21, v20, 3, 0
	v_add_u32_e32 v21, 0x10000, v21
	ds_add_f32 v21, v18
	ds_add_f32 v21, v19 offset:4
	s_xor_b64 s[38:39], exec, -1
.LBB232_28:                             ;   in Loop: Header=BB232_22 Depth=3
	s_or_b64 exec, exec, s[36:37]
	s_andn2_b64 s[30:31], s[30:31], exec
	s_and_b64 s[36:37], s[38:39], exec
	s_or_b64 s[30:31], s[30:31], s[36:37]
.LBB232_29:                             ;   in Loop: Header=BB232_22 Depth=3
	s_or_b64 exec, exec, s[34:35]
	s_and_b64 s[30:31], s[30:31], exec
.LBB232_30:                             ;   in Loop: Header=BB232_22 Depth=3
	s_andn2_saveexec_b64 s[26:27], s[26:27]
	s_cbranch_execz .LBB232_21
; %bb.31:                               ;   in Loop: Header=BB232_22 Depth=3
	v_lshl_add_u32 v21, v20, 3, 0
	v_add_u32_e32 v21, 0x10000, v21
	ds_add_f32 v21, v18
	ds_add_f32 v21, v19 offset:4
	s_andn2_b64 s[30:31], s[30:31], exec
	s_branch .LBB232_21
.LBB232_32:
	s_or_b64 exec, exec, s[4:5]
.LBB232_33:
	s_andn2_b64 vcc, exec, s[28:29]
	s_cbranch_vccnz .LBB232_50
; %bb.34:
	s_waitcnt lgkmcnt(0)
	s_ashr_i32 s47, s46, 31
	s_lshl_b64 s[0:1], s[46:47], 3
	s_add_u32 s0, s14, s0
	s_addc_u32 s1, s15, s1
	s_load_dwordx4 s[4:7], s[0:1], 0x0
	v_subrev_co_u32_e32 v2, vcc, s75, v0
	v_subb_co_u32_e64 v3, s[0:1], 0, 0, vcc
	s_waitcnt lgkmcnt(0)
	s_sub_u32 s0, s6, s75
	v_mov_b32_e32 v4, s5
	v_add_co_u32_e32 v2, vcc, s4, v2
	s_subb_u32 s1, s7, 0
	v_addc_co_u32_e32 v3, vcc, v4, v3, vcc
	v_cmp_gt_i64_e32 vcc, s[0:1], v[2:3]
	s_and_saveexec_b64 s[2:3], vcc
	s_cbranch_execz .LBB232_49
; %bb.35:
	s_mov_b64 s[4:5], 0
	v_mov_b32_e32 v4, s49
	v_mov_b32_e32 v5, s51
	s_movk_i32 s18, 0x89
	s_branch .LBB232_37
.LBB232_36:                             ;   in Loop: Header=BB232_37 Depth=1
	s_or_b64 exec, exec, s[6:7]
	v_add_co_u32_e32 v2, vcc, 0x400, v2
	v_addc_co_u32_e32 v3, vcc, 0, v3, vcc
	v_cmp_le_i64_e32 vcc, s[0:1], v[2:3]
	s_or_b64 s[4:5], vcc, s[4:5]
	s_andn2_b64 exec, exec, s[4:5]
	s_cbranch_execz .LBB232_49
.LBB232_37:                             ; =>This Loop Header: Depth=1
                                        ;     Child Loop BB232_39 Depth 2
	v_lshlrev_b64 v[6:7], 2, v[2:3]
	v_add_co_u32_e32 v6, vcc, s48, v6
	v_addc_co_u32_e32 v7, vcc, v4, v7, vcc
	global_load_dword v10, v[6:7], off
	v_lshlrev_b64 v[6:7], 3, v[2:3]
	v_add_co_u32_e32 v6, vcc, s50, v6
	v_addc_co_u32_e32 v7, vcc, v5, v7, vcc
	global_load_dwordx2 v[12:13], v[6:7], off
	s_mov_b64 s[6:7], 0
	s_waitcnt vmcnt(1)
	v_subrev_u32_e32 v6, s75, v10
	v_mul_lo_u32 v11, v6, s18
	v_and_b32_e32 v11, 0x3fff, v11
	s_waitcnt vmcnt(0)
	v_mul_f32_e64 v7, v13, -s41
	v_mul_f32_e32 v10, s40, v13
	v_fmac_f32_e32 v7, s40, v12
	v_fmac_f32_e32 v10, s41, v12
	s_branch .LBB232_39
.LBB232_38:                             ;   in Loop: Header=BB232_39 Depth=2
	s_or_b64 exec, exec, s[8:9]
	s_xor_b64 s[8:9], s[10:11], -1
	s_and_b64 s[8:9], exec, s[8:9]
	s_or_b64 s[6:7], s[8:9], s[6:7]
	s_andn2_b64 exec, exec, s[6:7]
	s_cbranch_execz .LBB232_36
.LBB232_39:                             ;   Parent Loop BB232_37 Depth=1
                                        ; =>  This Inner Loop Header: Depth=2
	v_lshl_add_u32 v12, v11, 2, 0
	ds_read_b32 v13, v12
                                        ; implicit-def: $sgpr10_sgpr11
	s_waitcnt lgkmcnt(0)
	v_cmp_ne_u32_e32 vcc, v13, v6
	s_and_saveexec_b64 s[8:9], vcc
	s_xor_b64 s[8:9], exec, s[8:9]
	s_cbranch_execz .LBB232_47
; %bb.40:                               ;   in Loop: Header=BB232_39 Depth=2
	v_cmp_ne_u32_e32 vcc, s33, v13
                                        ; implicit-def: $sgpr10_sgpr11
	s_and_saveexec_b64 s[12:13], vcc
	s_xor_b64 s[12:13], exec, s[12:13]
; %bb.41:                               ;   in Loop: Header=BB232_39 Depth=2
	v_add_u32_e32 v11, 1, v11
	v_and_b32_e32 v11, 0x3fff, v11
	s_mov_b64 s[10:11], -1
                                        ; implicit-def: $vgpr12
; %bb.42:                               ;   in Loop: Header=BB232_39 Depth=2
	s_andn2_saveexec_b64 s[12:13], s[12:13]
	s_cbranch_execz .LBB232_46
; %bb.43:                               ;   in Loop: Header=BB232_39 Depth=2
	v_mov_b32_e32 v13, s33
	ds_cmpst_rtn_b32 v12, v12, v13, v6
	s_mov_b64 s[16:17], -1
	s_waitcnt lgkmcnt(0)
	v_cmp_eq_u32_e32 vcc, s33, v12
	s_and_saveexec_b64 s[14:15], vcc
	s_cbranch_execz .LBB232_45
; %bb.44:                               ;   in Loop: Header=BB232_39 Depth=2
	v_lshl_add_u32 v12, v11, 3, 0
	v_add_u32_e32 v12, 0x10000, v12
	ds_add_f32 v12, v7
	ds_add_f32 v12, v10 offset:4
	s_xor_b64 s[16:17], exec, -1
.LBB232_45:                             ;   in Loop: Header=BB232_39 Depth=2
	s_or_b64 exec, exec, s[14:15]
	s_andn2_b64 s[10:11], s[10:11], exec
	s_and_b64 s[14:15], s[16:17], exec
	s_or_b64 s[10:11], s[10:11], s[14:15]
.LBB232_46:                             ;   in Loop: Header=BB232_39 Depth=2
	s_or_b64 exec, exec, s[12:13]
	s_and_b64 s[10:11], s[10:11], exec
.LBB232_47:                             ;   in Loop: Header=BB232_39 Depth=2
	s_andn2_saveexec_b64 s[8:9], s[8:9]
	s_cbranch_execz .LBB232_38
; %bb.48:                               ;   in Loop: Header=BB232_39 Depth=2
	v_lshl_add_u32 v12, v11, 3, 0
	v_add_u32_e32 v12, 0x10000, v12
	ds_add_f32 v12, v7
	ds_add_f32 v12, v10 offset:4
	s_andn2_b64 s[10:11], s[10:11], exec
	s_branch .LBB232_38
.LBB232_49:
	s_or_b64 exec, exec, s[2:3]
.LBB232_50:
	s_waitcnt lgkmcnt(0)
	v_writelane_b32 v23, s46, 2
	v_writelane_b32 v23, s47, 3
	;; [unrolled: 1-line block ×10, first 2 shown]
	s_add_i32 s0, 0, 0x30000
	v_writelane_b32 v23, s0, 12
	s_add_i32 s60, 0, 0x30004
	v_writelane_b32 v23, s60, 13
	;; [unrolled: 2-line block ×5, first 2 shown]
	s_add_i32 s60, 0, 0x30014
	v_lshrrev_b32_e32 v4, 3, v0
	v_writelane_b32 v23, s60, 17
	s_add_i32 s60, 0, 0x30018
	v_mbcnt_lo_u32_b32 v2, -1, 0
	v_and_b32_e32 v4, 0x7c, v4
	v_writelane_b32 v23, s60, 18
	s_add_i32 s60, 0, 0x3001c
	v_mbcnt_hi_u32_b32 v2, -1, v2
	v_add_u32_e32 v7, s0, v4
	s_movk_i32 s0, 0x3ff
	v_writelane_b32 v23, s60, 19
	s_add_i32 s60, 0, 0x30020
	v_sub_u32_e32 v2, 63, v2
	v_cmp_eq_u32_e32 vcc, s0, v0
	s_movk_i32 s0, 0x5f
	s_movk_i32 s2, 0x7f
	;; [unrolled: 1-line block ×29, first 2 shown]
	v_writelane_b32 v23, s60, 20
	s_add_i32 s60, 0, 0x30024
	v_mov_b32_e32 v6, 0
	v_lshrrev_b64 v[2:3], v2, -1
	v_cmp_lt_u32_e64 s[0:1], s0, v0
	v_cmp_lt_u32_e64 s[2:3], s2, v0
	v_cmp_lt_u32_e64 s[4:5], s4, v0
	v_cmp_lt_u32_e64 s[6:7], s6, v0
	v_cmp_lt_u32_e64 s[8:9], s8, v0
	v_cmp_lt_u32_e64 s[10:11], s10, v0
	v_cmp_lt_u32_e64 s[12:13], s12, v0
	v_cmp_lt_u32_e64 s[14:15], s14, v0
	v_cmp_lt_u32_e64 s[16:17], s16, v0
	v_cmp_lt_u32_e64 s[18:19], s18, v0
	v_cmp_lt_u32_e64 s[20:21], s20, v0
	v_cmp_lt_u32_e64 s[22:23], s22, v0
	v_cmp_lt_u32_e64 s[24:25], s24, v0
	v_cmp_lt_u32_e64 s[26:27], s26, v0
	v_cmp_lt_u32_e64 s[28:29], s28, v0
	v_cmp_lt_u32_e64 s[30:31], s30, v0
	v_cmp_lt_u32_e64 s[34:35], s34, v0
	v_cmp_lt_u32_e64 s[36:37], s36, v0
	v_cmp_lt_u32_e64 s[38:39], s38, v0
	v_cmp_lt_u32_e64 s[40:41], s40, v0
	v_cmp_lt_u32_e64 s[42:43], s42, v0
	v_cmp_lt_u32_e64 s[44:45], s44, v0
	v_cmp_lt_u32_e64 s[46:47], s46, v0
	v_cmp_lt_u32_e64 s[48:49], s48, v0
	v_cmp_lt_u32_e64 s[50:51], s50, v0
	v_cmp_lt_u32_e64 s[52:53], s52, v0
	v_cmp_lt_u32_e64 s[54:55], s54, v0
	v_cmp_lt_u32_e64 s[56:57], s56, v0
	v_cmp_lt_u32_e64 s[58:59], s58, v0
	v_writelane_b32 v23, s60, 21
	s_add_i32 s88, 0, 0x30028
	s_add_i32 s89, 0, 0x3002c
	;; [unrolled: 1-line block ×22, first 2 shown]
	s_movk_i32 s85, 0x3bff
	v_cmp_lt_u32_e64 s[60:61], 31, v0
	v_cmp_lt_u32_e64 s[62:63], 63, v0
	s_mov_b64 s[66:67], 0
	s_barrier
	s_branch .LBB232_52
.LBB232_51:                             ;   in Loop: Header=BB232_52 Depth=1
	s_or_b64 exec, exec, s[64:65]
	v_mov_b32_e32 v4, s84
	s_waitcnt lgkmcnt(0)
	s_barrier
	ds_read_b32 v4, v4
	v_add_u32_e32 v1, 0x400, v1
	v_cmp_lt_u32_e64 s[64:65], s85, v1
	v_add_u32_e32 v8, 0x2000, v8
	s_or_b64 s[66:67], s[64:65], s[66:67]
	s_waitcnt lgkmcnt(0)
	v_add_u32_e32 v6, v4, v6
	v_add_u32_e32 v9, 0x1000, v9
	s_andn2_b64 exec, exec, s[66:67]
	s_cbranch_execz .LBB232_118
.LBB232_52:                             ; =>This Inner Loop Header: Depth=1
	ds_read_b32 v10, v9
	ds_read2_b32 v[4:5], v8 offset1:1
	s_waitcnt lgkmcnt(0)
	s_barrier
	v_cmp_gt_i32_e64 s[64:65], s33, v10
	v_and_b32_e32 v12, s64, v2
	s_bcnt1_i32_b64 s72, s[64:65]
	v_and_b32_e32 v11, s65, v3
	v_bcnt_u32_b32 v12, v12, 0
	v_bcnt_u32_b32 v11, v11, v12
	v_mov_b32_e32 v12, s72
	ds_write_b32 v7, v12
	s_waitcnt lgkmcnt(0)
	s_barrier
	s_and_saveexec_b64 s[72:73], s[60:61]
	s_cbranch_execnz .LBB232_85
; %bb.53:                               ;   in Loop: Header=BB232_52 Depth=1
	s_or_b64 exec, exec, s[72:73]
	s_and_saveexec_b64 s[72:73], s[62:63]
	s_cbranch_execnz .LBB232_86
.LBB232_54:                             ;   in Loop: Header=BB232_52 Depth=1
	s_or_b64 exec, exec, s[72:73]
	s_and_saveexec_b64 s[72:73], s[0:1]
	s_cbranch_execnz .LBB232_87
.LBB232_55:                             ;   in Loop: Header=BB232_52 Depth=1
	s_or_b64 exec, exec, s[72:73]
	s_and_saveexec_b64 s[72:73], s[2:3]
	s_cbranch_execnz .LBB232_88
.LBB232_56:                             ;   in Loop: Header=BB232_52 Depth=1
	s_or_b64 exec, exec, s[72:73]
	s_and_saveexec_b64 s[72:73], s[4:5]
	s_cbranch_execnz .LBB232_89
.LBB232_57:                             ;   in Loop: Header=BB232_52 Depth=1
	s_or_b64 exec, exec, s[72:73]
	s_and_saveexec_b64 s[72:73], s[6:7]
	s_cbranch_execnz .LBB232_90
.LBB232_58:                             ;   in Loop: Header=BB232_52 Depth=1
	s_or_b64 exec, exec, s[72:73]
	s_and_saveexec_b64 s[72:73], s[8:9]
	s_cbranch_execnz .LBB232_91
.LBB232_59:                             ;   in Loop: Header=BB232_52 Depth=1
	s_or_b64 exec, exec, s[72:73]
	s_and_saveexec_b64 s[72:73], s[10:11]
	s_cbranch_execnz .LBB232_92
.LBB232_60:                             ;   in Loop: Header=BB232_52 Depth=1
	s_or_b64 exec, exec, s[72:73]
	s_and_saveexec_b64 s[72:73], s[12:13]
	s_cbranch_execnz .LBB232_93
.LBB232_61:                             ;   in Loop: Header=BB232_52 Depth=1
	s_or_b64 exec, exec, s[72:73]
	s_and_saveexec_b64 s[72:73], s[14:15]
	s_cbranch_execnz .LBB232_94
.LBB232_62:                             ;   in Loop: Header=BB232_52 Depth=1
	s_or_b64 exec, exec, s[72:73]
	s_and_saveexec_b64 s[72:73], s[16:17]
	s_cbranch_execnz .LBB232_95
.LBB232_63:                             ;   in Loop: Header=BB232_52 Depth=1
	s_or_b64 exec, exec, s[72:73]
	s_and_saveexec_b64 s[72:73], s[18:19]
	s_cbranch_execnz .LBB232_96
.LBB232_64:                             ;   in Loop: Header=BB232_52 Depth=1
	s_or_b64 exec, exec, s[72:73]
	s_and_saveexec_b64 s[72:73], s[20:21]
	s_cbranch_execnz .LBB232_97
.LBB232_65:                             ;   in Loop: Header=BB232_52 Depth=1
	s_or_b64 exec, exec, s[72:73]
	s_and_saveexec_b64 s[72:73], s[22:23]
	s_cbranch_execnz .LBB232_98
.LBB232_66:                             ;   in Loop: Header=BB232_52 Depth=1
	s_or_b64 exec, exec, s[72:73]
	s_and_saveexec_b64 s[72:73], s[24:25]
	s_cbranch_execnz .LBB232_99
.LBB232_67:                             ;   in Loop: Header=BB232_52 Depth=1
	s_or_b64 exec, exec, s[72:73]
	s_and_saveexec_b64 s[72:73], s[26:27]
	s_cbranch_execnz .LBB232_100
.LBB232_68:                             ;   in Loop: Header=BB232_52 Depth=1
	s_or_b64 exec, exec, s[72:73]
	s_and_saveexec_b64 s[72:73], s[28:29]
	s_cbranch_execnz .LBB232_101
.LBB232_69:                             ;   in Loop: Header=BB232_52 Depth=1
	s_or_b64 exec, exec, s[72:73]
	s_and_saveexec_b64 s[72:73], s[30:31]
	s_cbranch_execnz .LBB232_102
.LBB232_70:                             ;   in Loop: Header=BB232_52 Depth=1
	s_or_b64 exec, exec, s[72:73]
	s_and_saveexec_b64 s[72:73], s[34:35]
	s_cbranch_execnz .LBB232_103
.LBB232_71:                             ;   in Loop: Header=BB232_52 Depth=1
	s_or_b64 exec, exec, s[72:73]
	s_and_saveexec_b64 s[72:73], s[36:37]
	s_cbranch_execnz .LBB232_104
.LBB232_72:                             ;   in Loop: Header=BB232_52 Depth=1
	s_or_b64 exec, exec, s[72:73]
	s_and_saveexec_b64 s[72:73], s[38:39]
	s_cbranch_execnz .LBB232_105
.LBB232_73:                             ;   in Loop: Header=BB232_52 Depth=1
	s_or_b64 exec, exec, s[72:73]
	s_and_saveexec_b64 s[72:73], s[40:41]
	s_cbranch_execnz .LBB232_106
.LBB232_74:                             ;   in Loop: Header=BB232_52 Depth=1
	s_or_b64 exec, exec, s[72:73]
	s_and_saveexec_b64 s[72:73], s[42:43]
	s_cbranch_execnz .LBB232_107
.LBB232_75:                             ;   in Loop: Header=BB232_52 Depth=1
	s_or_b64 exec, exec, s[72:73]
	s_and_saveexec_b64 s[72:73], s[44:45]
	s_cbranch_execnz .LBB232_108
.LBB232_76:                             ;   in Loop: Header=BB232_52 Depth=1
	s_or_b64 exec, exec, s[72:73]
	s_and_saveexec_b64 s[72:73], s[46:47]
	s_cbranch_execnz .LBB232_109
.LBB232_77:                             ;   in Loop: Header=BB232_52 Depth=1
	s_or_b64 exec, exec, s[72:73]
	s_and_saveexec_b64 s[72:73], s[48:49]
	s_cbranch_execnz .LBB232_110
.LBB232_78:                             ;   in Loop: Header=BB232_52 Depth=1
	s_or_b64 exec, exec, s[72:73]
	s_and_saveexec_b64 s[72:73], s[50:51]
	s_cbranch_execnz .LBB232_111
.LBB232_79:                             ;   in Loop: Header=BB232_52 Depth=1
	s_or_b64 exec, exec, s[72:73]
	s_and_saveexec_b64 s[72:73], s[52:53]
	s_cbranch_execnz .LBB232_112
.LBB232_80:                             ;   in Loop: Header=BB232_52 Depth=1
	s_or_b64 exec, exec, s[72:73]
	s_and_saveexec_b64 s[72:73], s[54:55]
	s_cbranch_execnz .LBB232_113
.LBB232_81:                             ;   in Loop: Header=BB232_52 Depth=1
	s_or_b64 exec, exec, s[72:73]
	s_and_saveexec_b64 s[72:73], s[56:57]
	s_cbranch_execnz .LBB232_114
.LBB232_82:                             ;   in Loop: Header=BB232_52 Depth=1
	s_or_b64 exec, exec, s[72:73]
	s_and_saveexec_b64 s[72:73], s[58:59]
	s_cbranch_execnz .LBB232_115
.LBB232_83:                             ;   in Loop: Header=BB232_52 Depth=1
	s_or_b64 exec, exec, s[72:73]
	s_and_saveexec_b64 s[72:73], s[64:65]
	s_cbranch_execnz .LBB232_116
.LBB232_84:                             ;   in Loop: Header=BB232_52 Depth=1
	s_or_b64 exec, exec, s[72:73]
	s_and_saveexec_b64 s[64:65], vcc
	s_cbranch_execz .LBB232_51
	s_branch .LBB232_117
.LBB232_85:                             ;   in Loop: Header=BB232_52 Depth=1
	v_readlane_b32 s86, v23, 12
	v_mov_b32_e32 v12, s86
	ds_read_b32 v12, v12
	s_waitcnt lgkmcnt(0)
	v_add_u32_e32 v11, v12, v11
	s_or_b64 exec, exec, s[72:73]
	s_and_saveexec_b64 s[72:73], s[62:63]
	s_cbranch_execz .LBB232_54
.LBB232_86:                             ;   in Loop: Header=BB232_52 Depth=1
	v_readlane_b32 s86, v23, 13
	v_mov_b32_e32 v12, s86
	ds_read_b32 v12, v12
	s_waitcnt lgkmcnt(0)
	v_add_u32_e32 v11, v12, v11
	s_or_b64 exec, exec, s[72:73]
	s_and_saveexec_b64 s[72:73], s[0:1]
	s_cbranch_execz .LBB232_55
.LBB232_87:                             ;   in Loop: Header=BB232_52 Depth=1
	v_readlane_b32 s86, v23, 14
	v_mov_b32_e32 v12, s86
	ds_read_b32 v12, v12
	s_waitcnt lgkmcnt(0)
	v_add_u32_e32 v11, v12, v11
	s_or_b64 exec, exec, s[72:73]
	s_and_saveexec_b64 s[72:73], s[2:3]
	s_cbranch_execz .LBB232_56
.LBB232_88:                             ;   in Loop: Header=BB232_52 Depth=1
	v_readlane_b32 s86, v23, 15
	v_mov_b32_e32 v12, s86
	ds_read_b32 v12, v12
	s_waitcnt lgkmcnt(0)
	v_add_u32_e32 v11, v12, v11
	s_or_b64 exec, exec, s[72:73]
	s_and_saveexec_b64 s[72:73], s[4:5]
	s_cbranch_execz .LBB232_57
.LBB232_89:                             ;   in Loop: Header=BB232_52 Depth=1
	v_readlane_b32 s86, v23, 16
	v_mov_b32_e32 v12, s86
	ds_read_b32 v12, v12
	s_waitcnt lgkmcnt(0)
	v_add_u32_e32 v11, v12, v11
	s_or_b64 exec, exec, s[72:73]
	s_and_saveexec_b64 s[72:73], s[6:7]
	s_cbranch_execz .LBB232_58
.LBB232_90:                             ;   in Loop: Header=BB232_52 Depth=1
	v_readlane_b32 s86, v23, 17
	v_mov_b32_e32 v12, s86
	ds_read_b32 v12, v12
	s_waitcnt lgkmcnt(0)
	v_add_u32_e32 v11, v12, v11
	s_or_b64 exec, exec, s[72:73]
	s_and_saveexec_b64 s[72:73], s[8:9]
	s_cbranch_execz .LBB232_59
.LBB232_91:                             ;   in Loop: Header=BB232_52 Depth=1
	v_readlane_b32 s86, v23, 18
	v_mov_b32_e32 v12, s86
	ds_read_b32 v12, v12
	s_waitcnt lgkmcnt(0)
	v_add_u32_e32 v11, v12, v11
	s_or_b64 exec, exec, s[72:73]
	s_and_saveexec_b64 s[72:73], s[10:11]
	s_cbranch_execz .LBB232_60
.LBB232_92:                             ;   in Loop: Header=BB232_52 Depth=1
	v_readlane_b32 s86, v23, 19
	v_mov_b32_e32 v12, s86
	ds_read_b32 v12, v12
	s_waitcnt lgkmcnt(0)
	v_add_u32_e32 v11, v12, v11
	s_or_b64 exec, exec, s[72:73]
	s_and_saveexec_b64 s[72:73], s[12:13]
	s_cbranch_execz .LBB232_61
.LBB232_93:                             ;   in Loop: Header=BB232_52 Depth=1
	v_readlane_b32 s86, v23, 20
	v_mov_b32_e32 v12, s86
	ds_read_b32 v12, v12
	s_waitcnt lgkmcnt(0)
	v_add_u32_e32 v11, v12, v11
	s_or_b64 exec, exec, s[72:73]
	s_and_saveexec_b64 s[72:73], s[14:15]
	s_cbranch_execz .LBB232_62
.LBB232_94:                             ;   in Loop: Header=BB232_52 Depth=1
	v_readlane_b32 s86, v23, 21
	v_mov_b32_e32 v12, s86
	ds_read_b32 v12, v12
	s_waitcnt lgkmcnt(0)
	v_add_u32_e32 v11, v12, v11
	s_or_b64 exec, exec, s[72:73]
	s_and_saveexec_b64 s[72:73], s[16:17]
	s_cbranch_execz .LBB232_63
.LBB232_95:                             ;   in Loop: Header=BB232_52 Depth=1
	v_mov_b32_e32 v12, s88
	ds_read_b32 v12, v12
	s_waitcnt lgkmcnt(0)
	v_add_u32_e32 v11, v12, v11
	s_or_b64 exec, exec, s[72:73]
	s_and_saveexec_b64 s[72:73], s[18:19]
	s_cbranch_execz .LBB232_64
.LBB232_96:                             ;   in Loop: Header=BB232_52 Depth=1
	v_mov_b32_e32 v12, s89
	ds_read_b32 v12, v12
	s_waitcnt lgkmcnt(0)
	v_add_u32_e32 v11, v12, v11
	s_or_b64 exec, exec, s[72:73]
	s_and_saveexec_b64 s[72:73], s[20:21]
	s_cbranch_execz .LBB232_65
.LBB232_97:                             ;   in Loop: Header=BB232_52 Depth=1
	v_mov_b32_e32 v12, s90
	ds_read_b32 v12, v12
	s_waitcnt lgkmcnt(0)
	v_add_u32_e32 v11, v12, v11
	s_or_b64 exec, exec, s[72:73]
	s_and_saveexec_b64 s[72:73], s[22:23]
	s_cbranch_execz .LBB232_66
.LBB232_98:                             ;   in Loop: Header=BB232_52 Depth=1
	v_mov_b32_e32 v12, s91
	ds_read_b32 v12, v12
	s_waitcnt lgkmcnt(0)
	v_add_u32_e32 v11, v12, v11
	s_or_b64 exec, exec, s[72:73]
	s_and_saveexec_b64 s[72:73], s[24:25]
	s_cbranch_execz .LBB232_67
.LBB232_99:                             ;   in Loop: Header=BB232_52 Depth=1
	v_mov_b32_e32 v12, s92
	ds_read_b32 v12, v12
	s_waitcnt lgkmcnt(0)
	v_add_u32_e32 v11, v12, v11
	s_or_b64 exec, exec, s[72:73]
	s_and_saveexec_b64 s[72:73], s[26:27]
	s_cbranch_execz .LBB232_68
.LBB232_100:                            ;   in Loop: Header=BB232_52 Depth=1
	v_mov_b32_e32 v12, s93
	ds_read_b32 v12, v12
	s_waitcnt lgkmcnt(0)
	v_add_u32_e32 v11, v12, v11
	s_or_b64 exec, exec, s[72:73]
	s_and_saveexec_b64 s[72:73], s[28:29]
	s_cbranch_execz .LBB232_69
.LBB232_101:                            ;   in Loop: Header=BB232_52 Depth=1
	v_mov_b32_e32 v12, s94
	ds_read_b32 v12, v12
	s_waitcnt lgkmcnt(0)
	v_add_u32_e32 v11, v12, v11
	s_or_b64 exec, exec, s[72:73]
	s_and_saveexec_b64 s[72:73], s[30:31]
	s_cbranch_execz .LBB232_70
.LBB232_102:                            ;   in Loop: Header=BB232_52 Depth=1
	v_mov_b32_e32 v12, s95
	ds_read_b32 v12, v12
	s_waitcnt lgkmcnt(0)
	v_add_u32_e32 v11, v12, v11
	s_or_b64 exec, exec, s[72:73]
	s_and_saveexec_b64 s[72:73], s[34:35]
	s_cbranch_execz .LBB232_71
.LBB232_103:                            ;   in Loop: Header=BB232_52 Depth=1
	v_mov_b32_e32 v12, s78
	ds_read_b32 v12, v12
	s_waitcnt lgkmcnt(0)
	v_add_u32_e32 v11, v12, v11
	s_or_b64 exec, exec, s[72:73]
	s_and_saveexec_b64 s[72:73], s[36:37]
	s_cbranch_execz .LBB232_72
.LBB232_104:                            ;   in Loop: Header=BB232_52 Depth=1
	v_mov_b32_e32 v12, s76
	ds_read_b32 v12, v12
	s_waitcnt lgkmcnt(0)
	v_add_u32_e32 v11, v12, v11
	s_or_b64 exec, exec, s[72:73]
	s_and_saveexec_b64 s[72:73], s[38:39]
	s_cbranch_execz .LBB232_73
.LBB232_105:                            ;   in Loop: Header=BB232_52 Depth=1
	v_mov_b32_e32 v12, s77
	ds_read_b32 v12, v12
	s_waitcnt lgkmcnt(0)
	v_add_u32_e32 v11, v12, v11
	s_or_b64 exec, exec, s[72:73]
	s_and_saveexec_b64 s[72:73], s[40:41]
	s_cbranch_execz .LBB232_74
.LBB232_106:                            ;   in Loop: Header=BB232_52 Depth=1
	v_mov_b32_e32 v12, s68
	ds_read_b32 v12, v12
	s_waitcnt lgkmcnt(0)
	v_add_u32_e32 v11, v12, v11
	s_or_b64 exec, exec, s[72:73]
	s_and_saveexec_b64 s[72:73], s[42:43]
	s_cbranch_execz .LBB232_75
.LBB232_107:                            ;   in Loop: Header=BB232_52 Depth=1
	v_mov_b32_e32 v12, s69
	ds_read_b32 v12, v12
	s_waitcnt lgkmcnt(0)
	v_add_u32_e32 v11, v12, v11
	s_or_b64 exec, exec, s[72:73]
	s_and_saveexec_b64 s[72:73], s[44:45]
	s_cbranch_execz .LBB232_76
.LBB232_108:                            ;   in Loop: Header=BB232_52 Depth=1
	v_mov_b32_e32 v12, s70
	ds_read_b32 v12, v12
	s_waitcnt lgkmcnt(0)
	v_add_u32_e32 v11, v12, v11
	s_or_b64 exec, exec, s[72:73]
	s_and_saveexec_b64 s[72:73], s[46:47]
	s_cbranch_execz .LBB232_77
.LBB232_109:                            ;   in Loop: Header=BB232_52 Depth=1
	v_mov_b32_e32 v12, s71
	ds_read_b32 v12, v12
	s_waitcnt lgkmcnt(0)
	v_add_u32_e32 v11, v12, v11
	s_or_b64 exec, exec, s[72:73]
	s_and_saveexec_b64 s[72:73], s[48:49]
	s_cbranch_execz .LBB232_78
.LBB232_110:                            ;   in Loop: Header=BB232_52 Depth=1
	v_mov_b32_e32 v12, s75
	ds_read_b32 v12, v12
	s_waitcnt lgkmcnt(0)
	v_add_u32_e32 v11, v12, v11
	s_or_b64 exec, exec, s[72:73]
	s_and_saveexec_b64 s[72:73], s[50:51]
	s_cbranch_execz .LBB232_79
.LBB232_111:                            ;   in Loop: Header=BB232_52 Depth=1
	v_mov_b32_e32 v12, s79
	ds_read_b32 v12, v12
	s_waitcnt lgkmcnt(0)
	v_add_u32_e32 v11, v12, v11
	s_or_b64 exec, exec, s[72:73]
	s_and_saveexec_b64 s[72:73], s[52:53]
	s_cbranch_execz .LBB232_80
.LBB232_112:                            ;   in Loop: Header=BB232_52 Depth=1
	v_mov_b32_e32 v12, s80
	ds_read_b32 v12, v12
	s_waitcnt lgkmcnt(0)
	v_add_u32_e32 v11, v12, v11
	s_or_b64 exec, exec, s[72:73]
	s_and_saveexec_b64 s[72:73], s[54:55]
	s_cbranch_execz .LBB232_81
.LBB232_113:                            ;   in Loop: Header=BB232_52 Depth=1
	v_mov_b32_e32 v12, s81
	ds_read_b32 v12, v12
	s_waitcnt lgkmcnt(0)
	v_add_u32_e32 v11, v12, v11
	s_or_b64 exec, exec, s[72:73]
	s_and_saveexec_b64 s[72:73], s[56:57]
	s_cbranch_execz .LBB232_82
.LBB232_114:                            ;   in Loop: Header=BB232_52 Depth=1
	v_mov_b32_e32 v12, s82
	ds_read_b32 v12, v12
	s_waitcnt lgkmcnt(0)
	v_add_u32_e32 v11, v12, v11
	s_or_b64 exec, exec, s[72:73]
	s_and_saveexec_b64 s[72:73], s[58:59]
	s_cbranch_execz .LBB232_83
.LBB232_115:                            ;   in Loop: Header=BB232_52 Depth=1
	v_mov_b32_e32 v12, s83
	ds_read_b32 v12, v12
	s_waitcnt lgkmcnt(0)
	v_add_u32_e32 v11, v12, v11
	s_or_b64 exec, exec, s[72:73]
	s_and_saveexec_b64 s[72:73], s[64:65]
	s_cbranch_execz .LBB232_84
.LBB232_116:                            ;   in Loop: Header=BB232_52 Depth=1
	v_add3_u32 v12, v6, -1, v11
	v_lshl_add_u32 v13, v12, 2, 0
	v_lshl_add_u32 v12, v12, 3, 0
	v_add_u32_e32 v12, 0x10000, v12
	ds_write_b32 v13, v10
	ds_write2_b32 v12, v4, v5 offset1:1
	s_or_b64 exec, exec, s[72:73]
	s_and_saveexec_b64 s[64:65], vcc
	s_cbranch_execz .LBB232_51
.LBB232_117:                            ;   in Loop: Header=BB232_52 Depth=1
	v_mov_b32_e32 v4, s84
	ds_write_b32 v4, v11
	s_branch .LBB232_51
.LBB232_118:
	s_or_b64 exec, exec, s[66:67]
	v_readlane_b32 s0, v23, 2
	v_readlane_b32 s1, v23, 3
	s_ashr_i32 s1, s0, 31
	v_readlane_b32 s8, v23, 4
	s_lshl_b64 s[0:1], s[0:1], 3
	v_readlane_b32 s12, v23, 8
	v_readlane_b32 s13, v23, 9
	s_add_u32 s0, s12, s0
	s_addc_u32 s1, s13, s1
	s_load_dwordx4 s[0:3], s[0:1], 0x0
	v_readlane_b32 s14, v23, 10
	v_readlane_b32 s15, v23, 11
	;; [unrolled: 1-line block ×4, first 2 shown]
	s_waitcnt lgkmcnt(0)
	s_sub_i32 s8, s2, s0
	v_cmp_gt_i32_e32 vcc, s8, v0
	v_readlane_b32 s11, v23, 7
	s_and_saveexec_b64 s[4:5], vcc
	s_cbranch_execz .LBB232_128
; %bb.119:
	s_sub_u32 s4, s0, s74
	s_subb_u32 s5, s1, 0
	s_and_b32 s9, s8, 7
	s_sub_i32 s0, s0, s2
	s_cmp_lt_u32 s0, -7
	s_cselect_b64 s[0:1], -1, 0
	s_and_b32 s10, s8, -8
	s_cmp_lg_u32 s9, 0
	v_cndmask_b32_e64 v1, 0, 1, s[0:1]
	s_cselect_b64 s[2:3], -1, 0
	v_cmp_ne_u32_e64 s[0:1], 1, v1
	v_cndmask_b32_e64 v1, 0, 1, s[2:3]
	s_mov_b64 s[6:7], 0
	v_cmp_ne_u32_e64 s[2:3], 1, v1
	s_branch .LBB232_121
.LBB232_120:                            ;   in Loop: Header=BB232_121 Depth=1
	v_lshlrev_b64 v[6:7], 2, v[4:5]
	v_mov_b32_e32 v8, s15
	v_add_co_u32_e32 v6, vcc, s14, v6
	v_readlane_b32 s12, v23, 0
	s_waitcnt lgkmcnt(1)
	v_add_u32_e32 v1, s74, v1
	v_addc_co_u32_e32 v7, vcc, v8, v7, vcc
	v_lshlrev_b64 v[4:5], 3, v[4:5]
	v_readlane_b32 s13, v23, 1
	global_store_dword v[6:7], v1, off
	v_mov_b32_e32 v1, s13
	v_add_co_u32_e32 v4, vcc, s12, v4
	v_addc_co_u32_e32 v5, vcc, v1, v5, vcc
	v_add_u32_e32 v0, 0x400, v0
	v_cmp_le_i32_e32 vcc, s8, v0
	s_or_b64 s[6:7], vcc, s[6:7]
	s_waitcnt lgkmcnt(0)
	global_store_dwordx2 v[4:5], v[2:3], off
	s_andn2_b64 exec, exec, s[6:7]
	s_cbranch_execz .LBB232_128
.LBB232_121:                            ; =>This Loop Header: Depth=1
                                        ;     Child Loop BB232_123 Depth 2
                                        ;     Child Loop BB232_127 Depth 2
	v_lshl_add_u32 v2, v0, 3, 0
	v_lshl_add_u32 v1, v0, 2, 0
	v_add_u32_e32 v2, 0x10000, v2
	ds_read_b32 v1, v1
	ds_read2_b32 v[2:3], v2 offset1:1
	s_and_b64 vcc, exec, s[0:1]
	v_pk_mov_b32 v[4:5], s[4:5], s[4:5] op_sel:[0,1]
	s_mov_b32 s11, 0
	s_cbranch_vccnz .LBB232_125
; %bb.122:                              ;   in Loop: Header=BB232_121 Depth=1
	s_mov_b32 s12, 0
	v_pk_mov_b32 v[4:5], s[4:5], s[4:5] op_sel:[0,1]
.LBB232_123:                            ;   Parent Loop BB232_121 Depth=1
                                        ; =>  This Inner Loop Header: Depth=2
	v_mov_b32_e32 v12, s12
	ds_read2_b32 v[6:7], v12 offset1:1
	ds_read2_b32 v[8:9], v12 offset0:2 offset1:3
	ds_read2_b32 v[10:11], v12 offset0:4 offset1:5
	;; [unrolled: 1-line block ×3, first 2 shown]
	s_add_i32 s11, s11, 8
	s_waitcnt lgkmcnt(3)
	v_cmp_gt_i32_e32 vcc, v1, v6
	v_cndmask_b32_e64 v6, 0, 1, vcc
	v_cmp_gt_i32_e32 vcc, v1, v7
	v_cndmask_b32_e64 v7, 0, 1, vcc
	s_waitcnt lgkmcnt(2)
	v_cmp_gt_i32_e32 vcc, v1, v8
	v_cndmask_b32_e64 v8, 0, 1, vcc
	v_cmp_gt_i32_e32 vcc, v1, v9
	v_cndmask_b32_e64 v9, 0, 1, vcc
	s_waitcnt lgkmcnt(1)
	v_cmp_gt_i32_e32 vcc, v1, v10
	v_cndmask_b32_e64 v10, 0, 1, vcc
	v_cmp_gt_i32_e32 vcc, v1, v11
	v_cndmask_b32_e64 v11, 0, 1, vcc
	s_waitcnt lgkmcnt(0)
	v_cmp_gt_i32_e32 vcc, v1, v12
	v_cndmask_b32_e64 v12, 0, 1, vcc
	v_cmp_gt_i32_e32 vcc, v1, v13
	v_cndmask_b32_e64 v13, 0, 1, vcc
	v_add_co_u32_e32 v4, vcc, v4, v6
	v_addc_co_u32_e32 v5, vcc, 0, v5, vcc
	v_add_co_u32_e32 v4, vcc, v4, v7
	v_addc_co_u32_e32 v5, vcc, 0, v5, vcc
	;; [unrolled: 2-line block ×7, first 2 shown]
	s_add_i32 s12, s12, 32
	v_add_co_u32_e32 v4, vcc, v4, v13
	s_cmp_eq_u32 s10, s11
	v_addc_co_u32_e32 v5, vcc, 0, v5, vcc
	s_cbranch_scc0 .LBB232_123
; %bb.124:                              ;   in Loop: Header=BB232_121 Depth=1
	s_mov_b32 s11, s10
.LBB232_125:                            ;   in Loop: Header=BB232_121 Depth=1
	s_and_b64 vcc, exec, s[2:3]
	s_cbranch_vccnz .LBB232_120
; %bb.126:                              ;   in Loop: Header=BB232_121 Depth=1
	s_lshl_b32 s11, s11, 2
	s_add_i32 s11, s11, 0
	s_mov_b32 s12, s9
.LBB232_127:                            ;   Parent Loop BB232_121 Depth=1
                                        ; =>  This Inner Loop Header: Depth=2
	v_mov_b32_e32 v6, s11
	ds_read_b32 v6, v6
	s_add_i32 s11, s11, 4
	s_add_i32 s12, s12, -1
	s_cmp_lg_u32 s12, 0
	s_waitcnt lgkmcnt(0)
	v_cmp_gt_i32_e32 vcc, v1, v6
	v_cndmask_b32_e64 v6, 0, 1, vcc
	v_add_co_u32_e32 v4, vcc, v4, v6
	v_addc_co_u32_e32 v5, vcc, 0, v5, vcc
	s_cbranch_scc1 .LBB232_127
	s_branch .LBB232_120
.LBB232_128:
	s_endpgm
	.section	.rodata,"a",@progbits
	.p2align	6, 0x0
	.amdhsa_kernel _ZN9rocsparseL26csrgemm_fill_block_per_rowILj1024ELj64ELj16384ELj137ELj32Eli21rocsparse_complex_numIfEEEvT5_PKS3_S5_NS_24const_host_device_scalarIT6_EEPKT4_S5_PKS7_SB_S5_SD_S8_SB_S5_SD_SB_PS3_PS7_21rocsparse_index_base_SG_SG_SG_bbb
		.amdhsa_group_segment_fixed_size 0
		.amdhsa_private_segment_fixed_size 0
		.amdhsa_kernarg_size 156
		.amdhsa_user_sgpr_count 6
		.amdhsa_user_sgpr_private_segment_buffer 1
		.amdhsa_user_sgpr_dispatch_ptr 0
		.amdhsa_user_sgpr_queue_ptr 0
		.amdhsa_user_sgpr_kernarg_segment_ptr 1
		.amdhsa_user_sgpr_dispatch_id 0
		.amdhsa_user_sgpr_flat_scratch_init 0
		.amdhsa_user_sgpr_kernarg_preload_length 0
		.amdhsa_user_sgpr_kernarg_preload_offset 0
		.amdhsa_user_sgpr_private_segment_size 0
		.amdhsa_uses_dynamic_stack 0
		.amdhsa_system_sgpr_private_segment_wavefront_offset 0
		.amdhsa_system_sgpr_workgroup_id_x 1
		.amdhsa_system_sgpr_workgroup_id_y 0
		.amdhsa_system_sgpr_workgroup_id_z 0
		.amdhsa_system_sgpr_workgroup_info 0
		.amdhsa_system_vgpr_workitem_id 0
		.amdhsa_next_free_vgpr 24
		.amdhsa_next_free_sgpr 96
		.amdhsa_accum_offset 24
		.amdhsa_reserve_vcc 1
		.amdhsa_reserve_flat_scratch 0
		.amdhsa_float_round_mode_32 0
		.amdhsa_float_round_mode_16_64 0
		.amdhsa_float_denorm_mode_32 3
		.amdhsa_float_denorm_mode_16_64 3
		.amdhsa_dx10_clamp 1
		.amdhsa_ieee_mode 1
		.amdhsa_fp16_overflow 0
		.amdhsa_tg_split 0
		.amdhsa_exception_fp_ieee_invalid_op 0
		.amdhsa_exception_fp_denorm_src 0
		.amdhsa_exception_fp_ieee_div_zero 0
		.amdhsa_exception_fp_ieee_overflow 0
		.amdhsa_exception_fp_ieee_underflow 0
		.amdhsa_exception_fp_ieee_inexact 0
		.amdhsa_exception_int_div_zero 0
	.end_amdhsa_kernel
	.section	.text._ZN9rocsparseL26csrgemm_fill_block_per_rowILj1024ELj64ELj16384ELj137ELj32Eli21rocsparse_complex_numIfEEEvT5_PKS3_S5_NS_24const_host_device_scalarIT6_EEPKT4_S5_PKS7_SB_S5_SD_S8_SB_S5_SD_SB_PS3_PS7_21rocsparse_index_base_SG_SG_SG_bbb,"axG",@progbits,_ZN9rocsparseL26csrgemm_fill_block_per_rowILj1024ELj64ELj16384ELj137ELj32Eli21rocsparse_complex_numIfEEEvT5_PKS3_S5_NS_24const_host_device_scalarIT6_EEPKT4_S5_PKS7_SB_S5_SD_S8_SB_S5_SD_SB_PS3_PS7_21rocsparse_index_base_SG_SG_SG_bbb,comdat
.Lfunc_end232:
	.size	_ZN9rocsparseL26csrgemm_fill_block_per_rowILj1024ELj64ELj16384ELj137ELj32Eli21rocsparse_complex_numIfEEEvT5_PKS3_S5_NS_24const_host_device_scalarIT6_EEPKT4_S5_PKS7_SB_S5_SD_S8_SB_S5_SD_SB_PS3_PS7_21rocsparse_index_base_SG_SG_SG_bbb, .Lfunc_end232-_ZN9rocsparseL26csrgemm_fill_block_per_rowILj1024ELj64ELj16384ELj137ELj32Eli21rocsparse_complex_numIfEEEvT5_PKS3_S5_NS_24const_host_device_scalarIT6_EEPKT4_S5_PKS7_SB_S5_SD_S8_SB_S5_SD_SB_PS3_PS7_21rocsparse_index_base_SG_SG_SG_bbb
                                        ; -- End function
	.section	.AMDGPU.csdata,"",@progbits
; Kernel info:
; codeLenInByte = 4860
; NumSgprs: 100
; NumVgprs: 24
; NumAgprs: 0
; TotalNumVgprs: 24
; ScratchSize: 0
; MemoryBound: 0
; FloatMode: 240
; IeeeMode: 1
; LDSByteSize: 0 bytes/workgroup (compile time only)
; SGPRBlocks: 12
; VGPRBlocks: 2
; NumSGPRsForWavesPerEU: 100
; NumVGPRsForWavesPerEU: 24
; AccumOffset: 24
; Occupancy: 8
; WaveLimiterHint : 1
; COMPUTE_PGM_RSRC2:SCRATCH_EN: 0
; COMPUTE_PGM_RSRC2:USER_SGPR: 6
; COMPUTE_PGM_RSRC2:TRAP_HANDLER: 0
; COMPUTE_PGM_RSRC2:TGID_X_EN: 1
; COMPUTE_PGM_RSRC2:TGID_Y_EN: 0
; COMPUTE_PGM_RSRC2:TGID_Z_EN: 0
; COMPUTE_PGM_RSRC2:TIDIG_COMP_CNT: 0
; COMPUTE_PGM_RSRC3_GFX90A:ACCUM_OFFSET: 5
; COMPUTE_PGM_RSRC3_GFX90A:TG_SPLIT: 0
	.section	.text._ZN9rocsparseL26csrgemm_fill_block_per_rowILj1024ELj64ELj16384ELj137ELj64Eli21rocsparse_complex_numIfEEEvT5_PKS3_S5_NS_24const_host_device_scalarIT6_EEPKT4_S5_PKS7_SB_S5_SD_S8_SB_S5_SD_SB_PS3_PS7_21rocsparse_index_base_SG_SG_SG_bbb,"axG",@progbits,_ZN9rocsparseL26csrgemm_fill_block_per_rowILj1024ELj64ELj16384ELj137ELj64Eli21rocsparse_complex_numIfEEEvT5_PKS3_S5_NS_24const_host_device_scalarIT6_EEPKT4_S5_PKS7_SB_S5_SD_S8_SB_S5_SD_SB_PS3_PS7_21rocsparse_index_base_SG_SG_SG_bbb,comdat
	.globl	_ZN9rocsparseL26csrgemm_fill_block_per_rowILj1024ELj64ELj16384ELj137ELj64Eli21rocsparse_complex_numIfEEEvT5_PKS3_S5_NS_24const_host_device_scalarIT6_EEPKT4_S5_PKS7_SB_S5_SD_S8_SB_S5_SD_SB_PS3_PS7_21rocsparse_index_base_SG_SG_SG_bbb ; -- Begin function _ZN9rocsparseL26csrgemm_fill_block_per_rowILj1024ELj64ELj16384ELj137ELj64Eli21rocsparse_complex_numIfEEEvT5_PKS3_S5_NS_24const_host_device_scalarIT6_EEPKT4_S5_PKS7_SB_S5_SD_S8_SB_S5_SD_SB_PS3_PS7_21rocsparse_index_base_SG_SG_SG_bbb
	.p2align	8
	.type	_ZN9rocsparseL26csrgemm_fill_block_per_rowILj1024ELj64ELj16384ELj137ELj64Eli21rocsparse_complex_numIfEEEvT5_PKS3_S5_NS_24const_host_device_scalarIT6_EEPKT4_S5_PKS7_SB_S5_SD_S8_SB_S5_SD_SB_PS3_PS7_21rocsparse_index_base_SG_SG_SG_bbb,@function
_ZN9rocsparseL26csrgemm_fill_block_per_rowILj1024ELj64ELj16384ELj137ELj64Eli21rocsparse_complex_numIfEEEvT5_PKS3_S5_NS_24const_host_device_scalarIT6_EEPKT4_S5_PKS7_SB_S5_SD_S8_SB_S5_SD_SB_PS3_PS7_21rocsparse_index_base_SG_SG_SG_bbb: ; @_ZN9rocsparseL26csrgemm_fill_block_per_rowILj1024ELj64ELj16384ELj137ELj64Eli21rocsparse_complex_numIfEEEvT5_PKS3_S5_NS_24const_host_device_scalarIT6_EEPKT4_S5_PKS7_SB_S5_SD_S8_SB_S5_SD_SB_PS3_PS7_21rocsparse_index_base_SG_SG_SG_bbb
; %bb.0:
	s_load_dwordx8 s[36:43], s[4:5], 0x60
	s_load_dwordx8 s[8:15], s[4:5], 0x40
	s_load_dword s7, s[4:5], 0x98
	s_load_dwordx4 s[24:27], s[4:5], 0x8
	s_load_dwordx8 s[16:23], s[4:5], 0x20
	s_load_dwordx2 s[34:35], s[4:5], 0x80
	s_load_dwordx4 s[44:47], s[4:5], 0x88
	s_waitcnt lgkmcnt(0)
	s_bitcmp1_b32 s7, 0
	s_cselect_b64 s[30:31], -1, 0
	s_bitcmp1_b32 s7, 16
	s_cselect_b64 s[0:1], -1, 0
	s_xor_b64 s[0:1], s[0:1], -1
	v_cndmask_b32_e64 v1, 0, 1, s[0:1]
	s_mov_b32 s3, 0
	s_bitcmp0_b32 s7, 0
	v_cmp_ne_u32_e64 s[0:1], 1, v1
	s_mov_b32 s58, 0
	s_cbranch_scc1 .LBB233_5
; %bb.1:
	s_load_dwordx2 s[2:3], s[4:5], 0x18
	s_and_b64 vcc, exec, s[0:1]
	s_waitcnt lgkmcnt(0)
	s_mov_b32 s58, s2
	s_cbranch_vccnz .LBB233_3
; %bb.2:
	s_load_dword s58, s[2:3], 0x0
.LBB233_3:
	s_and_b64 vcc, exec, s[0:1]
	s_cbranch_vccnz .LBB233_5
; %bb.4:
	s_load_dword s3, s[2:3], 0x4
.LBB233_5:
	s_bitcmp1_b32 s7, 8
	s_cselect_b64 s[28:29], -1, 0
	s_bfe_u32 s2, s7, 0x10008
	s_mov_b32 s57, 0
	s_cmp_eq_u32 s2, 0
	s_mov_b32 s56, 0
	s_cbranch_scc1 .LBB233_11
; %bb.6:
	s_and_b64 vcc, exec, s[0:1]
	s_mov_b32 s56, s12
	s_cbranch_vccnz .LBB233_8
; %bb.7:
	s_load_dword s56, s[12:13], 0x0
.LBB233_8:
	s_and_b64 vcc, exec, s[0:1]
	s_cbranch_vccnz .LBB233_10
; %bb.9:
	s_load_dword s13, s[12:13], 0x4
.LBB233_10:
	s_waitcnt lgkmcnt(0)
	s_mov_b32 s57, s13
.LBB233_11:
	s_load_dword s33, s[4:5], 0x0
	v_lshl_add_u32 v2, v0, 3, 0
	v_or_b32_e32 v1, 0xfffffc00, v0
	v_add_u32_e32 v8, 0x10000, v2
	v_lshl_add_u32 v9, v0, 2, 0
	s_mov_b64 s[0:1], 0
	s_waitcnt lgkmcnt(0)
	v_mov_b32_e32 v2, s33
	v_mov_b32_e32 v3, 0
	s_movk_i32 s2, 0x3bff
	v_mov_b32_e32 v4, v9
	v_mov_b32_e32 v5, v8
	;; [unrolled: 1-line block ×3, first 2 shown]
.LBB233_12:                             ; =>This Inner Loop Header: Depth=1
	v_add_u32_e32 v6, 0x400, v6
	v_cmp_lt_u32_e32 vcc, s2, v6
	ds_write_b32 v4, v2
	ds_write2_b32 v5, v3, v3 offset1:1
	v_add_u32_e32 v5, 0x2000, v5
	s_or_b64 s[0:1], vcc, s[0:1]
	v_add_u32_e32 v4, 0x1000, v4
	s_andn2_b64 exec, exec, s[0:1]
	s_cbranch_execnz .LBB233_12
; %bb.13:
	s_or_b64 exec, exec, s[0:1]
	s_waitcnt lgkmcnt(0)
	s_barrier
	s_load_dword s0, s[24:25], 0x0
	s_mov_b32 s1, 0
	v_lshrrev_b32_e32 v10, 6, v0
	s_waitcnt lgkmcnt(0)
	s_add_i32 s0, s0, s6
	s_lshl_b64 s[0:1], s[0:1], 2
	s_add_u32 s0, s26, s0
	s_addc_u32 s1, s27, s1
	s_load_dword s48, s[0:1], 0x0
	s_and_b64 vcc, exec, s[30:31]
	s_cbranch_vccz .LBB233_33
; %bb.14:
	s_waitcnt lgkmcnt(0)
	s_ashr_i32 s49, s48, 31
	s_lshl_b64 s[0:1], s[48:49], 3
	s_add_u32 s0, s16, s0
	s_addc_u32 s1, s17, s1
	s_load_dwordx4 s[4:7], s[0:1], 0x0
	v_subrev_co_u32_e32 v2, vcc, s44, v10
	v_subb_co_u32_e64 v3, s[0:1], 0, 0, vcc
	s_waitcnt lgkmcnt(0)
	s_sub_u32 s0, s6, s44
	v_mov_b32_e32 v4, s5
	v_add_co_u32_e32 v2, vcc, s4, v2
	s_subb_u32 s1, s7, 0
	v_addc_co_u32_e32 v3, vcc, v4, v3, vcc
	v_cmp_gt_i64_e32 vcc, s[0:1], v[2:3]
	s_and_saveexec_b64 s[4:5], vcc
	s_cbranch_execz .LBB233_32
; %bb.15:
	v_and_b32_e32 v4, 63, v0
	v_subrev_co_u32_e32 v11, vcc, s45, v4
	s_mov_b32 s12, 0
	v_subb_co_u32_e64 v12, s[6:7], 0, 0, vcc
	s_mov_b32 s2, s45
	s_mov_b64 s[6:7], 0
	v_mov_b32_e32 v13, s19
	v_mov_b32_e32 v14, s23
	;; [unrolled: 1-line block ×3, first 2 shown]
	s_movk_i32 s19, 0x89
	s_branch .LBB233_17
.LBB233_16:                             ;   in Loop: Header=BB233_17 Depth=1
	s_or_b64 exec, exec, s[12:13]
	v_add_co_u32_e32 v2, vcc, 16, v2
	v_addc_co_u32_e32 v3, vcc, 0, v3, vcc
	v_cmp_le_i64_e32 vcc, s[0:1], v[2:3]
	s_or_b64 s[6:7], vcc, s[6:7]
	s_andn2_b64 exec, exec, s[6:7]
	s_cbranch_execz .LBB233_32
.LBB233_17:                             ; =>This Loop Header: Depth=1
                                        ;     Child Loop BB233_20 Depth 2
                                        ;       Child Loop BB233_22 Depth 3
	v_lshlrev_b64 v[4:5], 2, v[2:3]
	v_add_co_u32_e32 v4, vcc, s18, v4
	v_addc_co_u32_e32 v5, vcc, v13, v5, vcc
	global_load_dword v4, v[4:5], off
	s_waitcnt vmcnt(0)
	v_subrev_u32_e32 v4, s44, v4
	v_ashrrev_i32_e32 v5, 31, v4
	v_lshlrev_b64 v[4:5], 3, v[4:5]
	v_add_co_u32_e32 v4, vcc, s22, v4
	v_addc_co_u32_e32 v5, vcc, v14, v5, vcc
	global_load_dwordx4 v[16:19], v[4:5], off
	s_waitcnt vmcnt(0)
	v_subrev_co_u32_e32 v4, vcc, s2, v18
	v_subb_co_u32_e32 v5, vcc, v19, v15, vcc
	v_add_co_u32_e32 v6, vcc, v16, v11
	v_addc_co_u32_e32 v7, vcc, v17, v12, vcc
	v_cmp_lt_i64_e32 vcc, v[6:7], v[4:5]
	s_and_saveexec_b64 s[12:13], vcc
	s_cbranch_execz .LBB233_16
; %bb.18:                               ;   in Loop: Header=BB233_17 Depth=1
	v_lshlrev_b64 v[16:17], 3, v[2:3]
	v_mov_b32_e32 v18, s21
	v_add_co_u32_e32 v16, vcc, s20, v16
	v_addc_co_u32_e32 v17, vcc, v18, v17, vcc
	global_load_dwordx2 v[18:19], v[16:17], off
	s_mov_b64 s[16:17], 0
	s_waitcnt vmcnt(0)
	v_mul_f32_e64 v16, v19, -s3
	v_mul_f32_e32 v17, s58, v19
	v_fmac_f32_e32 v16, s58, v18
	v_fmac_f32_e32 v17, s3, v18
	s_branch .LBB233_20
.LBB233_19:                             ;   in Loop: Header=BB233_20 Depth=2
	s_or_b64 exec, exec, s[24:25]
	v_add_co_u32_e32 v6, vcc, 64, v6
	v_addc_co_u32_e32 v7, vcc, 0, v7, vcc
	v_cmp_ge_i64_e32 vcc, v[6:7], v[4:5]
	s_or_b64 s[16:17], vcc, s[16:17]
	s_andn2_b64 exec, exec, s[16:17]
	s_cbranch_execz .LBB233_16
.LBB233_20:                             ;   Parent Loop BB233_17 Depth=1
                                        ; =>  This Loop Header: Depth=2
                                        ;       Child Loop BB233_22 Depth 3
	v_lshlrev_b64 v[18:19], 2, v[6:7]
	v_mov_b32_e32 v20, s9
	v_add_co_u32_e32 v18, vcc, s8, v18
	v_addc_co_u32_e32 v19, vcc, v20, v19, vcc
	global_load_dword v20, v[18:19], off
	v_lshlrev_b64 v[18:19], 3, v[6:7]
	v_mov_b32_e32 v21, s11
	v_add_co_u32_e32 v18, vcc, s10, v18
	v_addc_co_u32_e32 v19, vcc, v21, v19, vcc
	global_load_dwordx2 v[22:23], v[18:19], off
	s_mov_b64 s[24:25], 0
	s_waitcnt vmcnt(1)
	v_subrev_u32_e32 v18, s45, v20
	v_mul_lo_u32 v21, v18, s19
	v_and_b32_e32 v21, 0x3fff, v21
	s_waitcnt vmcnt(0)
	v_mul_f32_e64 v19, v23, -v17
	v_mul_f32_e32 v20, v16, v23
	v_fmac_f32_e32 v19, v16, v22
	v_fmac_f32_e32 v20, v17, v22
	s_branch .LBB233_22
.LBB233_21:                             ;   in Loop: Header=BB233_22 Depth=3
	s_or_b64 exec, exec, s[26:27]
	s_xor_b64 s[26:27], s[30:31], -1
	s_and_b64 s[26:27], exec, s[26:27]
	s_or_b64 s[24:25], s[26:27], s[24:25]
	s_andn2_b64 exec, exec, s[24:25]
	s_cbranch_execz .LBB233_19
.LBB233_22:                             ;   Parent Loop BB233_17 Depth=1
                                        ;     Parent Loop BB233_20 Depth=2
                                        ; =>    This Inner Loop Header: Depth=3
	v_lshl_add_u32 v22, v21, 2, 0
	ds_read_b32 v23, v22
                                        ; implicit-def: $sgpr30_sgpr31
	s_waitcnt lgkmcnt(0)
	v_cmp_ne_u32_e32 vcc, v23, v18
	s_and_saveexec_b64 s[26:27], vcc
	s_xor_b64 s[26:27], exec, s[26:27]
	s_cbranch_execz .LBB233_30
; %bb.23:                               ;   in Loop: Header=BB233_22 Depth=3
	v_cmp_ne_u32_e32 vcc, s33, v23
                                        ; implicit-def: $sgpr30_sgpr31
	s_and_saveexec_b64 s[50:51], vcc
	s_xor_b64 s[50:51], exec, s[50:51]
; %bb.24:                               ;   in Loop: Header=BB233_22 Depth=3
	v_add_u32_e32 v21, 1, v21
	v_and_b32_e32 v21, 0x3fff, v21
	s_mov_b64 s[30:31], -1
                                        ; implicit-def: $vgpr22
; %bb.25:                               ;   in Loop: Header=BB233_22 Depth=3
	s_andn2_saveexec_b64 s[50:51], s[50:51]
	s_cbranch_execz .LBB233_29
; %bb.26:                               ;   in Loop: Header=BB233_22 Depth=3
	v_mov_b32_e32 v23, s33
	ds_cmpst_rtn_b32 v22, v22, v23, v18
	s_mov_b64 s[54:55], -1
	s_waitcnt lgkmcnt(0)
	v_cmp_eq_u32_e32 vcc, s33, v22
	s_and_saveexec_b64 s[52:53], vcc
	s_cbranch_execz .LBB233_28
; %bb.27:                               ;   in Loop: Header=BB233_22 Depth=3
	v_lshl_add_u32 v22, v21, 3, 0
	v_add_u32_e32 v22, 0x10000, v22
	ds_add_f32 v22, v19
	ds_add_f32 v22, v20 offset:4
	s_xor_b64 s[54:55], exec, -1
.LBB233_28:                             ;   in Loop: Header=BB233_22 Depth=3
	s_or_b64 exec, exec, s[52:53]
	s_andn2_b64 s[30:31], s[30:31], exec
	s_and_b64 s[52:53], s[54:55], exec
	s_or_b64 s[30:31], s[30:31], s[52:53]
.LBB233_29:                             ;   in Loop: Header=BB233_22 Depth=3
	s_or_b64 exec, exec, s[50:51]
	s_and_b64 s[30:31], s[30:31], exec
.LBB233_30:                             ;   in Loop: Header=BB233_22 Depth=3
	s_andn2_saveexec_b64 s[26:27], s[26:27]
	s_cbranch_execz .LBB233_21
; %bb.31:                               ;   in Loop: Header=BB233_22 Depth=3
	v_lshl_add_u32 v22, v21, 3, 0
	v_add_u32_e32 v22, 0x10000, v22
	ds_add_f32 v22, v19
	ds_add_f32 v22, v20 offset:4
	s_andn2_b64 s[30:31], s[30:31], exec
	s_branch .LBB233_21
.LBB233_32:
	s_or_b64 exec, exec, s[4:5]
.LBB233_33:
	s_andn2_b64 vcc, exec, s[28:29]
	s_cbranch_vccnz .LBB233_50
; %bb.34:
	s_waitcnt lgkmcnt(0)
	s_ashr_i32 s49, s48, 31
	s_lshl_b64 s[0:1], s[48:49], 3
	s_add_u32 s0, s14, s0
	s_addc_u32 s1, s15, s1
	s_load_dwordx4 s[4:7], s[0:1], 0x0
	v_subrev_co_u32_e32 v2, vcc, s47, v0
	v_subb_co_u32_e64 v3, s[0:1], 0, 0, vcc
	s_waitcnt lgkmcnt(0)
	s_sub_u32 s0, s6, s47
	v_mov_b32_e32 v4, s5
	v_add_co_u32_e32 v2, vcc, s4, v2
	s_subb_u32 s1, s7, 0
	v_addc_co_u32_e32 v3, vcc, v4, v3, vcc
	v_cmp_gt_i64_e32 vcc, s[0:1], v[2:3]
	s_and_saveexec_b64 s[2:3], vcc
	s_cbranch_execz .LBB233_49
; %bb.35:
	s_mov_b64 s[4:5], 0
	v_mov_b32_e32 v4, s37
	v_mov_b32_e32 v5, s39
	s_movk_i32 s18, 0x89
	s_branch .LBB233_37
.LBB233_36:                             ;   in Loop: Header=BB233_37 Depth=1
	s_or_b64 exec, exec, s[6:7]
	v_add_co_u32_e32 v2, vcc, 0x400, v2
	v_addc_co_u32_e32 v3, vcc, 0, v3, vcc
	v_cmp_le_i64_e32 vcc, s[0:1], v[2:3]
	s_or_b64 s[4:5], vcc, s[4:5]
	s_andn2_b64 exec, exec, s[4:5]
	s_cbranch_execz .LBB233_49
.LBB233_37:                             ; =>This Loop Header: Depth=1
                                        ;     Child Loop BB233_39 Depth 2
	v_lshlrev_b64 v[6:7], 2, v[2:3]
	v_add_co_u32_e32 v6, vcc, s36, v6
	v_addc_co_u32_e32 v7, vcc, v4, v7, vcc
	global_load_dword v11, v[6:7], off
	v_lshlrev_b64 v[6:7], 3, v[2:3]
	v_add_co_u32_e32 v6, vcc, s38, v6
	v_addc_co_u32_e32 v7, vcc, v5, v7, vcc
	global_load_dwordx2 v[12:13], v[6:7], off
	s_mov_b64 s[6:7], 0
	s_waitcnt vmcnt(1)
	v_subrev_u32_e32 v6, s47, v11
	s_waitcnt vmcnt(0)
	v_mul_f32_e64 v7, v13, -s57
	v_mul_f32_e32 v11, s56, v13
	v_fmac_f32_e32 v7, s56, v12
	v_fmac_f32_e32 v11, s57, v12
	v_mul_lo_u32 v12, v6, s18
	v_and_b32_e32 v12, 0x3fff, v12
	s_branch .LBB233_39
.LBB233_38:                             ;   in Loop: Header=BB233_39 Depth=2
	s_or_b64 exec, exec, s[8:9]
	s_xor_b64 s[8:9], s[10:11], -1
	s_and_b64 s[8:9], exec, s[8:9]
	s_or_b64 s[6:7], s[8:9], s[6:7]
	s_andn2_b64 exec, exec, s[6:7]
	s_cbranch_execz .LBB233_36
.LBB233_39:                             ;   Parent Loop BB233_37 Depth=1
                                        ; =>  This Inner Loop Header: Depth=2
	v_lshl_add_u32 v13, v12, 2, 0
	ds_read_b32 v14, v13
                                        ; implicit-def: $sgpr10_sgpr11
	s_waitcnt lgkmcnt(0)
	v_cmp_ne_u32_e32 vcc, v14, v6
	s_and_saveexec_b64 s[8:9], vcc
	s_xor_b64 s[8:9], exec, s[8:9]
	s_cbranch_execz .LBB233_47
; %bb.40:                               ;   in Loop: Header=BB233_39 Depth=2
	v_cmp_ne_u32_e32 vcc, s33, v14
                                        ; implicit-def: $sgpr10_sgpr11
	s_and_saveexec_b64 s[12:13], vcc
	s_xor_b64 s[12:13], exec, s[12:13]
; %bb.41:                               ;   in Loop: Header=BB233_39 Depth=2
	v_add_u32_e32 v12, 1, v12
	v_and_b32_e32 v12, 0x3fff, v12
	s_mov_b64 s[10:11], -1
                                        ; implicit-def: $vgpr13
; %bb.42:                               ;   in Loop: Header=BB233_39 Depth=2
	s_andn2_saveexec_b64 s[12:13], s[12:13]
	s_cbranch_execz .LBB233_46
; %bb.43:                               ;   in Loop: Header=BB233_39 Depth=2
	v_mov_b32_e32 v14, s33
	ds_cmpst_rtn_b32 v13, v13, v14, v6
	s_mov_b64 s[16:17], -1
	s_waitcnt lgkmcnt(0)
	v_cmp_eq_u32_e32 vcc, s33, v13
	s_and_saveexec_b64 s[14:15], vcc
	s_cbranch_execz .LBB233_45
; %bb.44:                               ;   in Loop: Header=BB233_39 Depth=2
	v_lshl_add_u32 v13, v12, 3, 0
	v_add_u32_e32 v13, 0x10000, v13
	ds_add_f32 v13, v7
	ds_add_f32 v13, v11 offset:4
	s_xor_b64 s[16:17], exec, -1
.LBB233_45:                             ;   in Loop: Header=BB233_39 Depth=2
	s_or_b64 exec, exec, s[14:15]
	s_andn2_b64 s[10:11], s[10:11], exec
	s_and_b64 s[14:15], s[16:17], exec
	s_or_b64 s[10:11], s[10:11], s[14:15]
.LBB233_46:                             ;   in Loop: Header=BB233_39 Depth=2
	s_or_b64 exec, exec, s[12:13]
	s_and_b64 s[10:11], s[10:11], exec
.LBB233_47:                             ;   in Loop: Header=BB233_39 Depth=2
	s_andn2_saveexec_b64 s[8:9], s[8:9]
	s_cbranch_execz .LBB233_38
; %bb.48:                               ;   in Loop: Header=BB233_39 Depth=2
	v_lshl_add_u32 v13, v12, 3, 0
	v_add_u32_e32 v13, 0x10000, v13
	ds_add_f32 v13, v7
	ds_add_f32 v13, v11 offset:4
	s_andn2_b64 s[10:11], s[10:11], exec
	s_branch .LBB233_38
.LBB233_49:
	s_or_b64 exec, exec, s[2:3]
.LBB233_50:
	v_mbcnt_lo_u32_b32 v2, -1, 0
	v_mbcnt_hi_u32_b32 v2, -1, v2
	v_sub_u32_e32 v2, 63, v2
	s_add_i32 s44, 0, 0x30000
	s_movk_i32 s0, 0x3ff
	s_movk_i32 s2, 0x7f
	s_movk_i32 s4, 0xbf
	s_movk_i32 s6, 0xff
	s_movk_i32 s8, 0x13f
	s_movk_i32 s10, 0x17f
	s_movk_i32 s12, 0x1bf
	s_movk_i32 s14, 0x1ff
	s_movk_i32 s16, 0x23f
	s_movk_i32 s18, 0x27f
	s_movk_i32 s20, 0x2bf
	s_movk_i32 s22, 0x2ff
	s_movk_i32 s24, 0x33f
	s_movk_i32 s26, 0x37f
	s_movk_i32 s28, 0x3bf
	s_add_i32 s61, 0, 0x3003c
	v_mov_b32_e32 v6, 0
	v_lshrrev_b64 v[2:3], v2, -1
	v_lshl_add_u32 v7, v10, 2, s44
	v_cmp_eq_u32_e32 vcc, s0, v0
	v_cmp_lt_u32_e64 s[0:1], 63, v0
	v_cmp_lt_u32_e64 s[2:3], s2, v0
	;; [unrolled: 1-line block ×15, first 2 shown]
	s_mov_b64 s[36:37], 0
	s_add_i32 s45, 0, 0x30004
	s_add_i32 s47, 0, 0x30008
	;; [unrolled: 1-line block ×14, first 2 shown]
	v_mov_b32_e32 v10, s61
	s_movk_i32 s62, 0x3bff
	s_waitcnt lgkmcnt(0)
	s_barrier
	s_branch .LBB233_52
.LBB233_51:                             ;   in Loop: Header=BB233_52 Depth=1
	s_or_b64 exec, exec, s[30:31]
	s_waitcnt lgkmcnt(0)
	s_barrier
	ds_read_b32 v4, v10
	v_add_u32_e32 v1, 0x400, v1
	v_cmp_lt_u32_e64 s[30:31], s62, v1
	v_add_u32_e32 v8, 0x2000, v8
	s_or_b64 s[36:37], s[30:31], s[36:37]
	s_waitcnt lgkmcnt(0)
	v_add_u32_e32 v6, v4, v6
	v_add_u32_e32 v9, 0x1000, v9
	s_andn2_b64 exec, exec, s[36:37]
	s_cbranch_execz .LBB233_86
.LBB233_52:                             ; =>This Inner Loop Header: Depth=1
	ds_read_b32 v11, v9
	ds_read2_b32 v[4:5], v8 offset1:1
	s_waitcnt lgkmcnt(0)
	s_barrier
	v_cmp_gt_i32_e64 s[30:31], s33, v11
	v_and_b32_e32 v13, s30, v2
	s_bcnt1_i32_b64 s38, s[30:31]
	v_and_b32_e32 v12, s31, v3
	v_bcnt_u32_b32 v13, v13, 0
	v_bcnt_u32_b32 v12, v12, v13
	v_mov_b32_e32 v13, s38
	ds_write_b32 v7, v13
	s_waitcnt lgkmcnt(0)
	s_barrier
	s_and_saveexec_b64 s[38:39], s[0:1]
	s_cbranch_execnz .LBB233_69
; %bb.53:                               ;   in Loop: Header=BB233_52 Depth=1
	s_or_b64 exec, exec, s[38:39]
	s_and_saveexec_b64 s[38:39], s[2:3]
	s_cbranch_execnz .LBB233_70
.LBB233_54:                             ;   in Loop: Header=BB233_52 Depth=1
	s_or_b64 exec, exec, s[38:39]
	s_and_saveexec_b64 s[38:39], s[4:5]
	s_cbranch_execnz .LBB233_71
.LBB233_55:                             ;   in Loop: Header=BB233_52 Depth=1
	s_or_b64 exec, exec, s[38:39]
	s_and_saveexec_b64 s[38:39], s[6:7]
	s_cbranch_execnz .LBB233_72
.LBB233_56:                             ;   in Loop: Header=BB233_52 Depth=1
	s_or_b64 exec, exec, s[38:39]
	s_and_saveexec_b64 s[38:39], s[8:9]
	s_cbranch_execnz .LBB233_73
.LBB233_57:                             ;   in Loop: Header=BB233_52 Depth=1
	s_or_b64 exec, exec, s[38:39]
	s_and_saveexec_b64 s[38:39], s[10:11]
	s_cbranch_execnz .LBB233_74
.LBB233_58:                             ;   in Loop: Header=BB233_52 Depth=1
	s_or_b64 exec, exec, s[38:39]
	s_and_saveexec_b64 s[38:39], s[12:13]
	s_cbranch_execnz .LBB233_75
.LBB233_59:                             ;   in Loop: Header=BB233_52 Depth=1
	s_or_b64 exec, exec, s[38:39]
	s_and_saveexec_b64 s[38:39], s[14:15]
	s_cbranch_execnz .LBB233_76
.LBB233_60:                             ;   in Loop: Header=BB233_52 Depth=1
	s_or_b64 exec, exec, s[38:39]
	s_and_saveexec_b64 s[38:39], s[16:17]
	s_cbranch_execnz .LBB233_77
.LBB233_61:                             ;   in Loop: Header=BB233_52 Depth=1
	s_or_b64 exec, exec, s[38:39]
	s_and_saveexec_b64 s[38:39], s[18:19]
	s_cbranch_execnz .LBB233_78
.LBB233_62:                             ;   in Loop: Header=BB233_52 Depth=1
	s_or_b64 exec, exec, s[38:39]
	s_and_saveexec_b64 s[38:39], s[20:21]
	s_cbranch_execnz .LBB233_79
.LBB233_63:                             ;   in Loop: Header=BB233_52 Depth=1
	s_or_b64 exec, exec, s[38:39]
	s_and_saveexec_b64 s[38:39], s[22:23]
	s_cbranch_execnz .LBB233_80
.LBB233_64:                             ;   in Loop: Header=BB233_52 Depth=1
	s_or_b64 exec, exec, s[38:39]
	s_and_saveexec_b64 s[38:39], s[24:25]
	s_cbranch_execnz .LBB233_81
.LBB233_65:                             ;   in Loop: Header=BB233_52 Depth=1
	s_or_b64 exec, exec, s[38:39]
	s_and_saveexec_b64 s[38:39], s[26:27]
	s_cbranch_execnz .LBB233_82
.LBB233_66:                             ;   in Loop: Header=BB233_52 Depth=1
	s_or_b64 exec, exec, s[38:39]
	s_and_saveexec_b64 s[38:39], s[28:29]
	s_cbranch_execnz .LBB233_83
.LBB233_67:                             ;   in Loop: Header=BB233_52 Depth=1
	s_or_b64 exec, exec, s[38:39]
	s_and_saveexec_b64 s[38:39], s[30:31]
	s_cbranch_execnz .LBB233_84
.LBB233_68:                             ;   in Loop: Header=BB233_52 Depth=1
	s_or_b64 exec, exec, s[38:39]
	s_and_saveexec_b64 s[30:31], vcc
	s_cbranch_execz .LBB233_51
	s_branch .LBB233_85
.LBB233_69:                             ;   in Loop: Header=BB233_52 Depth=1
	v_mov_b32_e32 v13, s44
	ds_read_b32 v13, v13
	s_waitcnt lgkmcnt(0)
	v_add_u32_e32 v12, v13, v12
	s_or_b64 exec, exec, s[38:39]
	s_and_saveexec_b64 s[38:39], s[2:3]
	s_cbranch_execz .LBB233_54
.LBB233_70:                             ;   in Loop: Header=BB233_52 Depth=1
	v_mov_b32_e32 v13, s45
	ds_read_b32 v13, v13
	s_waitcnt lgkmcnt(0)
	v_add_u32_e32 v12, v13, v12
	s_or_b64 exec, exec, s[38:39]
	s_and_saveexec_b64 s[38:39], s[4:5]
	s_cbranch_execz .LBB233_55
.LBB233_71:                             ;   in Loop: Header=BB233_52 Depth=1
	v_mov_b32_e32 v13, s47
	ds_read_b32 v13, v13
	s_waitcnt lgkmcnt(0)
	v_add_u32_e32 v12, v13, v12
	s_or_b64 exec, exec, s[38:39]
	s_and_saveexec_b64 s[38:39], s[6:7]
	s_cbranch_execz .LBB233_56
.LBB233_72:                             ;   in Loop: Header=BB233_52 Depth=1
	v_mov_b32_e32 v13, s49
	ds_read_b32 v13, v13
	s_waitcnt lgkmcnt(0)
	v_add_u32_e32 v12, v13, v12
	s_or_b64 exec, exec, s[38:39]
	s_and_saveexec_b64 s[38:39], s[8:9]
	s_cbranch_execz .LBB233_57
.LBB233_73:                             ;   in Loop: Header=BB233_52 Depth=1
	v_mov_b32_e32 v13, s50
	ds_read_b32 v13, v13
	s_waitcnt lgkmcnt(0)
	v_add_u32_e32 v12, v13, v12
	s_or_b64 exec, exec, s[38:39]
	s_and_saveexec_b64 s[38:39], s[10:11]
	s_cbranch_execz .LBB233_58
.LBB233_74:                             ;   in Loop: Header=BB233_52 Depth=1
	v_mov_b32_e32 v13, s51
	ds_read_b32 v13, v13
	s_waitcnt lgkmcnt(0)
	v_add_u32_e32 v12, v13, v12
	s_or_b64 exec, exec, s[38:39]
	s_and_saveexec_b64 s[38:39], s[12:13]
	s_cbranch_execz .LBB233_59
.LBB233_75:                             ;   in Loop: Header=BB233_52 Depth=1
	v_mov_b32_e32 v13, s52
	ds_read_b32 v13, v13
	s_waitcnt lgkmcnt(0)
	v_add_u32_e32 v12, v13, v12
	s_or_b64 exec, exec, s[38:39]
	s_and_saveexec_b64 s[38:39], s[14:15]
	s_cbranch_execz .LBB233_60
.LBB233_76:                             ;   in Loop: Header=BB233_52 Depth=1
	v_mov_b32_e32 v13, s53
	ds_read_b32 v13, v13
	s_waitcnt lgkmcnt(0)
	v_add_u32_e32 v12, v13, v12
	s_or_b64 exec, exec, s[38:39]
	s_and_saveexec_b64 s[38:39], s[16:17]
	s_cbranch_execz .LBB233_61
.LBB233_77:                             ;   in Loop: Header=BB233_52 Depth=1
	v_mov_b32_e32 v13, s54
	ds_read_b32 v13, v13
	s_waitcnt lgkmcnt(0)
	v_add_u32_e32 v12, v13, v12
	s_or_b64 exec, exec, s[38:39]
	s_and_saveexec_b64 s[38:39], s[18:19]
	s_cbranch_execz .LBB233_62
.LBB233_78:                             ;   in Loop: Header=BB233_52 Depth=1
	v_mov_b32_e32 v13, s55
	ds_read_b32 v13, v13
	s_waitcnt lgkmcnt(0)
	v_add_u32_e32 v12, v13, v12
	s_or_b64 exec, exec, s[38:39]
	s_and_saveexec_b64 s[38:39], s[20:21]
	s_cbranch_execz .LBB233_63
.LBB233_79:                             ;   in Loop: Header=BB233_52 Depth=1
	v_mov_b32_e32 v13, s56
	ds_read_b32 v13, v13
	s_waitcnt lgkmcnt(0)
	v_add_u32_e32 v12, v13, v12
	s_or_b64 exec, exec, s[38:39]
	s_and_saveexec_b64 s[38:39], s[22:23]
	s_cbranch_execz .LBB233_64
.LBB233_80:                             ;   in Loop: Header=BB233_52 Depth=1
	v_mov_b32_e32 v13, s57
	ds_read_b32 v13, v13
	s_waitcnt lgkmcnt(0)
	v_add_u32_e32 v12, v13, v12
	s_or_b64 exec, exec, s[38:39]
	s_and_saveexec_b64 s[38:39], s[24:25]
	s_cbranch_execz .LBB233_65
.LBB233_81:                             ;   in Loop: Header=BB233_52 Depth=1
	v_mov_b32_e32 v13, s58
	ds_read_b32 v13, v13
	s_waitcnt lgkmcnt(0)
	v_add_u32_e32 v12, v13, v12
	s_or_b64 exec, exec, s[38:39]
	s_and_saveexec_b64 s[38:39], s[26:27]
	s_cbranch_execz .LBB233_66
.LBB233_82:                             ;   in Loop: Header=BB233_52 Depth=1
	v_mov_b32_e32 v13, s59
	ds_read_b32 v13, v13
	s_waitcnt lgkmcnt(0)
	v_add_u32_e32 v12, v13, v12
	s_or_b64 exec, exec, s[38:39]
	s_and_saveexec_b64 s[38:39], s[28:29]
	s_cbranch_execz .LBB233_67
.LBB233_83:                             ;   in Loop: Header=BB233_52 Depth=1
	v_mov_b32_e32 v13, s60
	ds_read_b32 v13, v13
	s_waitcnt lgkmcnt(0)
	v_add_u32_e32 v12, v13, v12
	s_or_b64 exec, exec, s[38:39]
	s_and_saveexec_b64 s[38:39], s[30:31]
	s_cbranch_execz .LBB233_68
.LBB233_84:                             ;   in Loop: Header=BB233_52 Depth=1
	v_add3_u32 v13, v6, -1, v12
	v_lshl_add_u32 v14, v13, 2, 0
	v_lshl_add_u32 v13, v13, 3, 0
	v_add_u32_e32 v13, 0x10000, v13
	ds_write_b32 v14, v11
	ds_write2_b32 v13, v4, v5 offset1:1
	s_or_b64 exec, exec, s[38:39]
	s_and_saveexec_b64 s[30:31], vcc
	s_cbranch_execz .LBB233_51
.LBB233_85:                             ;   in Loop: Header=BB233_52 Depth=1
	v_mov_b32_e32 v4, s61
	ds_write_b32 v4, v12
	s_branch .LBB233_51
.LBB233_86:
	s_or_b64 exec, exec, s[36:37]
	s_ashr_i32 s49, s48, 31
	s_lshl_b64 s[0:1], s[48:49], 3
	s_add_u32 s0, s40, s0
	s_addc_u32 s1, s41, s1
	s_load_dwordx4 s[0:3], s[0:1], 0x0
	s_waitcnt lgkmcnt(0)
	s_sub_i32 s8, s2, s0
	v_cmp_gt_i32_e32 vcc, s8, v0
	s_and_saveexec_b64 s[4:5], vcc
	s_cbranch_execz .LBB233_96
; %bb.87:
	s_sub_u32 s4, s0, s46
	s_subb_u32 s5, s1, 0
	s_and_b32 s9, s8, 7
	s_sub_i32 s0, s0, s2
	s_cmp_lt_u32 s0, -7
	s_cselect_b64 s[0:1], -1, 0
	s_and_b32 s10, s8, -8
	s_cmp_lg_u32 s9, 0
	v_cndmask_b32_e64 v1, 0, 1, s[0:1]
	s_cselect_b64 s[2:3], -1, 0
	v_cmp_ne_u32_e64 s[0:1], 1, v1
	v_cndmask_b32_e64 v1, 0, 1, s[2:3]
	s_mov_b64 s[6:7], 0
	v_cmp_ne_u32_e64 s[2:3], 1, v1
	s_branch .LBB233_89
.LBB233_88:                             ;   in Loop: Header=BB233_89 Depth=1
	v_lshlrev_b64 v[6:7], 2, v[4:5]
	v_mov_b32_e32 v8, s43
	v_add_co_u32_e32 v6, vcc, s42, v6
	s_waitcnt lgkmcnt(1)
	v_add_u32_e32 v1, s46, v1
	v_addc_co_u32_e32 v7, vcc, v8, v7, vcc
	v_lshlrev_b64 v[4:5], 3, v[4:5]
	global_store_dword v[6:7], v1, off
	v_mov_b32_e32 v1, s35
	v_add_co_u32_e32 v4, vcc, s34, v4
	v_addc_co_u32_e32 v5, vcc, v1, v5, vcc
	v_add_u32_e32 v0, 0x400, v0
	v_cmp_le_i32_e32 vcc, s8, v0
	s_or_b64 s[6:7], vcc, s[6:7]
	s_waitcnt lgkmcnt(0)
	global_store_dwordx2 v[4:5], v[2:3], off
	s_andn2_b64 exec, exec, s[6:7]
	s_cbranch_execz .LBB233_96
.LBB233_89:                             ; =>This Loop Header: Depth=1
                                        ;     Child Loop BB233_91 Depth 2
                                        ;     Child Loop BB233_95 Depth 2
	v_lshl_add_u32 v2, v0, 3, 0
	v_lshl_add_u32 v1, v0, 2, 0
	v_add_u32_e32 v2, 0x10000, v2
	ds_read_b32 v1, v1
	ds_read2_b32 v[2:3], v2 offset1:1
	s_and_b64 vcc, exec, s[0:1]
	v_pk_mov_b32 v[4:5], s[4:5], s[4:5] op_sel:[0,1]
	s_mov_b32 s11, 0
	s_cbranch_vccnz .LBB233_93
; %bb.90:                               ;   in Loop: Header=BB233_89 Depth=1
	s_mov_b32 s12, 0
	v_pk_mov_b32 v[4:5], s[4:5], s[4:5] op_sel:[0,1]
.LBB233_91:                             ;   Parent Loop BB233_89 Depth=1
                                        ; =>  This Inner Loop Header: Depth=2
	v_mov_b32_e32 v12, s12
	ds_read2_b32 v[6:7], v12 offset1:1
	ds_read2_b32 v[8:9], v12 offset0:2 offset1:3
	ds_read2_b32 v[10:11], v12 offset0:4 offset1:5
	;; [unrolled: 1-line block ×3, first 2 shown]
	s_add_i32 s11, s11, 8
	s_waitcnt lgkmcnt(3)
	v_cmp_gt_i32_e32 vcc, v1, v6
	v_cndmask_b32_e64 v6, 0, 1, vcc
	v_cmp_gt_i32_e32 vcc, v1, v7
	v_cndmask_b32_e64 v7, 0, 1, vcc
	s_waitcnt lgkmcnt(2)
	v_cmp_gt_i32_e32 vcc, v1, v8
	v_cndmask_b32_e64 v8, 0, 1, vcc
	v_cmp_gt_i32_e32 vcc, v1, v9
	v_cndmask_b32_e64 v9, 0, 1, vcc
	;; [unrolled: 5-line block ×4, first 2 shown]
	v_add_co_u32_e32 v4, vcc, v4, v6
	v_addc_co_u32_e32 v5, vcc, 0, v5, vcc
	v_add_co_u32_e32 v4, vcc, v4, v7
	v_addc_co_u32_e32 v5, vcc, 0, v5, vcc
	;; [unrolled: 2-line block ×7, first 2 shown]
	s_add_i32 s12, s12, 32
	v_add_co_u32_e32 v4, vcc, v4, v13
	s_cmp_eq_u32 s10, s11
	v_addc_co_u32_e32 v5, vcc, 0, v5, vcc
	s_cbranch_scc0 .LBB233_91
; %bb.92:                               ;   in Loop: Header=BB233_89 Depth=1
	s_mov_b32 s11, s10
.LBB233_93:                             ;   in Loop: Header=BB233_89 Depth=1
	s_and_b64 vcc, exec, s[2:3]
	s_cbranch_vccnz .LBB233_88
; %bb.94:                               ;   in Loop: Header=BB233_89 Depth=1
	s_lshl_b32 s11, s11, 2
	s_add_i32 s11, s11, 0
	s_mov_b32 s12, s9
.LBB233_95:                             ;   Parent Loop BB233_89 Depth=1
                                        ; =>  This Inner Loop Header: Depth=2
	v_mov_b32_e32 v6, s11
	ds_read_b32 v6, v6
	s_add_i32 s11, s11, 4
	s_add_i32 s12, s12, -1
	s_cmp_lg_u32 s12, 0
	s_waitcnt lgkmcnt(0)
	v_cmp_gt_i32_e32 vcc, v1, v6
	v_cndmask_b32_e64 v6, 0, 1, vcc
	v_add_co_u32_e32 v4, vcc, v4, v6
	v_addc_co_u32_e32 v5, vcc, 0, v5, vcc
	s_cbranch_scc1 .LBB233_95
	s_branch .LBB233_88
.LBB233_96:
	s_endpgm
	.section	.rodata,"a",@progbits
	.p2align	6, 0x0
	.amdhsa_kernel _ZN9rocsparseL26csrgemm_fill_block_per_rowILj1024ELj64ELj16384ELj137ELj64Eli21rocsparse_complex_numIfEEEvT5_PKS3_S5_NS_24const_host_device_scalarIT6_EEPKT4_S5_PKS7_SB_S5_SD_S8_SB_S5_SD_SB_PS3_PS7_21rocsparse_index_base_SG_SG_SG_bbb
		.amdhsa_group_segment_fixed_size 0
		.amdhsa_private_segment_fixed_size 0
		.amdhsa_kernarg_size 156
		.amdhsa_user_sgpr_count 6
		.amdhsa_user_sgpr_private_segment_buffer 1
		.amdhsa_user_sgpr_dispatch_ptr 0
		.amdhsa_user_sgpr_queue_ptr 0
		.amdhsa_user_sgpr_kernarg_segment_ptr 1
		.amdhsa_user_sgpr_dispatch_id 0
		.amdhsa_user_sgpr_flat_scratch_init 0
		.amdhsa_user_sgpr_kernarg_preload_length 0
		.amdhsa_user_sgpr_kernarg_preload_offset 0
		.amdhsa_user_sgpr_private_segment_size 0
		.amdhsa_uses_dynamic_stack 0
		.amdhsa_system_sgpr_private_segment_wavefront_offset 0
		.amdhsa_system_sgpr_workgroup_id_x 1
		.amdhsa_system_sgpr_workgroup_id_y 0
		.amdhsa_system_sgpr_workgroup_id_z 0
		.amdhsa_system_sgpr_workgroup_info 0
		.amdhsa_system_vgpr_workitem_id 0
		.amdhsa_next_free_vgpr 24
		.amdhsa_next_free_sgpr 63
		.amdhsa_accum_offset 24
		.amdhsa_reserve_vcc 1
		.amdhsa_reserve_flat_scratch 0
		.amdhsa_float_round_mode_32 0
		.amdhsa_float_round_mode_16_64 0
		.amdhsa_float_denorm_mode_32 3
		.amdhsa_float_denorm_mode_16_64 3
		.amdhsa_dx10_clamp 1
		.amdhsa_ieee_mode 1
		.amdhsa_fp16_overflow 0
		.amdhsa_tg_split 0
		.amdhsa_exception_fp_ieee_invalid_op 0
		.amdhsa_exception_fp_denorm_src 0
		.amdhsa_exception_fp_ieee_div_zero 0
		.amdhsa_exception_fp_ieee_overflow 0
		.amdhsa_exception_fp_ieee_underflow 0
		.amdhsa_exception_fp_ieee_inexact 0
		.amdhsa_exception_int_div_zero 0
	.end_amdhsa_kernel
	.section	.text._ZN9rocsparseL26csrgemm_fill_block_per_rowILj1024ELj64ELj16384ELj137ELj64Eli21rocsparse_complex_numIfEEEvT5_PKS3_S5_NS_24const_host_device_scalarIT6_EEPKT4_S5_PKS7_SB_S5_SD_S8_SB_S5_SD_SB_PS3_PS7_21rocsparse_index_base_SG_SG_SG_bbb,"axG",@progbits,_ZN9rocsparseL26csrgemm_fill_block_per_rowILj1024ELj64ELj16384ELj137ELj64Eli21rocsparse_complex_numIfEEEvT5_PKS3_S5_NS_24const_host_device_scalarIT6_EEPKT4_S5_PKS7_SB_S5_SD_S8_SB_S5_SD_SB_PS3_PS7_21rocsparse_index_base_SG_SG_SG_bbb,comdat
.Lfunc_end233:
	.size	_ZN9rocsparseL26csrgemm_fill_block_per_rowILj1024ELj64ELj16384ELj137ELj64Eli21rocsparse_complex_numIfEEEvT5_PKS3_S5_NS_24const_host_device_scalarIT6_EEPKT4_S5_PKS7_SB_S5_SD_S8_SB_S5_SD_SB_PS3_PS7_21rocsparse_index_base_SG_SG_SG_bbb, .Lfunc_end233-_ZN9rocsparseL26csrgemm_fill_block_per_rowILj1024ELj64ELj16384ELj137ELj64Eli21rocsparse_complex_numIfEEEvT5_PKS3_S5_NS_24const_host_device_scalarIT6_EEPKT4_S5_PKS7_SB_S5_SD_S8_SB_S5_SD_SB_PS3_PS7_21rocsparse_index_base_SG_SG_SG_bbb
                                        ; -- End function
	.section	.AMDGPU.csdata,"",@progbits
; Kernel info:
; codeLenInByte = 3480
; NumSgprs: 67
; NumVgprs: 24
; NumAgprs: 0
; TotalNumVgprs: 24
; ScratchSize: 0
; MemoryBound: 0
; FloatMode: 240
; IeeeMode: 1
; LDSByteSize: 0 bytes/workgroup (compile time only)
; SGPRBlocks: 8
; VGPRBlocks: 2
; NumSGPRsForWavesPerEU: 67
; NumVGPRsForWavesPerEU: 24
; AccumOffset: 24
; Occupancy: 8
; WaveLimiterHint : 1
; COMPUTE_PGM_RSRC2:SCRATCH_EN: 0
; COMPUTE_PGM_RSRC2:USER_SGPR: 6
; COMPUTE_PGM_RSRC2:TRAP_HANDLER: 0
; COMPUTE_PGM_RSRC2:TGID_X_EN: 1
; COMPUTE_PGM_RSRC2:TGID_Y_EN: 0
; COMPUTE_PGM_RSRC2:TGID_Z_EN: 0
; COMPUTE_PGM_RSRC2:TIDIG_COMP_CNT: 0
; COMPUTE_PGM_RSRC3_GFX90A:ACCUM_OFFSET: 5
; COMPUTE_PGM_RSRC3_GFX90A:TG_SPLIT: 0
	.section	.text._ZN9rocsparseL26csrgemm_fill_block_per_rowILj1024ELj64ELj32768ELj137ELj32Eli21rocsparse_complex_numIfEEEvT5_PKS3_S5_NS_24const_host_device_scalarIT6_EEPKT4_S5_PKS7_SB_S5_SD_S8_SB_S5_SD_SB_PS3_PS7_21rocsparse_index_base_SG_SG_SG_bbb,"axG",@progbits,_ZN9rocsparseL26csrgemm_fill_block_per_rowILj1024ELj64ELj32768ELj137ELj32Eli21rocsparse_complex_numIfEEEvT5_PKS3_S5_NS_24const_host_device_scalarIT6_EEPKT4_S5_PKS7_SB_S5_SD_S8_SB_S5_SD_SB_PS3_PS7_21rocsparse_index_base_SG_SG_SG_bbb,comdat
	.globl	_ZN9rocsparseL26csrgemm_fill_block_per_rowILj1024ELj64ELj32768ELj137ELj32Eli21rocsparse_complex_numIfEEEvT5_PKS3_S5_NS_24const_host_device_scalarIT6_EEPKT4_S5_PKS7_SB_S5_SD_S8_SB_S5_SD_SB_PS3_PS7_21rocsparse_index_base_SG_SG_SG_bbb ; -- Begin function _ZN9rocsparseL26csrgemm_fill_block_per_rowILj1024ELj64ELj32768ELj137ELj32Eli21rocsparse_complex_numIfEEEvT5_PKS3_S5_NS_24const_host_device_scalarIT6_EEPKT4_S5_PKS7_SB_S5_SD_S8_SB_S5_SD_SB_PS3_PS7_21rocsparse_index_base_SG_SG_SG_bbb
	.p2align	8
	.type	_ZN9rocsparseL26csrgemm_fill_block_per_rowILj1024ELj64ELj32768ELj137ELj32Eli21rocsparse_complex_numIfEEEvT5_PKS3_S5_NS_24const_host_device_scalarIT6_EEPKT4_S5_PKS7_SB_S5_SD_S8_SB_S5_SD_SB_PS3_PS7_21rocsparse_index_base_SG_SG_SG_bbb,@function
_ZN9rocsparseL26csrgemm_fill_block_per_rowILj1024ELj64ELj32768ELj137ELj32Eli21rocsparse_complex_numIfEEEvT5_PKS3_S5_NS_24const_host_device_scalarIT6_EEPKT4_S5_PKS7_SB_S5_SD_S8_SB_S5_SD_SB_PS3_PS7_21rocsparse_index_base_SG_SG_SG_bbb: ; @_ZN9rocsparseL26csrgemm_fill_block_per_rowILj1024ELj64ELj32768ELj137ELj32Eli21rocsparse_complex_numIfEEEvT5_PKS3_S5_NS_24const_host_device_scalarIT6_EEPKT4_S5_PKS7_SB_S5_SD_S8_SB_S5_SD_SB_PS3_PS7_21rocsparse_index_base_SG_SG_SG_bbb
; %bb.0:
	s_load_dwordx8 s[48:55], s[4:5], 0x60
	s_load_dwordx8 s[8:15], s[4:5], 0x40
	s_load_dword s7, s[4:5], 0x98
	s_load_dwordx4 s[24:27], s[4:5], 0x8
	s_load_dwordx8 s[16:23], s[4:5], 0x20
	s_load_dwordx2 s[0:1], s[4:5], 0x80
                                        ; implicit-def: $vgpr23 : SGPR spill to VGPR lane
	s_load_dwordx4 s[72:75], s[4:5], 0x88
	s_waitcnt lgkmcnt(0)
	s_bitcmp1_b32 s7, 0
	s_cselect_b64 s[30:31], -1, 0
	s_bitcmp1_b32 s7, 16
	v_writelane_b32 v23, s0, 0
	v_writelane_b32 v23, s1, 1
	s_cselect_b64 s[0:1], -1, 0
	s_xor_b64 s[0:1], s[0:1], -1
	v_cndmask_b32_e64 v1, 0, 1, s[0:1]
	s_mov_b32 s3, 0
	s_bitcmp0_b32 s7, 0
	v_cmp_ne_u32_e64 s[0:1], 1, v1
	s_mov_b32 s42, 0
	s_cbranch_scc1 .LBB234_5
; %bb.1:
	s_load_dwordx2 s[2:3], s[4:5], 0x18
	s_and_b64 vcc, exec, s[0:1]
	s_waitcnt lgkmcnt(0)
	s_mov_b32 s42, s2
	s_cbranch_vccnz .LBB234_3
; %bb.2:
	s_load_dword s42, s[2:3], 0x0
.LBB234_3:
	s_and_b64 vcc, exec, s[0:1]
	s_cbranch_vccnz .LBB234_5
; %bb.4:
	s_load_dword s3, s[2:3], 0x4
.LBB234_5:
	s_bitcmp1_b32 s7, 8
	s_cselect_b64 s[28:29], -1, 0
	s_bfe_u32 s2, s7, 0x10008
	s_mov_b32 s41, 0
	s_cmp_eq_u32 s2, 0
	s_mov_b32 s40, 0
	s_cbranch_scc1 .LBB234_11
; %bb.6:
	s_and_b64 vcc, exec, s[0:1]
	s_mov_b32 s40, s12
	s_cbranch_vccnz .LBB234_8
; %bb.7:
	s_load_dword s40, s[12:13], 0x0
.LBB234_8:
	s_and_b64 vcc, exec, s[0:1]
	s_cbranch_vccnz .LBB234_10
; %bb.9:
	s_load_dword s13, s[12:13], 0x4
.LBB234_10:
	s_waitcnt lgkmcnt(0)
	s_mov_b32 s41, s13
.LBB234_11:
	s_load_dword s33, s[4:5], 0x0
	v_lshl_add_u32 v2, v0, 3, 0
	v_or_b32_e32 v1, 0xfffffc00, v0
	v_add_u32_e32 v8, 0x20000, v2
	v_lshl_add_u32 v9, v0, 2, 0
	s_mov_b64 s[0:1], 0
	s_waitcnt lgkmcnt(0)
	v_mov_b32_e32 v2, s33
	v_mov_b32_e32 v3, 0
	s_movk_i32 s2, 0x7bff
	v_mov_b32_e32 v4, v9
	v_mov_b32_e32 v5, v8
	;; [unrolled: 1-line block ×3, first 2 shown]
.LBB234_12:                             ; =>This Inner Loop Header: Depth=1
	v_add_u32_e32 v6, 0x400, v6
	v_cmp_lt_u32_e32 vcc, s2, v6
	ds_write_b32 v4, v2
	ds_write2_b32 v5, v3, v3 offset1:1
	v_add_u32_e32 v5, 0x2000, v5
	s_or_b64 s[0:1], vcc, s[0:1]
	v_add_u32_e32 v4, 0x1000, v4
	s_andn2_b64 exec, exec, s[0:1]
	s_cbranch_execnz .LBB234_12
; %bb.13:
	s_or_b64 exec, exec, s[0:1]
	s_waitcnt lgkmcnt(0)
	s_barrier
	s_load_dword s0, s[24:25], 0x0
	s_mov_b32 s1, 0
	s_waitcnt lgkmcnt(0)
	s_add_i32 s0, s0, s6
	s_lshl_b64 s[0:1], s[0:1], 2
	s_add_u32 s0, s26, s0
	s_addc_u32 s1, s27, s1
	s_load_dword s46, s[0:1], 0x0
	s_and_b64 vcc, exec, s[30:31]
	s_cbranch_vccz .LBB234_33
; %bb.14:
	s_waitcnt lgkmcnt(0)
	s_ashr_i32 s47, s46, 31
	s_lshl_b64 s[0:1], s[46:47], 3
	s_add_u32 s0, s16, s0
	s_addc_u32 s1, s17, s1
	s_load_dwordx4 s[4:7], s[0:1], 0x0
	v_lshrrev_b32_e32 v2, 6, v0
	v_subrev_co_u32_e32 v2, vcc, s72, v2
	s_waitcnt lgkmcnt(0)
	s_sub_u32 s0, s6, s72
	s_subb_u32 s1, s7, 0
	v_subb_co_u32_e64 v3, s[6:7], 0, 0, vcc
	v_mov_b32_e32 v4, s5
	v_add_co_u32_e32 v2, vcc, s4, v2
	v_addc_co_u32_e32 v3, vcc, v4, v3, vcc
	v_cmp_gt_i64_e32 vcc, s[0:1], v[2:3]
	s_and_saveexec_b64 s[4:5], vcc
	s_cbranch_execz .LBB234_32
; %bb.15:
	v_and_b32_e32 v4, 63, v0
	v_subrev_co_u32_e32 v10, vcc, s73, v4
	s_mov_b32 s12, 0
	v_subb_co_u32_e64 v11, s[6:7], 0, 0, vcc
	s_mov_b32 s2, s73
	s_mov_b64 s[6:7], 0
	v_mov_b32_e32 v12, s19
	v_mov_b32_e32 v13, s23
	;; [unrolled: 1-line block ×3, first 2 shown]
	s_movk_i32 s19, 0x89
	s_branch .LBB234_17
.LBB234_16:                             ;   in Loop: Header=BB234_17 Depth=1
	s_or_b64 exec, exec, s[12:13]
	v_add_co_u32_e32 v2, vcc, 16, v2
	v_addc_co_u32_e32 v3, vcc, 0, v3, vcc
	v_cmp_le_i64_e32 vcc, s[0:1], v[2:3]
	s_or_b64 s[6:7], vcc, s[6:7]
	s_andn2_b64 exec, exec, s[6:7]
	s_cbranch_execz .LBB234_32
.LBB234_17:                             ; =>This Loop Header: Depth=1
                                        ;     Child Loop BB234_20 Depth 2
                                        ;       Child Loop BB234_22 Depth 3
	v_lshlrev_b64 v[4:5], 2, v[2:3]
	v_add_co_u32_e32 v4, vcc, s18, v4
	v_addc_co_u32_e32 v5, vcc, v12, v5, vcc
	global_load_dword v4, v[4:5], off
	s_waitcnt vmcnt(0)
	v_subrev_u32_e32 v4, s72, v4
	v_ashrrev_i32_e32 v5, 31, v4
	v_lshlrev_b64 v[4:5], 3, v[4:5]
	v_add_co_u32_e32 v4, vcc, s22, v4
	v_addc_co_u32_e32 v5, vcc, v13, v5, vcc
	global_load_dwordx4 v[16:19], v[4:5], off
	s_waitcnt vmcnt(0)
	v_subrev_co_u32_e32 v4, vcc, s2, v18
	v_subb_co_u32_e32 v5, vcc, v19, v14, vcc
	v_add_co_u32_e32 v6, vcc, v16, v10
	v_addc_co_u32_e32 v7, vcc, v17, v11, vcc
	v_cmp_lt_i64_e32 vcc, v[6:7], v[4:5]
	s_and_saveexec_b64 s[12:13], vcc
	s_cbranch_execz .LBB234_16
; %bb.18:                               ;   in Loop: Header=BB234_17 Depth=1
	v_lshlrev_b64 v[16:17], 3, v[2:3]
	v_mov_b32_e32 v15, s21
	v_add_co_u32_e32 v16, vcc, s20, v16
	v_addc_co_u32_e32 v17, vcc, v15, v17, vcc
	global_load_dwordx2 v[18:19], v[16:17], off
	s_mov_b64 s[16:17], 0
	s_waitcnt vmcnt(0)
	v_mul_f32_e64 v15, v19, -s3
	v_mul_f32_e32 v16, s42, v19
	v_fmac_f32_e32 v15, s42, v18
	v_fmac_f32_e32 v16, s3, v18
	s_branch .LBB234_20
.LBB234_19:                             ;   in Loop: Header=BB234_20 Depth=2
	s_or_b64 exec, exec, s[24:25]
	v_add_co_u32_e32 v6, vcc, 64, v6
	v_addc_co_u32_e32 v7, vcc, 0, v7, vcc
	v_cmp_ge_i64_e32 vcc, v[6:7], v[4:5]
	s_or_b64 s[16:17], vcc, s[16:17]
	s_andn2_b64 exec, exec, s[16:17]
	s_cbranch_execz .LBB234_16
.LBB234_20:                             ;   Parent Loop BB234_17 Depth=1
                                        ; =>  This Loop Header: Depth=2
                                        ;       Child Loop BB234_22 Depth 3
	v_lshlrev_b64 v[18:19], 2, v[6:7]
	v_mov_b32_e32 v17, s9
	v_add_co_u32_e32 v18, vcc, s8, v18
	v_addc_co_u32_e32 v19, vcc, v17, v19, vcc
	global_load_dword v17, v[18:19], off
	v_lshlrev_b64 v[18:19], 3, v[6:7]
	v_mov_b32_e32 v20, s11
	v_add_co_u32_e32 v18, vcc, s10, v18
	v_addc_co_u32_e32 v19, vcc, v20, v19, vcc
	global_load_dwordx2 v[20:21], v[18:19], off
	s_mov_b64 s[24:25], 0
	s_waitcnt vmcnt(1)
	v_subrev_u32_e32 v17, s73, v17
	s_waitcnt vmcnt(0)
	v_mul_f32_e64 v18, v21, -v16
	v_mul_f32_e32 v19, v15, v21
	v_fmac_f32_e32 v18, v15, v20
	v_fmac_f32_e32 v19, v16, v20
	v_mul_lo_u32 v20, v17, s19
	v_and_b32_e32 v20, 0x7fff, v20
	s_branch .LBB234_22
.LBB234_21:                             ;   in Loop: Header=BB234_22 Depth=3
	s_or_b64 exec, exec, s[26:27]
	s_xor_b64 s[26:27], s[30:31], -1
	s_and_b64 s[26:27], exec, s[26:27]
	s_or_b64 s[24:25], s[26:27], s[24:25]
	s_andn2_b64 exec, exec, s[24:25]
	s_cbranch_execz .LBB234_19
.LBB234_22:                             ;   Parent Loop BB234_17 Depth=1
                                        ;     Parent Loop BB234_20 Depth=2
                                        ; =>    This Inner Loop Header: Depth=3
	v_lshl_add_u32 v21, v20, 2, 0
	ds_read_b32 v22, v21
                                        ; implicit-def: $sgpr30_sgpr31
	s_waitcnt lgkmcnt(0)
	v_cmp_ne_u32_e32 vcc, v22, v17
	s_and_saveexec_b64 s[26:27], vcc
	s_xor_b64 s[26:27], exec, s[26:27]
	s_cbranch_execz .LBB234_30
; %bb.23:                               ;   in Loop: Header=BB234_22 Depth=3
	v_cmp_ne_u32_e32 vcc, s33, v22
                                        ; implicit-def: $sgpr30_sgpr31
	s_and_saveexec_b64 s[34:35], vcc
	s_xor_b64 s[34:35], exec, s[34:35]
; %bb.24:                               ;   in Loop: Header=BB234_22 Depth=3
	v_add_u32_e32 v20, 1, v20
	v_and_b32_e32 v20, 0x7fff, v20
	s_mov_b64 s[30:31], -1
                                        ; implicit-def: $vgpr21
; %bb.25:                               ;   in Loop: Header=BB234_22 Depth=3
	s_andn2_saveexec_b64 s[34:35], s[34:35]
	s_cbranch_execz .LBB234_29
; %bb.26:                               ;   in Loop: Header=BB234_22 Depth=3
	v_mov_b32_e32 v22, s33
	ds_cmpst_rtn_b32 v21, v21, v22, v17
	s_mov_b64 s[38:39], -1
	s_waitcnt lgkmcnt(0)
	v_cmp_eq_u32_e32 vcc, s33, v21
	s_and_saveexec_b64 s[36:37], vcc
	s_cbranch_execz .LBB234_28
; %bb.27:                               ;   in Loop: Header=BB234_22 Depth=3
	v_lshl_add_u32 v21, v20, 3, 0
	v_add_u32_e32 v21, 0x20000, v21
	ds_add_f32 v21, v18
	ds_add_f32 v21, v19 offset:4
	s_xor_b64 s[38:39], exec, -1
.LBB234_28:                             ;   in Loop: Header=BB234_22 Depth=3
	s_or_b64 exec, exec, s[36:37]
	s_andn2_b64 s[30:31], s[30:31], exec
	s_and_b64 s[36:37], s[38:39], exec
	s_or_b64 s[30:31], s[30:31], s[36:37]
.LBB234_29:                             ;   in Loop: Header=BB234_22 Depth=3
	s_or_b64 exec, exec, s[34:35]
	s_and_b64 s[30:31], s[30:31], exec
.LBB234_30:                             ;   in Loop: Header=BB234_22 Depth=3
	s_andn2_saveexec_b64 s[26:27], s[26:27]
	s_cbranch_execz .LBB234_21
; %bb.31:                               ;   in Loop: Header=BB234_22 Depth=3
	v_lshl_add_u32 v21, v20, 3, 0
	v_add_u32_e32 v21, 0x20000, v21
	ds_add_f32 v21, v18
	ds_add_f32 v21, v19 offset:4
	s_andn2_b64 s[30:31], s[30:31], exec
	s_branch .LBB234_21
.LBB234_32:
	s_or_b64 exec, exec, s[4:5]
.LBB234_33:
	s_andn2_b64 vcc, exec, s[28:29]
	s_cbranch_vccnz .LBB234_50
; %bb.34:
	s_waitcnt lgkmcnt(0)
	s_ashr_i32 s47, s46, 31
	s_lshl_b64 s[0:1], s[46:47], 3
	s_add_u32 s0, s14, s0
	s_addc_u32 s1, s15, s1
	s_load_dwordx4 s[4:7], s[0:1], 0x0
	v_subrev_co_u32_e32 v2, vcc, s75, v0
	v_subb_co_u32_e64 v3, s[0:1], 0, 0, vcc
	s_waitcnt lgkmcnt(0)
	s_sub_u32 s0, s6, s75
	v_mov_b32_e32 v4, s5
	v_add_co_u32_e32 v2, vcc, s4, v2
	s_subb_u32 s1, s7, 0
	v_addc_co_u32_e32 v3, vcc, v4, v3, vcc
	v_cmp_gt_i64_e32 vcc, s[0:1], v[2:3]
	s_and_saveexec_b64 s[2:3], vcc
	s_cbranch_execz .LBB234_49
; %bb.35:
	s_mov_b64 s[4:5], 0
	v_mov_b32_e32 v4, s49
	v_mov_b32_e32 v5, s51
	s_movk_i32 s18, 0x89
	s_branch .LBB234_37
.LBB234_36:                             ;   in Loop: Header=BB234_37 Depth=1
	s_or_b64 exec, exec, s[6:7]
	v_add_co_u32_e32 v2, vcc, 0x400, v2
	v_addc_co_u32_e32 v3, vcc, 0, v3, vcc
	v_cmp_le_i64_e32 vcc, s[0:1], v[2:3]
	s_or_b64 s[4:5], vcc, s[4:5]
	s_andn2_b64 exec, exec, s[4:5]
	s_cbranch_execz .LBB234_49
.LBB234_37:                             ; =>This Loop Header: Depth=1
                                        ;     Child Loop BB234_39 Depth 2
	v_lshlrev_b64 v[6:7], 2, v[2:3]
	v_add_co_u32_e32 v6, vcc, s48, v6
	v_addc_co_u32_e32 v7, vcc, v4, v7, vcc
	global_load_dword v10, v[6:7], off
	v_lshlrev_b64 v[6:7], 3, v[2:3]
	v_add_co_u32_e32 v6, vcc, s50, v6
	v_addc_co_u32_e32 v7, vcc, v5, v7, vcc
	global_load_dwordx2 v[12:13], v[6:7], off
	s_mov_b64 s[6:7], 0
	s_waitcnt vmcnt(1)
	v_subrev_u32_e32 v6, s75, v10
	v_mul_lo_u32 v11, v6, s18
	v_and_b32_e32 v11, 0x7fff, v11
	s_waitcnt vmcnt(0)
	v_mul_f32_e64 v7, v13, -s41
	v_mul_f32_e32 v10, s40, v13
	v_fmac_f32_e32 v7, s40, v12
	v_fmac_f32_e32 v10, s41, v12
	s_branch .LBB234_39
.LBB234_38:                             ;   in Loop: Header=BB234_39 Depth=2
	s_or_b64 exec, exec, s[8:9]
	s_xor_b64 s[8:9], s[10:11], -1
	s_and_b64 s[8:9], exec, s[8:9]
	s_or_b64 s[6:7], s[8:9], s[6:7]
	s_andn2_b64 exec, exec, s[6:7]
	s_cbranch_execz .LBB234_36
.LBB234_39:                             ;   Parent Loop BB234_37 Depth=1
                                        ; =>  This Inner Loop Header: Depth=2
	v_lshl_add_u32 v12, v11, 2, 0
	ds_read_b32 v13, v12
                                        ; implicit-def: $sgpr10_sgpr11
	s_waitcnt lgkmcnt(0)
	v_cmp_ne_u32_e32 vcc, v13, v6
	s_and_saveexec_b64 s[8:9], vcc
	s_xor_b64 s[8:9], exec, s[8:9]
	s_cbranch_execz .LBB234_47
; %bb.40:                               ;   in Loop: Header=BB234_39 Depth=2
	v_cmp_ne_u32_e32 vcc, s33, v13
                                        ; implicit-def: $sgpr10_sgpr11
	s_and_saveexec_b64 s[12:13], vcc
	s_xor_b64 s[12:13], exec, s[12:13]
; %bb.41:                               ;   in Loop: Header=BB234_39 Depth=2
	v_add_u32_e32 v11, 1, v11
	v_and_b32_e32 v11, 0x7fff, v11
	s_mov_b64 s[10:11], -1
                                        ; implicit-def: $vgpr12
; %bb.42:                               ;   in Loop: Header=BB234_39 Depth=2
	s_andn2_saveexec_b64 s[12:13], s[12:13]
	s_cbranch_execz .LBB234_46
; %bb.43:                               ;   in Loop: Header=BB234_39 Depth=2
	v_mov_b32_e32 v13, s33
	ds_cmpst_rtn_b32 v12, v12, v13, v6
	s_mov_b64 s[16:17], -1
	s_waitcnt lgkmcnt(0)
	v_cmp_eq_u32_e32 vcc, s33, v12
	s_and_saveexec_b64 s[14:15], vcc
	s_cbranch_execz .LBB234_45
; %bb.44:                               ;   in Loop: Header=BB234_39 Depth=2
	v_lshl_add_u32 v12, v11, 3, 0
	v_add_u32_e32 v12, 0x20000, v12
	ds_add_f32 v12, v7
	ds_add_f32 v12, v10 offset:4
	s_xor_b64 s[16:17], exec, -1
.LBB234_45:                             ;   in Loop: Header=BB234_39 Depth=2
	s_or_b64 exec, exec, s[14:15]
	s_andn2_b64 s[10:11], s[10:11], exec
	s_and_b64 s[14:15], s[16:17], exec
	s_or_b64 s[10:11], s[10:11], s[14:15]
.LBB234_46:                             ;   in Loop: Header=BB234_39 Depth=2
	s_or_b64 exec, exec, s[12:13]
	s_and_b64 s[10:11], s[10:11], exec
.LBB234_47:                             ;   in Loop: Header=BB234_39 Depth=2
	s_andn2_saveexec_b64 s[8:9], s[8:9]
	s_cbranch_execz .LBB234_38
; %bb.48:                               ;   in Loop: Header=BB234_39 Depth=2
	v_lshl_add_u32 v12, v11, 3, 0
	v_add_u32_e32 v12, 0x20000, v12
	ds_add_f32 v12, v7
	ds_add_f32 v12, v10 offset:4
	s_andn2_b64 s[10:11], s[10:11], exec
	s_branch .LBB234_38
.LBB234_49:
	s_or_b64 exec, exec, s[2:3]
.LBB234_50:
	s_waitcnt lgkmcnt(0)
	v_writelane_b32 v23, s46, 2
	v_writelane_b32 v23, s47, 3
	;; [unrolled: 1-line block ×10, first 2 shown]
	s_add_i32 s0, 0, 0x60000
	v_writelane_b32 v23, s0, 12
	s_add_i32 s60, 0, 0x60004
	v_writelane_b32 v23, s60, 13
	;; [unrolled: 2-line block ×5, first 2 shown]
	s_add_i32 s60, 0, 0x60014
	v_lshrrev_b32_e32 v4, 3, v0
	v_writelane_b32 v23, s60, 17
	s_add_i32 s60, 0, 0x60018
	v_mbcnt_lo_u32_b32 v2, -1, 0
	v_and_b32_e32 v4, 0x7c, v4
	v_writelane_b32 v23, s60, 18
	s_add_i32 s60, 0, 0x6001c
	v_mbcnt_hi_u32_b32 v2, -1, v2
	v_add_u32_e32 v7, s0, v4
	s_movk_i32 s0, 0x3ff
	v_writelane_b32 v23, s60, 19
	s_add_i32 s60, 0, 0x60020
	v_sub_u32_e32 v2, 63, v2
	v_cmp_eq_u32_e32 vcc, s0, v0
	s_movk_i32 s0, 0x5f
	s_movk_i32 s2, 0x7f
	;; [unrolled: 1-line block ×29, first 2 shown]
	v_writelane_b32 v23, s60, 20
	s_add_i32 s60, 0, 0x60024
	v_mov_b32_e32 v6, 0
	v_lshrrev_b64 v[2:3], v2, -1
	v_cmp_lt_u32_e64 s[0:1], s0, v0
	v_cmp_lt_u32_e64 s[2:3], s2, v0
	;; [unrolled: 1-line block ×29, first 2 shown]
	v_writelane_b32 v23, s60, 21
	s_add_i32 s88, 0, 0x60028
	s_add_i32 s89, 0, 0x6002c
	;; [unrolled: 1-line block ×22, first 2 shown]
	s_movk_i32 s85, 0x7bff
	v_cmp_lt_u32_e64 s[60:61], 31, v0
	v_cmp_lt_u32_e64 s[62:63], 63, v0
	s_mov_b64 s[66:67], 0
	s_barrier
	s_branch .LBB234_52
.LBB234_51:                             ;   in Loop: Header=BB234_52 Depth=1
	s_or_b64 exec, exec, s[64:65]
	v_mov_b32_e32 v4, s84
	s_waitcnt lgkmcnt(0)
	s_barrier
	ds_read_b32 v4, v4
	v_add_u32_e32 v1, 0x400, v1
	v_cmp_lt_u32_e64 s[64:65], s85, v1
	v_add_u32_e32 v8, 0x2000, v8
	s_or_b64 s[66:67], s[64:65], s[66:67]
	s_waitcnt lgkmcnt(0)
	v_add_u32_e32 v6, v4, v6
	v_add_u32_e32 v9, 0x1000, v9
	s_andn2_b64 exec, exec, s[66:67]
	s_cbranch_execz .LBB234_118
.LBB234_52:                             ; =>This Inner Loop Header: Depth=1
	ds_read_b32 v10, v9
	ds_read2_b32 v[4:5], v8 offset1:1
	s_waitcnt lgkmcnt(0)
	s_barrier
	v_cmp_gt_i32_e64 s[64:65], s33, v10
	v_and_b32_e32 v12, s64, v2
	s_bcnt1_i32_b64 s72, s[64:65]
	v_and_b32_e32 v11, s65, v3
	v_bcnt_u32_b32 v12, v12, 0
	v_bcnt_u32_b32 v11, v11, v12
	v_mov_b32_e32 v12, s72
	ds_write_b32 v7, v12
	s_waitcnt lgkmcnt(0)
	s_barrier
	s_and_saveexec_b64 s[72:73], s[60:61]
	s_cbranch_execnz .LBB234_85
; %bb.53:                               ;   in Loop: Header=BB234_52 Depth=1
	s_or_b64 exec, exec, s[72:73]
	s_and_saveexec_b64 s[72:73], s[62:63]
	s_cbranch_execnz .LBB234_86
.LBB234_54:                             ;   in Loop: Header=BB234_52 Depth=1
	s_or_b64 exec, exec, s[72:73]
	s_and_saveexec_b64 s[72:73], s[0:1]
	s_cbranch_execnz .LBB234_87
.LBB234_55:                             ;   in Loop: Header=BB234_52 Depth=1
	s_or_b64 exec, exec, s[72:73]
	s_and_saveexec_b64 s[72:73], s[2:3]
	s_cbranch_execnz .LBB234_88
.LBB234_56:                             ;   in Loop: Header=BB234_52 Depth=1
	s_or_b64 exec, exec, s[72:73]
	s_and_saveexec_b64 s[72:73], s[4:5]
	s_cbranch_execnz .LBB234_89
.LBB234_57:                             ;   in Loop: Header=BB234_52 Depth=1
	s_or_b64 exec, exec, s[72:73]
	s_and_saveexec_b64 s[72:73], s[6:7]
	s_cbranch_execnz .LBB234_90
.LBB234_58:                             ;   in Loop: Header=BB234_52 Depth=1
	s_or_b64 exec, exec, s[72:73]
	s_and_saveexec_b64 s[72:73], s[8:9]
	s_cbranch_execnz .LBB234_91
.LBB234_59:                             ;   in Loop: Header=BB234_52 Depth=1
	s_or_b64 exec, exec, s[72:73]
	s_and_saveexec_b64 s[72:73], s[10:11]
	s_cbranch_execnz .LBB234_92
.LBB234_60:                             ;   in Loop: Header=BB234_52 Depth=1
	s_or_b64 exec, exec, s[72:73]
	s_and_saveexec_b64 s[72:73], s[12:13]
	s_cbranch_execnz .LBB234_93
.LBB234_61:                             ;   in Loop: Header=BB234_52 Depth=1
	s_or_b64 exec, exec, s[72:73]
	s_and_saveexec_b64 s[72:73], s[14:15]
	s_cbranch_execnz .LBB234_94
.LBB234_62:                             ;   in Loop: Header=BB234_52 Depth=1
	s_or_b64 exec, exec, s[72:73]
	s_and_saveexec_b64 s[72:73], s[16:17]
	s_cbranch_execnz .LBB234_95
.LBB234_63:                             ;   in Loop: Header=BB234_52 Depth=1
	s_or_b64 exec, exec, s[72:73]
	s_and_saveexec_b64 s[72:73], s[18:19]
	s_cbranch_execnz .LBB234_96
.LBB234_64:                             ;   in Loop: Header=BB234_52 Depth=1
	s_or_b64 exec, exec, s[72:73]
	s_and_saveexec_b64 s[72:73], s[20:21]
	s_cbranch_execnz .LBB234_97
.LBB234_65:                             ;   in Loop: Header=BB234_52 Depth=1
	s_or_b64 exec, exec, s[72:73]
	s_and_saveexec_b64 s[72:73], s[22:23]
	s_cbranch_execnz .LBB234_98
.LBB234_66:                             ;   in Loop: Header=BB234_52 Depth=1
	s_or_b64 exec, exec, s[72:73]
	s_and_saveexec_b64 s[72:73], s[24:25]
	s_cbranch_execnz .LBB234_99
.LBB234_67:                             ;   in Loop: Header=BB234_52 Depth=1
	s_or_b64 exec, exec, s[72:73]
	s_and_saveexec_b64 s[72:73], s[26:27]
	s_cbranch_execnz .LBB234_100
.LBB234_68:                             ;   in Loop: Header=BB234_52 Depth=1
	s_or_b64 exec, exec, s[72:73]
	s_and_saveexec_b64 s[72:73], s[28:29]
	s_cbranch_execnz .LBB234_101
.LBB234_69:                             ;   in Loop: Header=BB234_52 Depth=1
	s_or_b64 exec, exec, s[72:73]
	s_and_saveexec_b64 s[72:73], s[30:31]
	s_cbranch_execnz .LBB234_102
.LBB234_70:                             ;   in Loop: Header=BB234_52 Depth=1
	s_or_b64 exec, exec, s[72:73]
	s_and_saveexec_b64 s[72:73], s[34:35]
	s_cbranch_execnz .LBB234_103
.LBB234_71:                             ;   in Loop: Header=BB234_52 Depth=1
	s_or_b64 exec, exec, s[72:73]
	s_and_saveexec_b64 s[72:73], s[36:37]
	s_cbranch_execnz .LBB234_104
.LBB234_72:                             ;   in Loop: Header=BB234_52 Depth=1
	s_or_b64 exec, exec, s[72:73]
	s_and_saveexec_b64 s[72:73], s[38:39]
	s_cbranch_execnz .LBB234_105
.LBB234_73:                             ;   in Loop: Header=BB234_52 Depth=1
	s_or_b64 exec, exec, s[72:73]
	s_and_saveexec_b64 s[72:73], s[40:41]
	s_cbranch_execnz .LBB234_106
.LBB234_74:                             ;   in Loop: Header=BB234_52 Depth=1
	s_or_b64 exec, exec, s[72:73]
	s_and_saveexec_b64 s[72:73], s[42:43]
	s_cbranch_execnz .LBB234_107
.LBB234_75:                             ;   in Loop: Header=BB234_52 Depth=1
	s_or_b64 exec, exec, s[72:73]
	s_and_saveexec_b64 s[72:73], s[44:45]
	s_cbranch_execnz .LBB234_108
.LBB234_76:                             ;   in Loop: Header=BB234_52 Depth=1
	s_or_b64 exec, exec, s[72:73]
	s_and_saveexec_b64 s[72:73], s[46:47]
	s_cbranch_execnz .LBB234_109
.LBB234_77:                             ;   in Loop: Header=BB234_52 Depth=1
	s_or_b64 exec, exec, s[72:73]
	s_and_saveexec_b64 s[72:73], s[48:49]
	s_cbranch_execnz .LBB234_110
.LBB234_78:                             ;   in Loop: Header=BB234_52 Depth=1
	s_or_b64 exec, exec, s[72:73]
	s_and_saveexec_b64 s[72:73], s[50:51]
	s_cbranch_execnz .LBB234_111
.LBB234_79:                             ;   in Loop: Header=BB234_52 Depth=1
	s_or_b64 exec, exec, s[72:73]
	s_and_saveexec_b64 s[72:73], s[52:53]
	s_cbranch_execnz .LBB234_112
.LBB234_80:                             ;   in Loop: Header=BB234_52 Depth=1
	s_or_b64 exec, exec, s[72:73]
	s_and_saveexec_b64 s[72:73], s[54:55]
	s_cbranch_execnz .LBB234_113
.LBB234_81:                             ;   in Loop: Header=BB234_52 Depth=1
	s_or_b64 exec, exec, s[72:73]
	s_and_saveexec_b64 s[72:73], s[56:57]
	s_cbranch_execnz .LBB234_114
.LBB234_82:                             ;   in Loop: Header=BB234_52 Depth=1
	s_or_b64 exec, exec, s[72:73]
	s_and_saveexec_b64 s[72:73], s[58:59]
	s_cbranch_execnz .LBB234_115
.LBB234_83:                             ;   in Loop: Header=BB234_52 Depth=1
	s_or_b64 exec, exec, s[72:73]
	s_and_saveexec_b64 s[72:73], s[64:65]
	s_cbranch_execnz .LBB234_116
.LBB234_84:                             ;   in Loop: Header=BB234_52 Depth=1
	s_or_b64 exec, exec, s[72:73]
	s_and_saveexec_b64 s[64:65], vcc
	s_cbranch_execz .LBB234_51
	s_branch .LBB234_117
.LBB234_85:                             ;   in Loop: Header=BB234_52 Depth=1
	v_readlane_b32 s86, v23, 12
	v_mov_b32_e32 v12, s86
	ds_read_b32 v12, v12
	s_waitcnt lgkmcnt(0)
	v_add_u32_e32 v11, v12, v11
	s_or_b64 exec, exec, s[72:73]
	s_and_saveexec_b64 s[72:73], s[62:63]
	s_cbranch_execz .LBB234_54
.LBB234_86:                             ;   in Loop: Header=BB234_52 Depth=1
	v_readlane_b32 s86, v23, 13
	v_mov_b32_e32 v12, s86
	ds_read_b32 v12, v12
	s_waitcnt lgkmcnt(0)
	v_add_u32_e32 v11, v12, v11
	s_or_b64 exec, exec, s[72:73]
	s_and_saveexec_b64 s[72:73], s[0:1]
	s_cbranch_execz .LBB234_55
.LBB234_87:                             ;   in Loop: Header=BB234_52 Depth=1
	v_readlane_b32 s86, v23, 14
	v_mov_b32_e32 v12, s86
	ds_read_b32 v12, v12
	s_waitcnt lgkmcnt(0)
	v_add_u32_e32 v11, v12, v11
	s_or_b64 exec, exec, s[72:73]
	s_and_saveexec_b64 s[72:73], s[2:3]
	s_cbranch_execz .LBB234_56
.LBB234_88:                             ;   in Loop: Header=BB234_52 Depth=1
	v_readlane_b32 s86, v23, 15
	v_mov_b32_e32 v12, s86
	ds_read_b32 v12, v12
	s_waitcnt lgkmcnt(0)
	v_add_u32_e32 v11, v12, v11
	s_or_b64 exec, exec, s[72:73]
	s_and_saveexec_b64 s[72:73], s[4:5]
	s_cbranch_execz .LBB234_57
.LBB234_89:                             ;   in Loop: Header=BB234_52 Depth=1
	v_readlane_b32 s86, v23, 16
	v_mov_b32_e32 v12, s86
	ds_read_b32 v12, v12
	s_waitcnt lgkmcnt(0)
	v_add_u32_e32 v11, v12, v11
	s_or_b64 exec, exec, s[72:73]
	s_and_saveexec_b64 s[72:73], s[6:7]
	s_cbranch_execz .LBB234_58
.LBB234_90:                             ;   in Loop: Header=BB234_52 Depth=1
	v_readlane_b32 s86, v23, 17
	v_mov_b32_e32 v12, s86
	ds_read_b32 v12, v12
	s_waitcnt lgkmcnt(0)
	v_add_u32_e32 v11, v12, v11
	s_or_b64 exec, exec, s[72:73]
	s_and_saveexec_b64 s[72:73], s[8:9]
	s_cbranch_execz .LBB234_59
.LBB234_91:                             ;   in Loop: Header=BB234_52 Depth=1
	v_readlane_b32 s86, v23, 18
	v_mov_b32_e32 v12, s86
	ds_read_b32 v12, v12
	s_waitcnt lgkmcnt(0)
	v_add_u32_e32 v11, v12, v11
	s_or_b64 exec, exec, s[72:73]
	s_and_saveexec_b64 s[72:73], s[10:11]
	s_cbranch_execz .LBB234_60
.LBB234_92:                             ;   in Loop: Header=BB234_52 Depth=1
	v_readlane_b32 s86, v23, 19
	v_mov_b32_e32 v12, s86
	ds_read_b32 v12, v12
	s_waitcnt lgkmcnt(0)
	v_add_u32_e32 v11, v12, v11
	s_or_b64 exec, exec, s[72:73]
	s_and_saveexec_b64 s[72:73], s[12:13]
	s_cbranch_execz .LBB234_61
.LBB234_93:                             ;   in Loop: Header=BB234_52 Depth=1
	v_readlane_b32 s86, v23, 20
	v_mov_b32_e32 v12, s86
	ds_read_b32 v12, v12
	s_waitcnt lgkmcnt(0)
	v_add_u32_e32 v11, v12, v11
	s_or_b64 exec, exec, s[72:73]
	s_and_saveexec_b64 s[72:73], s[14:15]
	s_cbranch_execz .LBB234_62
.LBB234_94:                             ;   in Loop: Header=BB234_52 Depth=1
	v_readlane_b32 s86, v23, 21
	v_mov_b32_e32 v12, s86
	ds_read_b32 v12, v12
	s_waitcnt lgkmcnt(0)
	v_add_u32_e32 v11, v12, v11
	s_or_b64 exec, exec, s[72:73]
	s_and_saveexec_b64 s[72:73], s[16:17]
	s_cbranch_execz .LBB234_63
.LBB234_95:                             ;   in Loop: Header=BB234_52 Depth=1
	v_mov_b32_e32 v12, s88
	ds_read_b32 v12, v12
	s_waitcnt lgkmcnt(0)
	v_add_u32_e32 v11, v12, v11
	s_or_b64 exec, exec, s[72:73]
	s_and_saveexec_b64 s[72:73], s[18:19]
	s_cbranch_execz .LBB234_64
.LBB234_96:                             ;   in Loop: Header=BB234_52 Depth=1
	v_mov_b32_e32 v12, s89
	ds_read_b32 v12, v12
	s_waitcnt lgkmcnt(0)
	v_add_u32_e32 v11, v12, v11
	s_or_b64 exec, exec, s[72:73]
	s_and_saveexec_b64 s[72:73], s[20:21]
	s_cbranch_execz .LBB234_65
.LBB234_97:                             ;   in Loop: Header=BB234_52 Depth=1
	v_mov_b32_e32 v12, s90
	ds_read_b32 v12, v12
	s_waitcnt lgkmcnt(0)
	v_add_u32_e32 v11, v12, v11
	s_or_b64 exec, exec, s[72:73]
	s_and_saveexec_b64 s[72:73], s[22:23]
	s_cbranch_execz .LBB234_66
.LBB234_98:                             ;   in Loop: Header=BB234_52 Depth=1
	v_mov_b32_e32 v12, s91
	ds_read_b32 v12, v12
	s_waitcnt lgkmcnt(0)
	v_add_u32_e32 v11, v12, v11
	s_or_b64 exec, exec, s[72:73]
	s_and_saveexec_b64 s[72:73], s[24:25]
	s_cbranch_execz .LBB234_67
.LBB234_99:                             ;   in Loop: Header=BB234_52 Depth=1
	v_mov_b32_e32 v12, s92
	ds_read_b32 v12, v12
	s_waitcnt lgkmcnt(0)
	v_add_u32_e32 v11, v12, v11
	s_or_b64 exec, exec, s[72:73]
	s_and_saveexec_b64 s[72:73], s[26:27]
	s_cbranch_execz .LBB234_68
.LBB234_100:                            ;   in Loop: Header=BB234_52 Depth=1
	v_mov_b32_e32 v12, s93
	ds_read_b32 v12, v12
	s_waitcnt lgkmcnt(0)
	v_add_u32_e32 v11, v12, v11
	s_or_b64 exec, exec, s[72:73]
	s_and_saveexec_b64 s[72:73], s[28:29]
	s_cbranch_execz .LBB234_69
.LBB234_101:                            ;   in Loop: Header=BB234_52 Depth=1
	v_mov_b32_e32 v12, s94
	ds_read_b32 v12, v12
	s_waitcnt lgkmcnt(0)
	v_add_u32_e32 v11, v12, v11
	s_or_b64 exec, exec, s[72:73]
	s_and_saveexec_b64 s[72:73], s[30:31]
	s_cbranch_execz .LBB234_70
.LBB234_102:                            ;   in Loop: Header=BB234_52 Depth=1
	v_mov_b32_e32 v12, s95
	ds_read_b32 v12, v12
	s_waitcnt lgkmcnt(0)
	v_add_u32_e32 v11, v12, v11
	s_or_b64 exec, exec, s[72:73]
	s_and_saveexec_b64 s[72:73], s[34:35]
	s_cbranch_execz .LBB234_71
.LBB234_103:                            ;   in Loop: Header=BB234_52 Depth=1
	v_mov_b32_e32 v12, s78
	ds_read_b32 v12, v12
	s_waitcnt lgkmcnt(0)
	v_add_u32_e32 v11, v12, v11
	s_or_b64 exec, exec, s[72:73]
	s_and_saveexec_b64 s[72:73], s[36:37]
	s_cbranch_execz .LBB234_72
.LBB234_104:                            ;   in Loop: Header=BB234_52 Depth=1
	v_mov_b32_e32 v12, s76
	ds_read_b32 v12, v12
	s_waitcnt lgkmcnt(0)
	v_add_u32_e32 v11, v12, v11
	s_or_b64 exec, exec, s[72:73]
	s_and_saveexec_b64 s[72:73], s[38:39]
	s_cbranch_execz .LBB234_73
.LBB234_105:                            ;   in Loop: Header=BB234_52 Depth=1
	v_mov_b32_e32 v12, s77
	ds_read_b32 v12, v12
	s_waitcnt lgkmcnt(0)
	v_add_u32_e32 v11, v12, v11
	s_or_b64 exec, exec, s[72:73]
	s_and_saveexec_b64 s[72:73], s[40:41]
	s_cbranch_execz .LBB234_74
.LBB234_106:                            ;   in Loop: Header=BB234_52 Depth=1
	v_mov_b32_e32 v12, s68
	ds_read_b32 v12, v12
	s_waitcnt lgkmcnt(0)
	v_add_u32_e32 v11, v12, v11
	s_or_b64 exec, exec, s[72:73]
	s_and_saveexec_b64 s[72:73], s[42:43]
	s_cbranch_execz .LBB234_75
.LBB234_107:                            ;   in Loop: Header=BB234_52 Depth=1
	v_mov_b32_e32 v12, s69
	ds_read_b32 v12, v12
	s_waitcnt lgkmcnt(0)
	v_add_u32_e32 v11, v12, v11
	s_or_b64 exec, exec, s[72:73]
	s_and_saveexec_b64 s[72:73], s[44:45]
	s_cbranch_execz .LBB234_76
.LBB234_108:                            ;   in Loop: Header=BB234_52 Depth=1
	v_mov_b32_e32 v12, s70
	ds_read_b32 v12, v12
	s_waitcnt lgkmcnt(0)
	v_add_u32_e32 v11, v12, v11
	s_or_b64 exec, exec, s[72:73]
	s_and_saveexec_b64 s[72:73], s[46:47]
	s_cbranch_execz .LBB234_77
.LBB234_109:                            ;   in Loop: Header=BB234_52 Depth=1
	v_mov_b32_e32 v12, s71
	ds_read_b32 v12, v12
	s_waitcnt lgkmcnt(0)
	v_add_u32_e32 v11, v12, v11
	s_or_b64 exec, exec, s[72:73]
	s_and_saveexec_b64 s[72:73], s[48:49]
	s_cbranch_execz .LBB234_78
.LBB234_110:                            ;   in Loop: Header=BB234_52 Depth=1
	v_mov_b32_e32 v12, s75
	ds_read_b32 v12, v12
	s_waitcnt lgkmcnt(0)
	v_add_u32_e32 v11, v12, v11
	s_or_b64 exec, exec, s[72:73]
	s_and_saveexec_b64 s[72:73], s[50:51]
	s_cbranch_execz .LBB234_79
.LBB234_111:                            ;   in Loop: Header=BB234_52 Depth=1
	v_mov_b32_e32 v12, s79
	ds_read_b32 v12, v12
	s_waitcnt lgkmcnt(0)
	v_add_u32_e32 v11, v12, v11
	s_or_b64 exec, exec, s[72:73]
	s_and_saveexec_b64 s[72:73], s[52:53]
	s_cbranch_execz .LBB234_80
.LBB234_112:                            ;   in Loop: Header=BB234_52 Depth=1
	v_mov_b32_e32 v12, s80
	ds_read_b32 v12, v12
	s_waitcnt lgkmcnt(0)
	v_add_u32_e32 v11, v12, v11
	s_or_b64 exec, exec, s[72:73]
	s_and_saveexec_b64 s[72:73], s[54:55]
	s_cbranch_execz .LBB234_81
.LBB234_113:                            ;   in Loop: Header=BB234_52 Depth=1
	v_mov_b32_e32 v12, s81
	ds_read_b32 v12, v12
	s_waitcnt lgkmcnt(0)
	v_add_u32_e32 v11, v12, v11
	s_or_b64 exec, exec, s[72:73]
	s_and_saveexec_b64 s[72:73], s[56:57]
	s_cbranch_execz .LBB234_82
.LBB234_114:                            ;   in Loop: Header=BB234_52 Depth=1
	v_mov_b32_e32 v12, s82
	ds_read_b32 v12, v12
	s_waitcnt lgkmcnt(0)
	v_add_u32_e32 v11, v12, v11
	s_or_b64 exec, exec, s[72:73]
	s_and_saveexec_b64 s[72:73], s[58:59]
	s_cbranch_execz .LBB234_83
.LBB234_115:                            ;   in Loop: Header=BB234_52 Depth=1
	v_mov_b32_e32 v12, s83
	ds_read_b32 v12, v12
	s_waitcnt lgkmcnt(0)
	v_add_u32_e32 v11, v12, v11
	s_or_b64 exec, exec, s[72:73]
	s_and_saveexec_b64 s[72:73], s[64:65]
	s_cbranch_execz .LBB234_84
.LBB234_116:                            ;   in Loop: Header=BB234_52 Depth=1
	v_add3_u32 v12, v6, -1, v11
	v_lshl_add_u32 v13, v12, 2, 0
	v_lshl_add_u32 v12, v12, 3, 0
	v_add_u32_e32 v12, 0x20000, v12
	ds_write_b32 v13, v10
	ds_write2_b32 v12, v4, v5 offset1:1
	s_or_b64 exec, exec, s[72:73]
	s_and_saveexec_b64 s[64:65], vcc
	s_cbranch_execz .LBB234_51
.LBB234_117:                            ;   in Loop: Header=BB234_52 Depth=1
	v_mov_b32_e32 v4, s84
	ds_write_b32 v4, v11
	s_branch .LBB234_51
.LBB234_118:
	s_or_b64 exec, exec, s[66:67]
	v_readlane_b32 s0, v23, 2
	v_readlane_b32 s1, v23, 3
	s_ashr_i32 s1, s0, 31
	v_readlane_b32 s8, v23, 4
	s_lshl_b64 s[0:1], s[0:1], 3
	v_readlane_b32 s12, v23, 8
	v_readlane_b32 s13, v23, 9
	s_add_u32 s0, s12, s0
	s_addc_u32 s1, s13, s1
	s_load_dwordx4 s[0:3], s[0:1], 0x0
	v_readlane_b32 s14, v23, 10
	v_readlane_b32 s15, v23, 11
	;; [unrolled: 1-line block ×4, first 2 shown]
	s_waitcnt lgkmcnt(0)
	s_sub_i32 s8, s2, s0
	v_cmp_gt_i32_e32 vcc, s8, v0
	v_readlane_b32 s11, v23, 7
	s_and_saveexec_b64 s[4:5], vcc
	s_cbranch_execz .LBB234_128
; %bb.119:
	s_sub_u32 s4, s0, s74
	s_subb_u32 s5, s1, 0
	s_and_b32 s9, s8, 7
	s_sub_i32 s0, s0, s2
	s_cmp_lt_u32 s0, -7
	s_cselect_b64 s[0:1], -1, 0
	s_and_b32 s10, s8, -8
	s_cmp_lg_u32 s9, 0
	v_cndmask_b32_e64 v1, 0, 1, s[0:1]
	s_cselect_b64 s[2:3], -1, 0
	v_cmp_ne_u32_e64 s[0:1], 1, v1
	v_cndmask_b32_e64 v1, 0, 1, s[2:3]
	s_mov_b64 s[6:7], 0
	v_cmp_ne_u32_e64 s[2:3], 1, v1
	s_branch .LBB234_121
.LBB234_120:                            ;   in Loop: Header=BB234_121 Depth=1
	v_lshlrev_b64 v[6:7], 2, v[4:5]
	v_mov_b32_e32 v8, s15
	v_add_co_u32_e32 v6, vcc, s14, v6
	v_readlane_b32 s12, v23, 0
	s_waitcnt lgkmcnt(1)
	v_add_u32_e32 v1, s74, v1
	v_addc_co_u32_e32 v7, vcc, v8, v7, vcc
	v_lshlrev_b64 v[4:5], 3, v[4:5]
	v_readlane_b32 s13, v23, 1
	global_store_dword v[6:7], v1, off
	v_mov_b32_e32 v1, s13
	v_add_co_u32_e32 v4, vcc, s12, v4
	v_addc_co_u32_e32 v5, vcc, v1, v5, vcc
	v_add_u32_e32 v0, 0x400, v0
	v_cmp_le_i32_e32 vcc, s8, v0
	s_or_b64 s[6:7], vcc, s[6:7]
	s_waitcnt lgkmcnt(0)
	global_store_dwordx2 v[4:5], v[2:3], off
	s_andn2_b64 exec, exec, s[6:7]
	s_cbranch_execz .LBB234_128
.LBB234_121:                            ; =>This Loop Header: Depth=1
                                        ;     Child Loop BB234_123 Depth 2
                                        ;     Child Loop BB234_127 Depth 2
	v_lshl_add_u32 v2, v0, 3, 0
	v_lshl_add_u32 v1, v0, 2, 0
	v_add_u32_e32 v2, 0x20000, v2
	ds_read_b32 v1, v1
	ds_read2_b32 v[2:3], v2 offset1:1
	s_and_b64 vcc, exec, s[0:1]
	v_pk_mov_b32 v[4:5], s[4:5], s[4:5] op_sel:[0,1]
	s_mov_b32 s11, 0
	s_cbranch_vccnz .LBB234_125
; %bb.122:                              ;   in Loop: Header=BB234_121 Depth=1
	s_mov_b32 s12, 0
	v_pk_mov_b32 v[4:5], s[4:5], s[4:5] op_sel:[0,1]
.LBB234_123:                            ;   Parent Loop BB234_121 Depth=1
                                        ; =>  This Inner Loop Header: Depth=2
	v_mov_b32_e32 v12, s12
	ds_read2_b32 v[6:7], v12 offset1:1
	ds_read2_b32 v[8:9], v12 offset0:2 offset1:3
	ds_read2_b32 v[10:11], v12 offset0:4 offset1:5
	ds_read2_b32 v[12:13], v12 offset0:6 offset1:7
	s_add_i32 s11, s11, 8
	s_waitcnt lgkmcnt(3)
	v_cmp_gt_i32_e32 vcc, v1, v6
	v_cndmask_b32_e64 v6, 0, 1, vcc
	v_cmp_gt_i32_e32 vcc, v1, v7
	v_cndmask_b32_e64 v7, 0, 1, vcc
	s_waitcnt lgkmcnt(2)
	v_cmp_gt_i32_e32 vcc, v1, v8
	v_cndmask_b32_e64 v8, 0, 1, vcc
	v_cmp_gt_i32_e32 vcc, v1, v9
	v_cndmask_b32_e64 v9, 0, 1, vcc
	;; [unrolled: 5-line block ×4, first 2 shown]
	v_add_co_u32_e32 v4, vcc, v4, v6
	v_addc_co_u32_e32 v5, vcc, 0, v5, vcc
	v_add_co_u32_e32 v4, vcc, v4, v7
	v_addc_co_u32_e32 v5, vcc, 0, v5, vcc
	;; [unrolled: 2-line block ×7, first 2 shown]
	s_add_i32 s12, s12, 32
	v_add_co_u32_e32 v4, vcc, v4, v13
	s_cmp_eq_u32 s10, s11
	v_addc_co_u32_e32 v5, vcc, 0, v5, vcc
	s_cbranch_scc0 .LBB234_123
; %bb.124:                              ;   in Loop: Header=BB234_121 Depth=1
	s_mov_b32 s11, s10
.LBB234_125:                            ;   in Loop: Header=BB234_121 Depth=1
	s_and_b64 vcc, exec, s[2:3]
	s_cbranch_vccnz .LBB234_120
; %bb.126:                              ;   in Loop: Header=BB234_121 Depth=1
	s_lshl_b32 s11, s11, 2
	s_add_i32 s11, s11, 0
	s_mov_b32 s12, s9
.LBB234_127:                            ;   Parent Loop BB234_121 Depth=1
                                        ; =>  This Inner Loop Header: Depth=2
	v_mov_b32_e32 v6, s11
	ds_read_b32 v6, v6
	s_add_i32 s11, s11, 4
	s_add_i32 s12, s12, -1
	s_cmp_lg_u32 s12, 0
	s_waitcnt lgkmcnt(0)
	v_cmp_gt_i32_e32 vcc, v1, v6
	v_cndmask_b32_e64 v6, 0, 1, vcc
	v_add_co_u32_e32 v4, vcc, v4, v6
	v_addc_co_u32_e32 v5, vcc, 0, v5, vcc
	s_cbranch_scc1 .LBB234_127
	s_branch .LBB234_120
.LBB234_128:
	s_endpgm
	.section	.rodata,"a",@progbits
	.p2align	6, 0x0
	.amdhsa_kernel _ZN9rocsparseL26csrgemm_fill_block_per_rowILj1024ELj64ELj32768ELj137ELj32Eli21rocsparse_complex_numIfEEEvT5_PKS3_S5_NS_24const_host_device_scalarIT6_EEPKT4_S5_PKS7_SB_S5_SD_S8_SB_S5_SD_SB_PS3_PS7_21rocsparse_index_base_SG_SG_SG_bbb
		.amdhsa_group_segment_fixed_size 0
		.amdhsa_private_segment_fixed_size 0
		.amdhsa_kernarg_size 156
		.amdhsa_user_sgpr_count 6
		.amdhsa_user_sgpr_private_segment_buffer 1
		.amdhsa_user_sgpr_dispatch_ptr 0
		.amdhsa_user_sgpr_queue_ptr 0
		.amdhsa_user_sgpr_kernarg_segment_ptr 1
		.amdhsa_user_sgpr_dispatch_id 0
		.amdhsa_user_sgpr_flat_scratch_init 0
		.amdhsa_user_sgpr_kernarg_preload_length 0
		.amdhsa_user_sgpr_kernarg_preload_offset 0
		.amdhsa_user_sgpr_private_segment_size 0
		.amdhsa_uses_dynamic_stack 0
		.amdhsa_system_sgpr_private_segment_wavefront_offset 0
		.amdhsa_system_sgpr_workgroup_id_x 1
		.amdhsa_system_sgpr_workgroup_id_y 0
		.amdhsa_system_sgpr_workgroup_id_z 0
		.amdhsa_system_sgpr_workgroup_info 0
		.amdhsa_system_vgpr_workitem_id 0
		.amdhsa_next_free_vgpr 24
		.amdhsa_next_free_sgpr 96
		.amdhsa_accum_offset 24
		.amdhsa_reserve_vcc 1
		.amdhsa_reserve_flat_scratch 0
		.amdhsa_float_round_mode_32 0
		.amdhsa_float_round_mode_16_64 0
		.amdhsa_float_denorm_mode_32 3
		.amdhsa_float_denorm_mode_16_64 3
		.amdhsa_dx10_clamp 1
		.amdhsa_ieee_mode 1
		.amdhsa_fp16_overflow 0
		.amdhsa_tg_split 0
		.amdhsa_exception_fp_ieee_invalid_op 0
		.amdhsa_exception_fp_denorm_src 0
		.amdhsa_exception_fp_ieee_div_zero 0
		.amdhsa_exception_fp_ieee_overflow 0
		.amdhsa_exception_fp_ieee_underflow 0
		.amdhsa_exception_fp_ieee_inexact 0
		.amdhsa_exception_int_div_zero 0
	.end_amdhsa_kernel
	.section	.text._ZN9rocsparseL26csrgemm_fill_block_per_rowILj1024ELj64ELj32768ELj137ELj32Eli21rocsparse_complex_numIfEEEvT5_PKS3_S5_NS_24const_host_device_scalarIT6_EEPKT4_S5_PKS7_SB_S5_SD_S8_SB_S5_SD_SB_PS3_PS7_21rocsparse_index_base_SG_SG_SG_bbb,"axG",@progbits,_ZN9rocsparseL26csrgemm_fill_block_per_rowILj1024ELj64ELj32768ELj137ELj32Eli21rocsparse_complex_numIfEEEvT5_PKS3_S5_NS_24const_host_device_scalarIT6_EEPKT4_S5_PKS7_SB_S5_SD_S8_SB_S5_SD_SB_PS3_PS7_21rocsparse_index_base_SG_SG_SG_bbb,comdat
.Lfunc_end234:
	.size	_ZN9rocsparseL26csrgemm_fill_block_per_rowILj1024ELj64ELj32768ELj137ELj32Eli21rocsparse_complex_numIfEEEvT5_PKS3_S5_NS_24const_host_device_scalarIT6_EEPKT4_S5_PKS7_SB_S5_SD_S8_SB_S5_SD_SB_PS3_PS7_21rocsparse_index_base_SG_SG_SG_bbb, .Lfunc_end234-_ZN9rocsparseL26csrgemm_fill_block_per_rowILj1024ELj64ELj32768ELj137ELj32Eli21rocsparse_complex_numIfEEEvT5_PKS3_S5_NS_24const_host_device_scalarIT6_EEPKT4_S5_PKS7_SB_S5_SD_S8_SB_S5_SD_SB_PS3_PS7_21rocsparse_index_base_SG_SG_SG_bbb
                                        ; -- End function
	.section	.AMDGPU.csdata,"",@progbits
; Kernel info:
; codeLenInByte = 4860
; NumSgprs: 100
; NumVgprs: 24
; NumAgprs: 0
; TotalNumVgprs: 24
; ScratchSize: 0
; MemoryBound: 0
; FloatMode: 240
; IeeeMode: 1
; LDSByteSize: 0 bytes/workgroup (compile time only)
; SGPRBlocks: 12
; VGPRBlocks: 2
; NumSGPRsForWavesPerEU: 100
; NumVGPRsForWavesPerEU: 24
; AccumOffset: 24
; Occupancy: 8
; WaveLimiterHint : 1
; COMPUTE_PGM_RSRC2:SCRATCH_EN: 0
; COMPUTE_PGM_RSRC2:USER_SGPR: 6
; COMPUTE_PGM_RSRC2:TRAP_HANDLER: 0
; COMPUTE_PGM_RSRC2:TGID_X_EN: 1
; COMPUTE_PGM_RSRC2:TGID_Y_EN: 0
; COMPUTE_PGM_RSRC2:TGID_Z_EN: 0
; COMPUTE_PGM_RSRC2:TIDIG_COMP_CNT: 0
; COMPUTE_PGM_RSRC3_GFX90A:ACCUM_OFFSET: 5
; COMPUTE_PGM_RSRC3_GFX90A:TG_SPLIT: 0
	.section	.text._ZN9rocsparseL26csrgemm_fill_block_per_rowILj1024ELj64ELj32768ELj137ELj64Eli21rocsparse_complex_numIfEEEvT5_PKS3_S5_NS_24const_host_device_scalarIT6_EEPKT4_S5_PKS7_SB_S5_SD_S8_SB_S5_SD_SB_PS3_PS7_21rocsparse_index_base_SG_SG_SG_bbb,"axG",@progbits,_ZN9rocsparseL26csrgemm_fill_block_per_rowILj1024ELj64ELj32768ELj137ELj64Eli21rocsparse_complex_numIfEEEvT5_PKS3_S5_NS_24const_host_device_scalarIT6_EEPKT4_S5_PKS7_SB_S5_SD_S8_SB_S5_SD_SB_PS3_PS7_21rocsparse_index_base_SG_SG_SG_bbb,comdat
	.globl	_ZN9rocsparseL26csrgemm_fill_block_per_rowILj1024ELj64ELj32768ELj137ELj64Eli21rocsparse_complex_numIfEEEvT5_PKS3_S5_NS_24const_host_device_scalarIT6_EEPKT4_S5_PKS7_SB_S5_SD_S8_SB_S5_SD_SB_PS3_PS7_21rocsparse_index_base_SG_SG_SG_bbb ; -- Begin function _ZN9rocsparseL26csrgemm_fill_block_per_rowILj1024ELj64ELj32768ELj137ELj64Eli21rocsparse_complex_numIfEEEvT5_PKS3_S5_NS_24const_host_device_scalarIT6_EEPKT4_S5_PKS7_SB_S5_SD_S8_SB_S5_SD_SB_PS3_PS7_21rocsparse_index_base_SG_SG_SG_bbb
	.p2align	8
	.type	_ZN9rocsparseL26csrgemm_fill_block_per_rowILj1024ELj64ELj32768ELj137ELj64Eli21rocsparse_complex_numIfEEEvT5_PKS3_S5_NS_24const_host_device_scalarIT6_EEPKT4_S5_PKS7_SB_S5_SD_S8_SB_S5_SD_SB_PS3_PS7_21rocsparse_index_base_SG_SG_SG_bbb,@function
_ZN9rocsparseL26csrgemm_fill_block_per_rowILj1024ELj64ELj32768ELj137ELj64Eli21rocsparse_complex_numIfEEEvT5_PKS3_S5_NS_24const_host_device_scalarIT6_EEPKT4_S5_PKS7_SB_S5_SD_S8_SB_S5_SD_SB_PS3_PS7_21rocsparse_index_base_SG_SG_SG_bbb: ; @_ZN9rocsparseL26csrgemm_fill_block_per_rowILj1024ELj64ELj32768ELj137ELj64Eli21rocsparse_complex_numIfEEEvT5_PKS3_S5_NS_24const_host_device_scalarIT6_EEPKT4_S5_PKS7_SB_S5_SD_S8_SB_S5_SD_SB_PS3_PS7_21rocsparse_index_base_SG_SG_SG_bbb
; %bb.0:
	s_load_dwordx8 s[36:43], s[4:5], 0x60
	s_load_dwordx8 s[8:15], s[4:5], 0x40
	s_load_dword s7, s[4:5], 0x98
	s_load_dwordx4 s[24:27], s[4:5], 0x8
	s_load_dwordx8 s[16:23], s[4:5], 0x20
	s_load_dwordx2 s[34:35], s[4:5], 0x80
	s_load_dwordx4 s[44:47], s[4:5], 0x88
	s_waitcnt lgkmcnt(0)
	s_bitcmp1_b32 s7, 0
	s_cselect_b64 s[30:31], -1, 0
	s_bitcmp1_b32 s7, 16
	s_cselect_b64 s[0:1], -1, 0
	s_xor_b64 s[0:1], s[0:1], -1
	v_cndmask_b32_e64 v1, 0, 1, s[0:1]
	s_mov_b32 s3, 0
	s_bitcmp0_b32 s7, 0
	v_cmp_ne_u32_e64 s[0:1], 1, v1
	s_mov_b32 s58, 0
	s_cbranch_scc1 .LBB235_5
; %bb.1:
	s_load_dwordx2 s[2:3], s[4:5], 0x18
	s_and_b64 vcc, exec, s[0:1]
	s_waitcnt lgkmcnt(0)
	s_mov_b32 s58, s2
	s_cbranch_vccnz .LBB235_3
; %bb.2:
	s_load_dword s58, s[2:3], 0x0
.LBB235_3:
	s_and_b64 vcc, exec, s[0:1]
	s_cbranch_vccnz .LBB235_5
; %bb.4:
	s_load_dword s3, s[2:3], 0x4
.LBB235_5:
	s_bitcmp1_b32 s7, 8
	s_cselect_b64 s[28:29], -1, 0
	s_bfe_u32 s2, s7, 0x10008
	s_mov_b32 s57, 0
	s_cmp_eq_u32 s2, 0
	s_mov_b32 s56, 0
	s_cbranch_scc1 .LBB235_11
; %bb.6:
	s_and_b64 vcc, exec, s[0:1]
	s_mov_b32 s56, s12
	s_cbranch_vccnz .LBB235_8
; %bb.7:
	s_load_dword s56, s[12:13], 0x0
.LBB235_8:
	s_and_b64 vcc, exec, s[0:1]
	s_cbranch_vccnz .LBB235_10
; %bb.9:
	s_load_dword s13, s[12:13], 0x4
.LBB235_10:
	s_waitcnt lgkmcnt(0)
	s_mov_b32 s57, s13
.LBB235_11:
	s_load_dword s33, s[4:5], 0x0
	v_lshl_add_u32 v2, v0, 3, 0
	v_or_b32_e32 v1, 0xfffffc00, v0
	v_add_u32_e32 v8, 0x20000, v2
	v_lshl_add_u32 v9, v0, 2, 0
	s_mov_b64 s[0:1], 0
	s_waitcnt lgkmcnt(0)
	v_mov_b32_e32 v2, s33
	v_mov_b32_e32 v3, 0
	s_movk_i32 s2, 0x7bff
	v_mov_b32_e32 v4, v9
	v_mov_b32_e32 v5, v8
	;; [unrolled: 1-line block ×3, first 2 shown]
.LBB235_12:                             ; =>This Inner Loop Header: Depth=1
	v_add_u32_e32 v6, 0x400, v6
	v_cmp_lt_u32_e32 vcc, s2, v6
	ds_write_b32 v4, v2
	ds_write2_b32 v5, v3, v3 offset1:1
	v_add_u32_e32 v5, 0x2000, v5
	s_or_b64 s[0:1], vcc, s[0:1]
	v_add_u32_e32 v4, 0x1000, v4
	s_andn2_b64 exec, exec, s[0:1]
	s_cbranch_execnz .LBB235_12
; %bb.13:
	s_or_b64 exec, exec, s[0:1]
	s_waitcnt lgkmcnt(0)
	s_barrier
	s_load_dword s0, s[24:25], 0x0
	s_mov_b32 s1, 0
	v_lshrrev_b32_e32 v10, 6, v0
	s_waitcnt lgkmcnt(0)
	s_add_i32 s0, s0, s6
	s_lshl_b64 s[0:1], s[0:1], 2
	s_add_u32 s0, s26, s0
	s_addc_u32 s1, s27, s1
	s_load_dword s48, s[0:1], 0x0
	s_and_b64 vcc, exec, s[30:31]
	s_cbranch_vccz .LBB235_33
; %bb.14:
	s_waitcnt lgkmcnt(0)
	s_ashr_i32 s49, s48, 31
	s_lshl_b64 s[0:1], s[48:49], 3
	s_add_u32 s0, s16, s0
	s_addc_u32 s1, s17, s1
	s_load_dwordx4 s[4:7], s[0:1], 0x0
	v_subrev_co_u32_e32 v2, vcc, s44, v10
	v_subb_co_u32_e64 v3, s[0:1], 0, 0, vcc
	s_waitcnt lgkmcnt(0)
	s_sub_u32 s0, s6, s44
	v_mov_b32_e32 v4, s5
	v_add_co_u32_e32 v2, vcc, s4, v2
	s_subb_u32 s1, s7, 0
	v_addc_co_u32_e32 v3, vcc, v4, v3, vcc
	v_cmp_gt_i64_e32 vcc, s[0:1], v[2:3]
	s_and_saveexec_b64 s[4:5], vcc
	s_cbranch_execz .LBB235_32
; %bb.15:
	v_and_b32_e32 v4, 63, v0
	v_subrev_co_u32_e32 v11, vcc, s45, v4
	s_mov_b32 s12, 0
	v_subb_co_u32_e64 v12, s[6:7], 0, 0, vcc
	s_mov_b32 s2, s45
	s_mov_b64 s[6:7], 0
	v_mov_b32_e32 v13, s19
	v_mov_b32_e32 v14, s23
	;; [unrolled: 1-line block ×3, first 2 shown]
	s_movk_i32 s19, 0x89
	s_branch .LBB235_17
.LBB235_16:                             ;   in Loop: Header=BB235_17 Depth=1
	s_or_b64 exec, exec, s[12:13]
	v_add_co_u32_e32 v2, vcc, 16, v2
	v_addc_co_u32_e32 v3, vcc, 0, v3, vcc
	v_cmp_le_i64_e32 vcc, s[0:1], v[2:3]
	s_or_b64 s[6:7], vcc, s[6:7]
	s_andn2_b64 exec, exec, s[6:7]
	s_cbranch_execz .LBB235_32
.LBB235_17:                             ; =>This Loop Header: Depth=1
                                        ;     Child Loop BB235_20 Depth 2
                                        ;       Child Loop BB235_22 Depth 3
	v_lshlrev_b64 v[4:5], 2, v[2:3]
	v_add_co_u32_e32 v4, vcc, s18, v4
	v_addc_co_u32_e32 v5, vcc, v13, v5, vcc
	global_load_dword v4, v[4:5], off
	s_waitcnt vmcnt(0)
	v_subrev_u32_e32 v4, s44, v4
	v_ashrrev_i32_e32 v5, 31, v4
	v_lshlrev_b64 v[4:5], 3, v[4:5]
	v_add_co_u32_e32 v4, vcc, s22, v4
	v_addc_co_u32_e32 v5, vcc, v14, v5, vcc
	global_load_dwordx4 v[16:19], v[4:5], off
	s_waitcnt vmcnt(0)
	v_subrev_co_u32_e32 v4, vcc, s2, v18
	v_subb_co_u32_e32 v5, vcc, v19, v15, vcc
	v_add_co_u32_e32 v6, vcc, v16, v11
	v_addc_co_u32_e32 v7, vcc, v17, v12, vcc
	v_cmp_lt_i64_e32 vcc, v[6:7], v[4:5]
	s_and_saveexec_b64 s[12:13], vcc
	s_cbranch_execz .LBB235_16
; %bb.18:                               ;   in Loop: Header=BB235_17 Depth=1
	v_lshlrev_b64 v[16:17], 3, v[2:3]
	v_mov_b32_e32 v18, s21
	v_add_co_u32_e32 v16, vcc, s20, v16
	v_addc_co_u32_e32 v17, vcc, v18, v17, vcc
	global_load_dwordx2 v[18:19], v[16:17], off
	s_mov_b64 s[16:17], 0
	s_waitcnt vmcnt(0)
	v_mul_f32_e64 v16, v19, -s3
	v_mul_f32_e32 v17, s58, v19
	v_fmac_f32_e32 v16, s58, v18
	v_fmac_f32_e32 v17, s3, v18
	s_branch .LBB235_20
.LBB235_19:                             ;   in Loop: Header=BB235_20 Depth=2
	s_or_b64 exec, exec, s[24:25]
	v_add_co_u32_e32 v6, vcc, 64, v6
	v_addc_co_u32_e32 v7, vcc, 0, v7, vcc
	v_cmp_ge_i64_e32 vcc, v[6:7], v[4:5]
	s_or_b64 s[16:17], vcc, s[16:17]
	s_andn2_b64 exec, exec, s[16:17]
	s_cbranch_execz .LBB235_16
.LBB235_20:                             ;   Parent Loop BB235_17 Depth=1
                                        ; =>  This Loop Header: Depth=2
                                        ;       Child Loop BB235_22 Depth 3
	v_lshlrev_b64 v[18:19], 2, v[6:7]
	v_mov_b32_e32 v20, s9
	v_add_co_u32_e32 v18, vcc, s8, v18
	v_addc_co_u32_e32 v19, vcc, v20, v19, vcc
	global_load_dword v20, v[18:19], off
	v_lshlrev_b64 v[18:19], 3, v[6:7]
	v_mov_b32_e32 v21, s11
	v_add_co_u32_e32 v18, vcc, s10, v18
	v_addc_co_u32_e32 v19, vcc, v21, v19, vcc
	global_load_dwordx2 v[22:23], v[18:19], off
	s_mov_b64 s[24:25], 0
	s_waitcnt vmcnt(1)
	v_subrev_u32_e32 v18, s45, v20
	v_mul_lo_u32 v21, v18, s19
	v_and_b32_e32 v21, 0x7fff, v21
	s_waitcnt vmcnt(0)
	v_mul_f32_e64 v19, v23, -v17
	v_mul_f32_e32 v20, v16, v23
	v_fmac_f32_e32 v19, v16, v22
	v_fmac_f32_e32 v20, v17, v22
	s_branch .LBB235_22
.LBB235_21:                             ;   in Loop: Header=BB235_22 Depth=3
	s_or_b64 exec, exec, s[26:27]
	s_xor_b64 s[26:27], s[30:31], -1
	s_and_b64 s[26:27], exec, s[26:27]
	s_or_b64 s[24:25], s[26:27], s[24:25]
	s_andn2_b64 exec, exec, s[24:25]
	s_cbranch_execz .LBB235_19
.LBB235_22:                             ;   Parent Loop BB235_17 Depth=1
                                        ;     Parent Loop BB235_20 Depth=2
                                        ; =>    This Inner Loop Header: Depth=3
	v_lshl_add_u32 v22, v21, 2, 0
	ds_read_b32 v23, v22
                                        ; implicit-def: $sgpr30_sgpr31
	s_waitcnt lgkmcnt(0)
	v_cmp_ne_u32_e32 vcc, v23, v18
	s_and_saveexec_b64 s[26:27], vcc
	s_xor_b64 s[26:27], exec, s[26:27]
	s_cbranch_execz .LBB235_30
; %bb.23:                               ;   in Loop: Header=BB235_22 Depth=3
	v_cmp_ne_u32_e32 vcc, s33, v23
                                        ; implicit-def: $sgpr30_sgpr31
	s_and_saveexec_b64 s[50:51], vcc
	s_xor_b64 s[50:51], exec, s[50:51]
; %bb.24:                               ;   in Loop: Header=BB235_22 Depth=3
	v_add_u32_e32 v21, 1, v21
	v_and_b32_e32 v21, 0x7fff, v21
	s_mov_b64 s[30:31], -1
                                        ; implicit-def: $vgpr22
; %bb.25:                               ;   in Loop: Header=BB235_22 Depth=3
	s_andn2_saveexec_b64 s[50:51], s[50:51]
	s_cbranch_execz .LBB235_29
; %bb.26:                               ;   in Loop: Header=BB235_22 Depth=3
	v_mov_b32_e32 v23, s33
	ds_cmpst_rtn_b32 v22, v22, v23, v18
	s_mov_b64 s[54:55], -1
	s_waitcnt lgkmcnt(0)
	v_cmp_eq_u32_e32 vcc, s33, v22
	s_and_saveexec_b64 s[52:53], vcc
	s_cbranch_execz .LBB235_28
; %bb.27:                               ;   in Loop: Header=BB235_22 Depth=3
	v_lshl_add_u32 v22, v21, 3, 0
	v_add_u32_e32 v22, 0x20000, v22
	ds_add_f32 v22, v19
	ds_add_f32 v22, v20 offset:4
	s_xor_b64 s[54:55], exec, -1
.LBB235_28:                             ;   in Loop: Header=BB235_22 Depth=3
	s_or_b64 exec, exec, s[52:53]
	s_andn2_b64 s[30:31], s[30:31], exec
	s_and_b64 s[52:53], s[54:55], exec
	s_or_b64 s[30:31], s[30:31], s[52:53]
.LBB235_29:                             ;   in Loop: Header=BB235_22 Depth=3
	s_or_b64 exec, exec, s[50:51]
	s_and_b64 s[30:31], s[30:31], exec
.LBB235_30:                             ;   in Loop: Header=BB235_22 Depth=3
	s_andn2_saveexec_b64 s[26:27], s[26:27]
	s_cbranch_execz .LBB235_21
; %bb.31:                               ;   in Loop: Header=BB235_22 Depth=3
	v_lshl_add_u32 v22, v21, 3, 0
	v_add_u32_e32 v22, 0x20000, v22
	ds_add_f32 v22, v19
	ds_add_f32 v22, v20 offset:4
	s_andn2_b64 s[30:31], s[30:31], exec
	s_branch .LBB235_21
.LBB235_32:
	s_or_b64 exec, exec, s[4:5]
.LBB235_33:
	s_andn2_b64 vcc, exec, s[28:29]
	s_cbranch_vccnz .LBB235_50
; %bb.34:
	s_waitcnt lgkmcnt(0)
	s_ashr_i32 s49, s48, 31
	s_lshl_b64 s[0:1], s[48:49], 3
	s_add_u32 s0, s14, s0
	s_addc_u32 s1, s15, s1
	s_load_dwordx4 s[4:7], s[0:1], 0x0
	v_subrev_co_u32_e32 v2, vcc, s47, v0
	v_subb_co_u32_e64 v3, s[0:1], 0, 0, vcc
	s_waitcnt lgkmcnt(0)
	s_sub_u32 s0, s6, s47
	v_mov_b32_e32 v4, s5
	v_add_co_u32_e32 v2, vcc, s4, v2
	s_subb_u32 s1, s7, 0
	v_addc_co_u32_e32 v3, vcc, v4, v3, vcc
	v_cmp_gt_i64_e32 vcc, s[0:1], v[2:3]
	s_and_saveexec_b64 s[2:3], vcc
	s_cbranch_execz .LBB235_49
; %bb.35:
	s_mov_b64 s[4:5], 0
	v_mov_b32_e32 v4, s37
	v_mov_b32_e32 v5, s39
	s_movk_i32 s18, 0x89
	s_branch .LBB235_37
.LBB235_36:                             ;   in Loop: Header=BB235_37 Depth=1
	s_or_b64 exec, exec, s[6:7]
	v_add_co_u32_e32 v2, vcc, 0x400, v2
	v_addc_co_u32_e32 v3, vcc, 0, v3, vcc
	v_cmp_le_i64_e32 vcc, s[0:1], v[2:3]
	s_or_b64 s[4:5], vcc, s[4:5]
	s_andn2_b64 exec, exec, s[4:5]
	s_cbranch_execz .LBB235_49
.LBB235_37:                             ; =>This Loop Header: Depth=1
                                        ;     Child Loop BB235_39 Depth 2
	v_lshlrev_b64 v[6:7], 2, v[2:3]
	v_add_co_u32_e32 v6, vcc, s36, v6
	v_addc_co_u32_e32 v7, vcc, v4, v7, vcc
	global_load_dword v11, v[6:7], off
	v_lshlrev_b64 v[6:7], 3, v[2:3]
	v_add_co_u32_e32 v6, vcc, s38, v6
	v_addc_co_u32_e32 v7, vcc, v5, v7, vcc
	global_load_dwordx2 v[12:13], v[6:7], off
	s_mov_b64 s[6:7], 0
	s_waitcnt vmcnt(1)
	v_subrev_u32_e32 v6, s47, v11
	s_waitcnt vmcnt(0)
	v_mul_f32_e64 v7, v13, -s57
	v_mul_f32_e32 v11, s56, v13
	v_fmac_f32_e32 v7, s56, v12
	v_fmac_f32_e32 v11, s57, v12
	v_mul_lo_u32 v12, v6, s18
	v_and_b32_e32 v12, 0x7fff, v12
	s_branch .LBB235_39
.LBB235_38:                             ;   in Loop: Header=BB235_39 Depth=2
	s_or_b64 exec, exec, s[8:9]
	s_xor_b64 s[8:9], s[10:11], -1
	s_and_b64 s[8:9], exec, s[8:9]
	s_or_b64 s[6:7], s[8:9], s[6:7]
	s_andn2_b64 exec, exec, s[6:7]
	s_cbranch_execz .LBB235_36
.LBB235_39:                             ;   Parent Loop BB235_37 Depth=1
                                        ; =>  This Inner Loop Header: Depth=2
	v_lshl_add_u32 v13, v12, 2, 0
	ds_read_b32 v14, v13
                                        ; implicit-def: $sgpr10_sgpr11
	s_waitcnt lgkmcnt(0)
	v_cmp_ne_u32_e32 vcc, v14, v6
	s_and_saveexec_b64 s[8:9], vcc
	s_xor_b64 s[8:9], exec, s[8:9]
	s_cbranch_execz .LBB235_47
; %bb.40:                               ;   in Loop: Header=BB235_39 Depth=2
	v_cmp_ne_u32_e32 vcc, s33, v14
                                        ; implicit-def: $sgpr10_sgpr11
	s_and_saveexec_b64 s[12:13], vcc
	s_xor_b64 s[12:13], exec, s[12:13]
; %bb.41:                               ;   in Loop: Header=BB235_39 Depth=2
	v_add_u32_e32 v12, 1, v12
	v_and_b32_e32 v12, 0x7fff, v12
	s_mov_b64 s[10:11], -1
                                        ; implicit-def: $vgpr13
; %bb.42:                               ;   in Loop: Header=BB235_39 Depth=2
	s_andn2_saveexec_b64 s[12:13], s[12:13]
	s_cbranch_execz .LBB235_46
; %bb.43:                               ;   in Loop: Header=BB235_39 Depth=2
	v_mov_b32_e32 v14, s33
	ds_cmpst_rtn_b32 v13, v13, v14, v6
	s_mov_b64 s[16:17], -1
	s_waitcnt lgkmcnt(0)
	v_cmp_eq_u32_e32 vcc, s33, v13
	s_and_saveexec_b64 s[14:15], vcc
	s_cbranch_execz .LBB235_45
; %bb.44:                               ;   in Loop: Header=BB235_39 Depth=2
	v_lshl_add_u32 v13, v12, 3, 0
	v_add_u32_e32 v13, 0x20000, v13
	ds_add_f32 v13, v7
	ds_add_f32 v13, v11 offset:4
	s_xor_b64 s[16:17], exec, -1
.LBB235_45:                             ;   in Loop: Header=BB235_39 Depth=2
	s_or_b64 exec, exec, s[14:15]
	s_andn2_b64 s[10:11], s[10:11], exec
	s_and_b64 s[14:15], s[16:17], exec
	s_or_b64 s[10:11], s[10:11], s[14:15]
.LBB235_46:                             ;   in Loop: Header=BB235_39 Depth=2
	s_or_b64 exec, exec, s[12:13]
	s_and_b64 s[10:11], s[10:11], exec
.LBB235_47:                             ;   in Loop: Header=BB235_39 Depth=2
	s_andn2_saveexec_b64 s[8:9], s[8:9]
	s_cbranch_execz .LBB235_38
; %bb.48:                               ;   in Loop: Header=BB235_39 Depth=2
	v_lshl_add_u32 v13, v12, 3, 0
	v_add_u32_e32 v13, 0x20000, v13
	ds_add_f32 v13, v7
	ds_add_f32 v13, v11 offset:4
	s_andn2_b64 s[10:11], s[10:11], exec
	s_branch .LBB235_38
.LBB235_49:
	s_or_b64 exec, exec, s[2:3]
.LBB235_50:
	v_mbcnt_lo_u32_b32 v2, -1, 0
	v_mbcnt_hi_u32_b32 v2, -1, v2
	v_sub_u32_e32 v2, 63, v2
	s_add_i32 s44, 0, 0x60000
	s_movk_i32 s0, 0x3ff
	s_movk_i32 s2, 0x7f
	;; [unrolled: 1-line block ×15, first 2 shown]
	s_add_i32 s61, 0, 0x6003c
	v_mov_b32_e32 v6, 0
	v_lshrrev_b64 v[2:3], v2, -1
	v_lshl_add_u32 v7, v10, 2, s44
	v_cmp_eq_u32_e32 vcc, s0, v0
	v_cmp_lt_u32_e64 s[0:1], 63, v0
	v_cmp_lt_u32_e64 s[2:3], s2, v0
	;; [unrolled: 1-line block ×15, first 2 shown]
	s_mov_b64 s[36:37], 0
	s_add_i32 s45, 0, 0x60004
	s_add_i32 s47, 0, 0x60008
	;; [unrolled: 1-line block ×14, first 2 shown]
	v_mov_b32_e32 v10, s61
	s_movk_i32 s62, 0x7bff
	s_waitcnt lgkmcnt(0)
	s_barrier
	s_branch .LBB235_52
.LBB235_51:                             ;   in Loop: Header=BB235_52 Depth=1
	s_or_b64 exec, exec, s[30:31]
	s_waitcnt lgkmcnt(0)
	s_barrier
	ds_read_b32 v4, v10
	v_add_u32_e32 v1, 0x400, v1
	v_cmp_lt_u32_e64 s[30:31], s62, v1
	v_add_u32_e32 v8, 0x2000, v8
	s_or_b64 s[36:37], s[30:31], s[36:37]
	s_waitcnt lgkmcnt(0)
	v_add_u32_e32 v6, v4, v6
	v_add_u32_e32 v9, 0x1000, v9
	s_andn2_b64 exec, exec, s[36:37]
	s_cbranch_execz .LBB235_86
.LBB235_52:                             ; =>This Inner Loop Header: Depth=1
	ds_read_b32 v11, v9
	ds_read2_b32 v[4:5], v8 offset1:1
	s_waitcnt lgkmcnt(0)
	s_barrier
	v_cmp_gt_i32_e64 s[30:31], s33, v11
	v_and_b32_e32 v13, s30, v2
	s_bcnt1_i32_b64 s38, s[30:31]
	v_and_b32_e32 v12, s31, v3
	v_bcnt_u32_b32 v13, v13, 0
	v_bcnt_u32_b32 v12, v12, v13
	v_mov_b32_e32 v13, s38
	ds_write_b32 v7, v13
	s_waitcnt lgkmcnt(0)
	s_barrier
	s_and_saveexec_b64 s[38:39], s[0:1]
	s_cbranch_execnz .LBB235_69
; %bb.53:                               ;   in Loop: Header=BB235_52 Depth=1
	s_or_b64 exec, exec, s[38:39]
	s_and_saveexec_b64 s[38:39], s[2:3]
	s_cbranch_execnz .LBB235_70
.LBB235_54:                             ;   in Loop: Header=BB235_52 Depth=1
	s_or_b64 exec, exec, s[38:39]
	s_and_saveexec_b64 s[38:39], s[4:5]
	s_cbranch_execnz .LBB235_71
.LBB235_55:                             ;   in Loop: Header=BB235_52 Depth=1
	s_or_b64 exec, exec, s[38:39]
	s_and_saveexec_b64 s[38:39], s[6:7]
	s_cbranch_execnz .LBB235_72
.LBB235_56:                             ;   in Loop: Header=BB235_52 Depth=1
	s_or_b64 exec, exec, s[38:39]
	s_and_saveexec_b64 s[38:39], s[8:9]
	s_cbranch_execnz .LBB235_73
.LBB235_57:                             ;   in Loop: Header=BB235_52 Depth=1
	s_or_b64 exec, exec, s[38:39]
	s_and_saveexec_b64 s[38:39], s[10:11]
	s_cbranch_execnz .LBB235_74
.LBB235_58:                             ;   in Loop: Header=BB235_52 Depth=1
	s_or_b64 exec, exec, s[38:39]
	s_and_saveexec_b64 s[38:39], s[12:13]
	s_cbranch_execnz .LBB235_75
.LBB235_59:                             ;   in Loop: Header=BB235_52 Depth=1
	s_or_b64 exec, exec, s[38:39]
	s_and_saveexec_b64 s[38:39], s[14:15]
	s_cbranch_execnz .LBB235_76
.LBB235_60:                             ;   in Loop: Header=BB235_52 Depth=1
	s_or_b64 exec, exec, s[38:39]
	s_and_saveexec_b64 s[38:39], s[16:17]
	s_cbranch_execnz .LBB235_77
.LBB235_61:                             ;   in Loop: Header=BB235_52 Depth=1
	s_or_b64 exec, exec, s[38:39]
	s_and_saveexec_b64 s[38:39], s[18:19]
	s_cbranch_execnz .LBB235_78
.LBB235_62:                             ;   in Loop: Header=BB235_52 Depth=1
	s_or_b64 exec, exec, s[38:39]
	s_and_saveexec_b64 s[38:39], s[20:21]
	s_cbranch_execnz .LBB235_79
.LBB235_63:                             ;   in Loop: Header=BB235_52 Depth=1
	s_or_b64 exec, exec, s[38:39]
	s_and_saveexec_b64 s[38:39], s[22:23]
	s_cbranch_execnz .LBB235_80
.LBB235_64:                             ;   in Loop: Header=BB235_52 Depth=1
	s_or_b64 exec, exec, s[38:39]
	s_and_saveexec_b64 s[38:39], s[24:25]
	s_cbranch_execnz .LBB235_81
.LBB235_65:                             ;   in Loop: Header=BB235_52 Depth=1
	s_or_b64 exec, exec, s[38:39]
	s_and_saveexec_b64 s[38:39], s[26:27]
	s_cbranch_execnz .LBB235_82
.LBB235_66:                             ;   in Loop: Header=BB235_52 Depth=1
	s_or_b64 exec, exec, s[38:39]
	s_and_saveexec_b64 s[38:39], s[28:29]
	s_cbranch_execnz .LBB235_83
.LBB235_67:                             ;   in Loop: Header=BB235_52 Depth=1
	s_or_b64 exec, exec, s[38:39]
	s_and_saveexec_b64 s[38:39], s[30:31]
	s_cbranch_execnz .LBB235_84
.LBB235_68:                             ;   in Loop: Header=BB235_52 Depth=1
	s_or_b64 exec, exec, s[38:39]
	s_and_saveexec_b64 s[30:31], vcc
	s_cbranch_execz .LBB235_51
	s_branch .LBB235_85
.LBB235_69:                             ;   in Loop: Header=BB235_52 Depth=1
	v_mov_b32_e32 v13, s44
	ds_read_b32 v13, v13
	s_waitcnt lgkmcnt(0)
	v_add_u32_e32 v12, v13, v12
	s_or_b64 exec, exec, s[38:39]
	s_and_saveexec_b64 s[38:39], s[2:3]
	s_cbranch_execz .LBB235_54
.LBB235_70:                             ;   in Loop: Header=BB235_52 Depth=1
	v_mov_b32_e32 v13, s45
	ds_read_b32 v13, v13
	s_waitcnt lgkmcnt(0)
	v_add_u32_e32 v12, v13, v12
	s_or_b64 exec, exec, s[38:39]
	s_and_saveexec_b64 s[38:39], s[4:5]
	s_cbranch_execz .LBB235_55
.LBB235_71:                             ;   in Loop: Header=BB235_52 Depth=1
	v_mov_b32_e32 v13, s47
	ds_read_b32 v13, v13
	s_waitcnt lgkmcnt(0)
	v_add_u32_e32 v12, v13, v12
	s_or_b64 exec, exec, s[38:39]
	s_and_saveexec_b64 s[38:39], s[6:7]
	s_cbranch_execz .LBB235_56
.LBB235_72:                             ;   in Loop: Header=BB235_52 Depth=1
	v_mov_b32_e32 v13, s49
	ds_read_b32 v13, v13
	s_waitcnt lgkmcnt(0)
	v_add_u32_e32 v12, v13, v12
	s_or_b64 exec, exec, s[38:39]
	s_and_saveexec_b64 s[38:39], s[8:9]
	s_cbranch_execz .LBB235_57
.LBB235_73:                             ;   in Loop: Header=BB235_52 Depth=1
	v_mov_b32_e32 v13, s50
	ds_read_b32 v13, v13
	s_waitcnt lgkmcnt(0)
	v_add_u32_e32 v12, v13, v12
	s_or_b64 exec, exec, s[38:39]
	s_and_saveexec_b64 s[38:39], s[10:11]
	s_cbranch_execz .LBB235_58
.LBB235_74:                             ;   in Loop: Header=BB235_52 Depth=1
	v_mov_b32_e32 v13, s51
	ds_read_b32 v13, v13
	s_waitcnt lgkmcnt(0)
	v_add_u32_e32 v12, v13, v12
	s_or_b64 exec, exec, s[38:39]
	s_and_saveexec_b64 s[38:39], s[12:13]
	s_cbranch_execz .LBB235_59
.LBB235_75:                             ;   in Loop: Header=BB235_52 Depth=1
	v_mov_b32_e32 v13, s52
	ds_read_b32 v13, v13
	s_waitcnt lgkmcnt(0)
	v_add_u32_e32 v12, v13, v12
	s_or_b64 exec, exec, s[38:39]
	s_and_saveexec_b64 s[38:39], s[14:15]
	s_cbranch_execz .LBB235_60
.LBB235_76:                             ;   in Loop: Header=BB235_52 Depth=1
	v_mov_b32_e32 v13, s53
	ds_read_b32 v13, v13
	s_waitcnt lgkmcnt(0)
	v_add_u32_e32 v12, v13, v12
	s_or_b64 exec, exec, s[38:39]
	s_and_saveexec_b64 s[38:39], s[16:17]
	s_cbranch_execz .LBB235_61
.LBB235_77:                             ;   in Loop: Header=BB235_52 Depth=1
	v_mov_b32_e32 v13, s54
	ds_read_b32 v13, v13
	s_waitcnt lgkmcnt(0)
	v_add_u32_e32 v12, v13, v12
	s_or_b64 exec, exec, s[38:39]
	s_and_saveexec_b64 s[38:39], s[18:19]
	s_cbranch_execz .LBB235_62
.LBB235_78:                             ;   in Loop: Header=BB235_52 Depth=1
	v_mov_b32_e32 v13, s55
	ds_read_b32 v13, v13
	s_waitcnt lgkmcnt(0)
	v_add_u32_e32 v12, v13, v12
	s_or_b64 exec, exec, s[38:39]
	s_and_saveexec_b64 s[38:39], s[20:21]
	s_cbranch_execz .LBB235_63
.LBB235_79:                             ;   in Loop: Header=BB235_52 Depth=1
	v_mov_b32_e32 v13, s56
	ds_read_b32 v13, v13
	s_waitcnt lgkmcnt(0)
	v_add_u32_e32 v12, v13, v12
	s_or_b64 exec, exec, s[38:39]
	s_and_saveexec_b64 s[38:39], s[22:23]
	s_cbranch_execz .LBB235_64
.LBB235_80:                             ;   in Loop: Header=BB235_52 Depth=1
	v_mov_b32_e32 v13, s57
	ds_read_b32 v13, v13
	s_waitcnt lgkmcnt(0)
	v_add_u32_e32 v12, v13, v12
	s_or_b64 exec, exec, s[38:39]
	s_and_saveexec_b64 s[38:39], s[24:25]
	s_cbranch_execz .LBB235_65
.LBB235_81:                             ;   in Loop: Header=BB235_52 Depth=1
	v_mov_b32_e32 v13, s58
	ds_read_b32 v13, v13
	s_waitcnt lgkmcnt(0)
	v_add_u32_e32 v12, v13, v12
	s_or_b64 exec, exec, s[38:39]
	s_and_saveexec_b64 s[38:39], s[26:27]
	s_cbranch_execz .LBB235_66
.LBB235_82:                             ;   in Loop: Header=BB235_52 Depth=1
	v_mov_b32_e32 v13, s59
	ds_read_b32 v13, v13
	s_waitcnt lgkmcnt(0)
	v_add_u32_e32 v12, v13, v12
	s_or_b64 exec, exec, s[38:39]
	s_and_saveexec_b64 s[38:39], s[28:29]
	s_cbranch_execz .LBB235_67
.LBB235_83:                             ;   in Loop: Header=BB235_52 Depth=1
	v_mov_b32_e32 v13, s60
	ds_read_b32 v13, v13
	s_waitcnt lgkmcnt(0)
	v_add_u32_e32 v12, v13, v12
	s_or_b64 exec, exec, s[38:39]
	s_and_saveexec_b64 s[38:39], s[30:31]
	s_cbranch_execz .LBB235_68
.LBB235_84:                             ;   in Loop: Header=BB235_52 Depth=1
	v_add3_u32 v13, v6, -1, v12
	v_lshl_add_u32 v14, v13, 2, 0
	v_lshl_add_u32 v13, v13, 3, 0
	v_add_u32_e32 v13, 0x20000, v13
	ds_write_b32 v14, v11
	ds_write2_b32 v13, v4, v5 offset1:1
	s_or_b64 exec, exec, s[38:39]
	s_and_saveexec_b64 s[30:31], vcc
	s_cbranch_execz .LBB235_51
.LBB235_85:                             ;   in Loop: Header=BB235_52 Depth=1
	v_mov_b32_e32 v4, s61
	ds_write_b32 v4, v12
	s_branch .LBB235_51
.LBB235_86:
	s_or_b64 exec, exec, s[36:37]
	s_ashr_i32 s49, s48, 31
	s_lshl_b64 s[0:1], s[48:49], 3
	s_add_u32 s0, s40, s0
	s_addc_u32 s1, s41, s1
	s_load_dwordx4 s[0:3], s[0:1], 0x0
	s_waitcnt lgkmcnt(0)
	s_sub_i32 s8, s2, s0
	v_cmp_gt_i32_e32 vcc, s8, v0
	s_and_saveexec_b64 s[4:5], vcc
	s_cbranch_execz .LBB235_96
; %bb.87:
	s_sub_u32 s4, s0, s46
	s_subb_u32 s5, s1, 0
	s_and_b32 s9, s8, 7
	s_sub_i32 s0, s0, s2
	s_cmp_lt_u32 s0, -7
	s_cselect_b64 s[0:1], -1, 0
	s_and_b32 s10, s8, -8
	s_cmp_lg_u32 s9, 0
	v_cndmask_b32_e64 v1, 0, 1, s[0:1]
	s_cselect_b64 s[2:3], -1, 0
	v_cmp_ne_u32_e64 s[0:1], 1, v1
	v_cndmask_b32_e64 v1, 0, 1, s[2:3]
	s_mov_b64 s[6:7], 0
	v_cmp_ne_u32_e64 s[2:3], 1, v1
	s_branch .LBB235_89
.LBB235_88:                             ;   in Loop: Header=BB235_89 Depth=1
	v_lshlrev_b64 v[6:7], 2, v[4:5]
	v_mov_b32_e32 v8, s43
	v_add_co_u32_e32 v6, vcc, s42, v6
	s_waitcnt lgkmcnt(1)
	v_add_u32_e32 v1, s46, v1
	v_addc_co_u32_e32 v7, vcc, v8, v7, vcc
	v_lshlrev_b64 v[4:5], 3, v[4:5]
	global_store_dword v[6:7], v1, off
	v_mov_b32_e32 v1, s35
	v_add_co_u32_e32 v4, vcc, s34, v4
	v_addc_co_u32_e32 v5, vcc, v1, v5, vcc
	v_add_u32_e32 v0, 0x400, v0
	v_cmp_le_i32_e32 vcc, s8, v0
	s_or_b64 s[6:7], vcc, s[6:7]
	s_waitcnt lgkmcnt(0)
	global_store_dwordx2 v[4:5], v[2:3], off
	s_andn2_b64 exec, exec, s[6:7]
	s_cbranch_execz .LBB235_96
.LBB235_89:                             ; =>This Loop Header: Depth=1
                                        ;     Child Loop BB235_91 Depth 2
                                        ;     Child Loop BB235_95 Depth 2
	v_lshl_add_u32 v2, v0, 3, 0
	v_lshl_add_u32 v1, v0, 2, 0
	v_add_u32_e32 v2, 0x20000, v2
	ds_read_b32 v1, v1
	ds_read2_b32 v[2:3], v2 offset1:1
	s_and_b64 vcc, exec, s[0:1]
	v_pk_mov_b32 v[4:5], s[4:5], s[4:5] op_sel:[0,1]
	s_mov_b32 s11, 0
	s_cbranch_vccnz .LBB235_93
; %bb.90:                               ;   in Loop: Header=BB235_89 Depth=1
	s_mov_b32 s12, 0
	v_pk_mov_b32 v[4:5], s[4:5], s[4:5] op_sel:[0,1]
.LBB235_91:                             ;   Parent Loop BB235_89 Depth=1
                                        ; =>  This Inner Loop Header: Depth=2
	v_mov_b32_e32 v12, s12
	ds_read2_b32 v[6:7], v12 offset1:1
	ds_read2_b32 v[8:9], v12 offset0:2 offset1:3
	ds_read2_b32 v[10:11], v12 offset0:4 offset1:5
	ds_read2_b32 v[12:13], v12 offset0:6 offset1:7
	s_add_i32 s11, s11, 8
	s_waitcnt lgkmcnt(3)
	v_cmp_gt_i32_e32 vcc, v1, v6
	v_cndmask_b32_e64 v6, 0, 1, vcc
	v_cmp_gt_i32_e32 vcc, v1, v7
	v_cndmask_b32_e64 v7, 0, 1, vcc
	s_waitcnt lgkmcnt(2)
	v_cmp_gt_i32_e32 vcc, v1, v8
	v_cndmask_b32_e64 v8, 0, 1, vcc
	v_cmp_gt_i32_e32 vcc, v1, v9
	v_cndmask_b32_e64 v9, 0, 1, vcc
	;; [unrolled: 5-line block ×4, first 2 shown]
	v_add_co_u32_e32 v4, vcc, v4, v6
	v_addc_co_u32_e32 v5, vcc, 0, v5, vcc
	v_add_co_u32_e32 v4, vcc, v4, v7
	v_addc_co_u32_e32 v5, vcc, 0, v5, vcc
	;; [unrolled: 2-line block ×7, first 2 shown]
	s_add_i32 s12, s12, 32
	v_add_co_u32_e32 v4, vcc, v4, v13
	s_cmp_eq_u32 s10, s11
	v_addc_co_u32_e32 v5, vcc, 0, v5, vcc
	s_cbranch_scc0 .LBB235_91
; %bb.92:                               ;   in Loop: Header=BB235_89 Depth=1
	s_mov_b32 s11, s10
.LBB235_93:                             ;   in Loop: Header=BB235_89 Depth=1
	s_and_b64 vcc, exec, s[2:3]
	s_cbranch_vccnz .LBB235_88
; %bb.94:                               ;   in Loop: Header=BB235_89 Depth=1
	s_lshl_b32 s11, s11, 2
	s_add_i32 s11, s11, 0
	s_mov_b32 s12, s9
.LBB235_95:                             ;   Parent Loop BB235_89 Depth=1
                                        ; =>  This Inner Loop Header: Depth=2
	v_mov_b32_e32 v6, s11
	ds_read_b32 v6, v6
	s_add_i32 s11, s11, 4
	s_add_i32 s12, s12, -1
	s_cmp_lg_u32 s12, 0
	s_waitcnt lgkmcnt(0)
	v_cmp_gt_i32_e32 vcc, v1, v6
	v_cndmask_b32_e64 v6, 0, 1, vcc
	v_add_co_u32_e32 v4, vcc, v4, v6
	v_addc_co_u32_e32 v5, vcc, 0, v5, vcc
	s_cbranch_scc1 .LBB235_95
	s_branch .LBB235_88
.LBB235_96:
	s_endpgm
	.section	.rodata,"a",@progbits
	.p2align	6, 0x0
	.amdhsa_kernel _ZN9rocsparseL26csrgemm_fill_block_per_rowILj1024ELj64ELj32768ELj137ELj64Eli21rocsparse_complex_numIfEEEvT5_PKS3_S5_NS_24const_host_device_scalarIT6_EEPKT4_S5_PKS7_SB_S5_SD_S8_SB_S5_SD_SB_PS3_PS7_21rocsparse_index_base_SG_SG_SG_bbb
		.amdhsa_group_segment_fixed_size 0
		.amdhsa_private_segment_fixed_size 0
		.amdhsa_kernarg_size 156
		.amdhsa_user_sgpr_count 6
		.amdhsa_user_sgpr_private_segment_buffer 1
		.amdhsa_user_sgpr_dispatch_ptr 0
		.amdhsa_user_sgpr_queue_ptr 0
		.amdhsa_user_sgpr_kernarg_segment_ptr 1
		.amdhsa_user_sgpr_dispatch_id 0
		.amdhsa_user_sgpr_flat_scratch_init 0
		.amdhsa_user_sgpr_kernarg_preload_length 0
		.amdhsa_user_sgpr_kernarg_preload_offset 0
		.amdhsa_user_sgpr_private_segment_size 0
		.amdhsa_uses_dynamic_stack 0
		.amdhsa_system_sgpr_private_segment_wavefront_offset 0
		.amdhsa_system_sgpr_workgroup_id_x 1
		.amdhsa_system_sgpr_workgroup_id_y 0
		.amdhsa_system_sgpr_workgroup_id_z 0
		.amdhsa_system_sgpr_workgroup_info 0
		.amdhsa_system_vgpr_workitem_id 0
		.amdhsa_next_free_vgpr 24
		.amdhsa_next_free_sgpr 63
		.amdhsa_accum_offset 24
		.amdhsa_reserve_vcc 1
		.amdhsa_reserve_flat_scratch 0
		.amdhsa_float_round_mode_32 0
		.amdhsa_float_round_mode_16_64 0
		.amdhsa_float_denorm_mode_32 3
		.amdhsa_float_denorm_mode_16_64 3
		.amdhsa_dx10_clamp 1
		.amdhsa_ieee_mode 1
		.amdhsa_fp16_overflow 0
		.amdhsa_tg_split 0
		.amdhsa_exception_fp_ieee_invalid_op 0
		.amdhsa_exception_fp_denorm_src 0
		.amdhsa_exception_fp_ieee_div_zero 0
		.amdhsa_exception_fp_ieee_overflow 0
		.amdhsa_exception_fp_ieee_underflow 0
		.amdhsa_exception_fp_ieee_inexact 0
		.amdhsa_exception_int_div_zero 0
	.end_amdhsa_kernel
	.section	.text._ZN9rocsparseL26csrgemm_fill_block_per_rowILj1024ELj64ELj32768ELj137ELj64Eli21rocsparse_complex_numIfEEEvT5_PKS3_S5_NS_24const_host_device_scalarIT6_EEPKT4_S5_PKS7_SB_S5_SD_S8_SB_S5_SD_SB_PS3_PS7_21rocsparse_index_base_SG_SG_SG_bbb,"axG",@progbits,_ZN9rocsparseL26csrgemm_fill_block_per_rowILj1024ELj64ELj32768ELj137ELj64Eli21rocsparse_complex_numIfEEEvT5_PKS3_S5_NS_24const_host_device_scalarIT6_EEPKT4_S5_PKS7_SB_S5_SD_S8_SB_S5_SD_SB_PS3_PS7_21rocsparse_index_base_SG_SG_SG_bbb,comdat
.Lfunc_end235:
	.size	_ZN9rocsparseL26csrgemm_fill_block_per_rowILj1024ELj64ELj32768ELj137ELj64Eli21rocsparse_complex_numIfEEEvT5_PKS3_S5_NS_24const_host_device_scalarIT6_EEPKT4_S5_PKS7_SB_S5_SD_S8_SB_S5_SD_SB_PS3_PS7_21rocsparse_index_base_SG_SG_SG_bbb, .Lfunc_end235-_ZN9rocsparseL26csrgemm_fill_block_per_rowILj1024ELj64ELj32768ELj137ELj64Eli21rocsparse_complex_numIfEEEvT5_PKS3_S5_NS_24const_host_device_scalarIT6_EEPKT4_S5_PKS7_SB_S5_SD_S8_SB_S5_SD_SB_PS3_PS7_21rocsparse_index_base_SG_SG_SG_bbb
                                        ; -- End function
	.section	.AMDGPU.csdata,"",@progbits
; Kernel info:
; codeLenInByte = 3480
; NumSgprs: 67
; NumVgprs: 24
; NumAgprs: 0
; TotalNumVgprs: 24
; ScratchSize: 0
; MemoryBound: 0
; FloatMode: 240
; IeeeMode: 1
; LDSByteSize: 0 bytes/workgroup (compile time only)
; SGPRBlocks: 8
; VGPRBlocks: 2
; NumSGPRsForWavesPerEU: 67
; NumVGPRsForWavesPerEU: 24
; AccumOffset: 24
; Occupancy: 8
; WaveLimiterHint : 1
; COMPUTE_PGM_RSRC2:SCRATCH_EN: 0
; COMPUTE_PGM_RSRC2:USER_SGPR: 6
; COMPUTE_PGM_RSRC2:TRAP_HANDLER: 0
; COMPUTE_PGM_RSRC2:TGID_X_EN: 1
; COMPUTE_PGM_RSRC2:TGID_Y_EN: 0
; COMPUTE_PGM_RSRC2:TGID_Z_EN: 0
; COMPUTE_PGM_RSRC2:TIDIG_COMP_CNT: 0
; COMPUTE_PGM_RSRC3_GFX90A:ACCUM_OFFSET: 5
; COMPUTE_PGM_RSRC3_GFX90A:TG_SPLIT: 0
	.section	.text._ZN9rocsparseL36csrgemm_fill_block_per_row_multipassILj512ELj16ELj2048ELj32Eli21rocsparse_complex_numIfEEEvT4_PKS3_S5_NS_24const_host_device_scalarIT5_EEPKT3_S5_PKS7_SB_S5_SD_S8_SB_S5_SD_SB_PS3_PS7_PS9_21rocsparse_index_base_SH_SH_SH_bbb,"axG",@progbits,_ZN9rocsparseL36csrgemm_fill_block_per_row_multipassILj512ELj16ELj2048ELj32Eli21rocsparse_complex_numIfEEEvT4_PKS3_S5_NS_24const_host_device_scalarIT5_EEPKT3_S5_PKS7_SB_S5_SD_S8_SB_S5_SD_SB_PS3_PS7_PS9_21rocsparse_index_base_SH_SH_SH_bbb,comdat
	.globl	_ZN9rocsparseL36csrgemm_fill_block_per_row_multipassILj512ELj16ELj2048ELj32Eli21rocsparse_complex_numIfEEEvT4_PKS3_S5_NS_24const_host_device_scalarIT5_EEPKT3_S5_PKS7_SB_S5_SD_S8_SB_S5_SD_SB_PS3_PS7_PS9_21rocsparse_index_base_SH_SH_SH_bbb ; -- Begin function _ZN9rocsparseL36csrgemm_fill_block_per_row_multipassILj512ELj16ELj2048ELj32Eli21rocsparse_complex_numIfEEEvT4_PKS3_S5_NS_24const_host_device_scalarIT5_EEPKT3_S5_PKS7_SB_S5_SD_S8_SB_S5_SD_SB_PS3_PS7_PS9_21rocsparse_index_base_SH_SH_SH_bbb
	.p2align	8
	.type	_ZN9rocsparseL36csrgemm_fill_block_per_row_multipassILj512ELj16ELj2048ELj32Eli21rocsparse_complex_numIfEEEvT4_PKS3_S5_NS_24const_host_device_scalarIT5_EEPKT3_S5_PKS7_SB_S5_SD_S8_SB_S5_SD_SB_PS3_PS7_PS9_21rocsparse_index_base_SH_SH_SH_bbb,@function
_ZN9rocsparseL36csrgemm_fill_block_per_row_multipassILj512ELj16ELj2048ELj32Eli21rocsparse_complex_numIfEEEvT4_PKS3_S5_NS_24const_host_device_scalarIT5_EEPKT3_S5_PKS7_SB_S5_SD_S8_SB_S5_SD_SB_PS3_PS7_PS9_21rocsparse_index_base_SH_SH_SH_bbb: ; @_ZN9rocsparseL36csrgemm_fill_block_per_row_multipassILj512ELj16ELj2048ELj32Eli21rocsparse_complex_numIfEEEvT4_PKS3_S5_NS_24const_host_device_scalarIT5_EEPKT3_S5_PKS7_SB_S5_SD_S8_SB_S5_SD_SB_PS3_PS7_PS9_21rocsparse_index_base_SH_SH_SH_bbb
; %bb.0:
	s_load_dwordx8 s[40:47], s[4:5], 0x80
	s_load_dword s7, s[4:5], 0xa0
	s_load_dwordx8 s[8:15], s[4:5], 0x60
                                        ; implicit-def: $vgpr39 : SGPR spill to VGPR lane
	s_mov_b32 s73, 0
	s_mov_b32 s33, 0
	s_waitcnt lgkmcnt(0)
	s_bitcmp1_b32 s7, 0
	v_writelane_b32 v39, s8, 0
	v_writelane_b32 v39, s9, 1
	;; [unrolled: 1-line block ×8, first 2 shown]
	s_load_dwordx8 s[56:63], s[4:5], 0x40
	s_load_dwordx4 s[8:11], s[4:5], 0x8
	s_load_dwordx8 s[64:71], s[4:5], 0x20
	s_cselect_b64 s[12:13], -1, 0
	s_bitcmp1_b32 s7, 16
	s_cselect_b64 s[0:1], -1, 0
	s_xor_b64 s[2:3], s[0:1], -1
	s_bitcmp0_b32 s7, 0
	s_cbranch_scc1 .LBB236_5
; %bb.1:
	s_load_dwordx2 s[72:73], s[4:5], 0x18
	v_cndmask_b32_e64 v1, 0, 1, s[2:3]
	v_cmp_ne_u32_e64 s[0:1], 1, v1
	s_andn2_b64 vcc, exec, s[2:3]
	s_waitcnt lgkmcnt(0)
	s_mov_b32 s33, s72
	s_cbranch_vccnz .LBB236_3
; %bb.2:
	s_load_dword s33, s[72:73], 0x0
.LBB236_3:
	s_and_b64 vcc, exec, s[0:1]
	s_cbranch_vccnz .LBB236_5
; %bb.4:
	s_load_dword s73, s[72:73], 0x4
.LBB236_5:
	s_bitcmp1_b32 s7, 8
	s_cselect_b64 s[74:75], -1, 0
	s_bfe_u32 s0, s7, 0x10008
	s_mov_b32 s84, 0
	s_cmp_eq_u32 s0, 0
	s_mov_b32 s72, 0
	s_cbranch_scc1 .LBB236_11
; %bb.6:
	v_cndmask_b32_e64 v1, 0, 1, s[2:3]
	v_cmp_ne_u32_e64 s[0:1], 1, v1
	s_andn2_b64 vcc, exec, s[2:3]
	s_waitcnt lgkmcnt(0)
	s_mov_b32 s72, s60
	s_cbranch_vccnz .LBB236_8
; %bb.7:
	s_load_dword s72, s[60:61], 0x0
.LBB236_8:
	s_and_b64 vcc, exec, s[0:1]
	s_cbranch_vccnz .LBB236_10
; %bb.9:
	s_load_dword s61, s[60:61], 0x4
.LBB236_10:
	s_waitcnt lgkmcnt(0)
	s_mov_b32 s84, s61
.LBB236_11:
	s_waitcnt lgkmcnt(0)
	s_load_dword s0, s[8:9], 0x0
	s_mov_b32 s1, 0
	v_cndmask_b32_e64 v1, 0, 1, s[12:13]
	s_mov_b64 s[60:61], 0
	s_mov_b64 s[2:3], 0
	s_waitcnt lgkmcnt(0)
	s_add_i32 s0, s0, s6
	s_lshl_b64 s[0:1], s[0:1], 2
	s_add_u32 s0, s10, s0
	s_addc_u32 s1, s11, s1
	s_load_dword s6, s[0:1], 0x0
	v_cmp_ne_u32_e64 s[0:1], 1, v1
	s_andn2_b64 vcc, exec, s[12:13]
	s_cbranch_vccz .LBB236_14
; %bb.12:
	s_and_b64 vcc, exec, s[0:1]
	s_cbranch_vccz .LBB236_15
.LBB236_13:
	s_load_dword s85, s[4:5], 0x0
	s_waitcnt lgkmcnt(0)
	s_cmp_lt_i32 s85, 1
	s_cbranch_scc0 .LBB236_16
	s_branch .LBB236_69
.LBB236_14:
	s_waitcnt lgkmcnt(0)
	s_ashr_i32 s7, s6, 31
	s_lshl_b64 s[2:3], s[6:7], 3
	s_add_u32 s2, s64, s2
	s_addc_u32 s3, s65, s3
	s_load_dwordx2 s[2:3], s[2:3], 0x0
	s_waitcnt lgkmcnt(0)
	s_sub_u32 s2, s2, s44
	s_subb_u32 s3, s3, 0
	s_and_b64 vcc, exec, s[0:1]
	s_cbranch_vccnz .LBB236_13
.LBB236_15:
	s_waitcnt lgkmcnt(0)
	s_ashr_i32 s7, s6, 31
	s_lshl_b64 s[0:1], s[6:7], 3
	s_add_u32 s0, s64, s0
	s_addc_u32 s1, s65, s1
	s_load_dwordx2 s[0:1], s[0:1], 0x8
	s_waitcnt lgkmcnt(0)
	s_sub_u32 s60, s0, s44
	s_subb_u32 s61, s1, 0
	s_load_dword s85, s[4:5], 0x0
	s_waitcnt lgkmcnt(0)
	s_cmp_lt_i32 s85, 1
	s_cbranch_scc1 .LBB236_69
.LBB236_16:
	s_ashr_i32 s7, s6, 31
	v_readlane_b32 s48, v39, 0
	s_lshl_b64 s[4:5], s[6:7], 3
	v_readlane_b32 s52, v39, 4
	v_readlane_b32 s53, v39, 5
	s_add_u32 s0, s52, s4
	s_addc_u32 s1, s53, s5
	s_load_dwordx2 s[6:7], s[0:1], 0x0
	v_lshrrev_b32_e32 v1, 4, v0
	v_mov_b32_e32 v3, s3
	v_add_co_u32_e32 v6, vcc, s2, v1
	s_waitcnt lgkmcnt(0)
	s_sub_u32 s38, s6, s46
	s_subb_u32 s39, s7, 0
	v_addc_co_u32_e32 v7, vcc, 0, v3, vcc
	v_cmp_gt_i64_e32 vcc, s[60:61], v[6:7]
	s_add_u32 s4, s62, s4
	s_addc_u32 s5, s63, s5
	s_and_b64 s[62:63], s[12:13], vcc
	s_add_u32 s89, s70, 8
	v_readlane_b32 s54, v39, 6
	s_addc_u32 s90, s71, 0
	v_readlane_b32 s55, v39, 7
	s_add_u32 s91, s54, -4
	s_addc_u32 s92, s55, -1
	v_readlane_b32 s49, v39, 1
	v_readlane_b32 s50, v39, 2
	;; [unrolled: 1-line block ×3, first 2 shown]
	v_writelane_b32 v39, s4, 8
	s_add_u32 s93, s40, -8
	v_writelane_b32 v39, s5, 9
	s_mov_b32 s4, s47
	v_mbcnt_lo_u32_b32 v5, -1, 0
	s_addc_u32 s94, s41, -1
	v_writelane_b32 v39, s4, 10
	v_subrev_co_u32_e64 v1, s[4:5], s47, v0
	v_mbcnt_hi_u32_b32 v5, -1, v5
	s_add_u32 s95, s58, 4
	v_subb_co_u32_e64 v3, s[4:5], 0, 0, s[4:5]
	v_sub_u32_e32 v5, 63, v5
	s_addc_u32 s48, s59, 0
	v_and_b32_e32 v2, 15, v0
	s_mov_b32 s88, 0
	v_mov_b32_e32 v4, 0
	v_lshrrev_b64 v[8:9], v5, -1
	v_lshrrev_b32_e32 v5, 3, v0
	s_movk_i32 s4, 0x1ff
	s_movk_i32 s10, 0x60
	;; [unrolled: 1-line block ×14, first 2 shown]
	s_add_u32 s40, s50, 4
	v_cmp_eq_u32_e64 s[0:1], 0, v0
	s_mov_b32 s87, s45
	v_cmp_eq_u32_e64 s[2:3], 15, v2
	v_and_b32_e32 v30, 60, v5
	v_cmp_eq_u32_e64 s[4:5], s4, v0
	v_cmp_gt_u32_e64 s[6:7], 32, v0
	v_cmp_gt_u32_e64 s[8:9], 64, v0
	;; [unrolled: 1-line block ×15, first 2 shown]
	v_or_b32_e32 v31, 0xfffffe00, v0
	v_lshlrev_b32_e32 v32, 3, v0
	v_writelane_b32 v39, s40, 11
	s_addc_u32 s40, s51, 0
	v_mov_b32_e32 v34, 0x800
	v_pk_mov_b32 v[10:11], s[38:39], s[38:39] op_sel:[0,1]
	v_mov_b32_e32 v5, v4
	s_movk_i32 s49, 0x5ff
	v_mov_b32_e32 v33, 1
	s_mov_b32 s86, s88
	v_writelane_b32 v39, s40, 12
	s_branch .LBB236_18
.LBB236_17:                             ;   in Loop: Header=BB236_18 Depth=1
	s_or_b64 exec, exec, s[38:39]
	ds_read_b32 v12, v4 offset:18432
	s_waitcnt lgkmcnt(0)
	s_barrier
	v_cmp_le_i32_e32 vcc, s85, v12
	v_readfirstlane_b32 s86, v12
	v_add_u32_e32 v34, 0x800, v12
	s_cbranch_vccnz .LBB236_69
.LBB236_18:                             ; =>This Loop Header: Depth=1
                                        ;     Child Loop BB236_19 Depth 2
                                        ;     Child Loop BB236_25 Depth 2
                                        ;       Child Loop BB236_31 Depth 3
                                        ;     Child Loop BB236_48 Depth 2
                                        ;     Child Loop BB236_60 Depth 2
	;; [unrolled: 1-line block ×3, first 2 shown]
	s_mov_b64 s[38:39], 0
	v_mov_b32_e32 v12, v32
	v_mov_b32_e32 v13, v31
.LBB236_19:                             ;   Parent Loop BB236_18 Depth=1
                                        ; =>  This Inner Loop Header: Depth=2
	ds_write_b8 v13, v4 offset:16896
	ds_write_b64 v12, v[4:5]
	v_add_u32_e32 v13, 0x200, v13
	v_cmp_lt_u32_e32 vcc, s49, v13
	s_or_b64 s[38:39], vcc, s[38:39]
	v_add_u32_e32 v12, 0x1000, v12
	s_andn2_b64 exec, exec, s[38:39]
	s_cbranch_execnz .LBB236_19
; %bb.20:                               ;   in Loop: Header=BB236_18 Depth=1
	s_or_b64 exec, exec, s[38:39]
	s_and_saveexec_b64 s[38:39], s[0:1]
	s_cbranch_execz .LBB236_22
; %bb.21:                               ;   in Loop: Header=BB236_18 Depth=1
	v_mov_b32_e32 v12, s85
	ds_write_b32 v4, v12 offset:18432
.LBB236_22:                             ;   in Loop: Header=BB236_18 Depth=1
	s_or_b64 exec, exec, s[38:39]
	v_mov_b32_e32 v35, s85
	s_waitcnt lgkmcnt(0)
	s_barrier
	s_and_saveexec_b64 s[40:41], s[62:63]
	s_cbranch_execz .LBB236_44
; %bb.23:                               ;   in Loop: Header=BB236_18 Depth=1
	s_cmp_lg_u32 s86, 0
	s_mov_b64 s[50:51], 0
	s_cselect_b64 s[54:55], -1, 0
	v_mov_b32_e32 v35, s85
	v_pk_mov_b32 v[12:13], v[6:7], v[6:7] op_sel:[0,1]
	s_branch .LBB236_25
.LBB236_24:                             ;   in Loop: Header=BB236_25 Depth=2
	s_or_b64 exec, exec, s[38:39]
	v_add_co_u32_e32 v12, vcc, 32, v12
	v_addc_co_u32_e32 v13, vcc, 0, v13, vcc
	v_cmp_le_i64_e32 vcc, s[60:61], v[12:13]
	s_or_b64 s[50:51], vcc, s[50:51]
	s_andn2_b64 exec, exec, s[50:51]
	s_cbranch_execz .LBB236_43
.LBB236_25:                             ;   Parent Loop BB236_18 Depth=1
                                        ; =>  This Loop Header: Depth=2
                                        ;       Child Loop BB236_31 Depth 3
	v_lshlrev_b64 v[14:15], 2, v[12:13]
	v_mov_b32_e32 v16, s67
	v_add_co_u32_e32 v14, vcc, s66, v14
	v_addc_co_u32_e32 v15, vcc, v16, v15, vcc
	global_load_dword v18, v[14:15], off
	v_lshlrev_b64 v[14:15], 3, v[12:13]
	v_mov_b32_e32 v17, s69
	v_add_co_u32_e32 v16, vcc, s68, v14
	v_addc_co_u32_e32 v17, vcc, v17, v15, vcc
	global_load_dwordx2 v[20:21], v[16:17], off
	s_and_b64 vcc, exec, s[54:55]
	s_waitcnt vmcnt(1)
	v_subrev_u32_e32 v16, s44, v18
	v_ashrrev_i32_e32 v17, 31, v16
	s_cbranch_vccz .LBB236_42
; %bb.26:                               ;   in Loop: Header=BB236_25 Depth=2
	v_mov_b32_e32 v19, s43
	v_add_co_u32_e32 v18, vcc, s42, v14
	v_addc_co_u32_e32 v19, vcc, v19, v15, vcc
	global_load_dwordx2 v[22:23], v[18:19], off
	s_cbranch_execnz .LBB236_28
.LBB236_27:                             ;   in Loop: Header=BB236_25 Depth=2
	v_lshlrev_b64 v[18:19], 3, v[16:17]
	s_waitcnt vmcnt(0)
	v_mov_b32_e32 v22, s71
	v_add_co_u32_e32 v18, vcc, s70, v18
	v_addc_co_u32_e32 v19, vcc, v22, v19, vcc
	global_load_dwordx2 v[18:19], v[18:19], off
	v_mov_b32_e32 v23, s88
	s_waitcnt vmcnt(0)
	v_subrev_co_u32_e32 v22, vcc, s87, v18
	v_subb_co_u32_e32 v23, vcc, v19, v23, vcc
.LBB236_28:                             ;   in Loop: Header=BB236_25 Depth=2
	v_lshlrev_b64 v[16:17], 3, v[16:17]
	v_mov_b32_e32 v18, s90
	v_add_co_u32_e32 v16, vcc, s89, v16
	v_addc_co_u32_e32 v17, vcc, v18, v17, vcc
	global_load_dwordx2 v[16:17], v[16:17], off
	v_mov_b32_e32 v19, s88
	s_waitcnt vmcnt(0)
	v_subrev_co_u32_e32 v18, vcc, s87, v16
	v_subb_co_u32_e32 v19, vcc, v17, v19, vcc
	v_add_co_u32_e32 v16, vcc, v22, v2
	v_addc_co_u32_e32 v17, vcc, 0, v23, vcc
	v_cmp_lt_i64_e32 vcc, v[16:17], v[18:19]
	s_and_saveexec_b64 s[58:59], vcc
	s_cbranch_execz .LBB236_40
; %bb.29:                               ;   in Loop: Header=BB236_25 Depth=2
	v_mul_f32_e64 v36, v21, -s73
	v_mul_f32_e32 v37, s33, v21
	v_fmac_f32_e32 v36, s33, v20
	v_fmac_f32_e32 v37, s73, v20
	v_lshlrev_b64 v[20:21], 2, v[16:17]
	v_mov_b32_e32 v22, s57
	v_add_co_u32_e32 v20, vcc, s56, v20
	v_addc_co_u32_e32 v21, vcc, v22, v21, vcc
	v_lshlrev_b64 v[22:23], 3, v[16:17]
	v_mov_b32_e32 v24, s48
	v_add_co_u32_e32 v22, vcc, s95, v22
	v_addc_co_u32_e32 v23, vcc, v24, v23, vcc
	s_mov_b64 s[76:77], 0
	v_pk_mov_b32 v[24:25], v[16:17], v[16:17] op_sel:[0,1]
                                        ; implicit-def: $sgpr64_sgpr65
                                        ; implicit-def: $sgpr78_sgpr79
	s_branch .LBB236_31
.LBB236_30:                             ;   in Loop: Header=BB236_31 Depth=3
	s_or_b64 exec, exec, s[80:81]
	s_and_b64 s[38:39], exec, s[82:83]
	s_or_b64 s[76:77], s[38:39], s[76:77]
	s_andn2_b64 s[38:39], s[64:65], exec
	s_and_b64 s[52:53], s[78:79], exec
	s_or_b64 s[64:65], s[38:39], s[52:53]
	v_pk_mov_b32 v[24:25], v[26:27], v[26:27] op_sel:[0,1]
	s_andn2_b64 exec, exec, s[76:77]
	s_cbranch_execz .LBB236_37
.LBB236_31:                             ;   Parent Loop BB236_18 Depth=1
                                        ;     Parent Loop BB236_25 Depth=2
                                        ; =>    This Inner Loop Header: Depth=3
	global_load_dword v26, v[20:21], off
                                        ; implicit-def: $sgpr80_sgpr81
	s_waitcnt vmcnt(0)
	v_subrev_u32_e32 v38, s45, v26
	v_cmp_gt_i32_e32 vcc, s86, v38
	v_cmp_ge_i32_e64 s[38:39], v38, v34
	s_or_b64 s[82:83], vcc, s[38:39]
	s_mov_b64 s[38:39], 0
	s_and_saveexec_b64 vcc, s[82:83]
	s_xor_b64 s[82:83], exec, vcc
; %bb.32:                               ;   in Loop: Header=BB236_31 Depth=3
	v_cmp_lt_i32_e32 vcc, v38, v34
	s_mov_b64 s[80:81], -1
	s_and_b64 s[38:39], vcc, exec
; %bb.33:                               ;   in Loop: Header=BB236_31 Depth=3
	s_andn2_saveexec_b64 s[82:83], s[82:83]
	s_cbranch_execz .LBB236_35
; %bb.34:                               ;   in Loop: Header=BB236_31 Depth=3
	global_load_dwordx2 v[26:27], v[22:23], off offset:-4
	v_subrev_u32_e32 v28, s86, v38
	ds_write_b8 v28, v33 offset:16384
	v_lshlrev_b32_e32 v28, 3, v28
	s_or_b64 s[38:39], s[38:39], exec
	s_waitcnt vmcnt(0)
	v_mul_f32_e64 v29, v27, -v37
	v_mul_f32_e32 v27, v36, v27
	v_fmac_f32_e32 v29, v36, v26
	v_fmac_f32_e32 v27, v37, v26
	ds_add_f32 v28, v29
	ds_add_f32 v28, v27 offset:4
.LBB236_35:                             ;   in Loop: Header=BB236_31 Depth=3
	s_or_b64 exec, exec, s[82:83]
	s_andn2_b64 s[52:53], s[78:79], exec
	s_and_b64 s[78:79], s[80:81], exec
	s_mov_b64 s[82:83], -1
	s_or_b64 s[78:79], s[52:53], s[78:79]
	v_pk_mov_b32 v[28:29], v[24:25], v[24:25] op_sel:[0,1]
                                        ; implicit-def: $vgpr26_vgpr27
	s_and_saveexec_b64 s[80:81], s[38:39]
	s_cbranch_execz .LBB236_30
; %bb.36:                               ;   in Loop: Header=BB236_31 Depth=3
	v_add_co_u32_e32 v26, vcc, 16, v24
	v_addc_co_u32_e32 v27, vcc, 0, v25, vcc
	v_add_co_u32_e32 v20, vcc, 64, v20
	v_addc_co_u32_e32 v21, vcc, 0, v21, vcc
	;; [unrolled: 2-line block ×3, first 2 shown]
	v_cmp_ge_i64_e32 vcc, v[26:27], v[18:19]
	s_andn2_b64 s[78:79], s[78:79], exec
	s_orn2_b64 s[82:83], vcc, exec
	v_pk_mov_b32 v[28:29], v[24:25], v[24:25] op_sel:[0,1]
	s_branch .LBB236_30
.LBB236_37:                             ;   in Loop: Header=BB236_25 Depth=2
	s_or_b64 exec, exec, s[76:77]
	s_and_saveexec_b64 s[38:39], s[64:65]
	s_xor_b64 s[38:39], exec, s[38:39]
; %bb.38:                               ;   in Loop: Header=BB236_25 Depth=2
	v_min_i32_e32 v35, v38, v35
	v_pk_mov_b32 v[16:17], v[28:29], v[28:29] op_sel:[0,1]
; %bb.39:                               ;   in Loop: Header=BB236_25 Depth=2
	s_or_b64 exec, exec, s[38:39]
.LBB236_40:                             ;   in Loop: Header=BB236_25 Depth=2
	s_or_b64 exec, exec, s[58:59]
	v_mov_b32_dpp v18, v16 row_shr:1 row_mask:0xf bank_mask:0xf
	v_mov_b32_dpp v19, v17 row_shr:1 row_mask:0xf bank_mask:0xf
	v_cmp_lt_i64_e32 vcc, v[18:19], v[16:17]
	v_cndmask_b32_e32 v17, v17, v19, vcc
	v_cndmask_b32_e32 v16, v16, v18, vcc
	s_nop 0
	v_mov_b32_dpp v19, v17 row_shr:2 row_mask:0xf bank_mask:0xf
	v_mov_b32_dpp v18, v16 row_shr:2 row_mask:0xf bank_mask:0xf
	v_cmp_lt_i64_e32 vcc, v[18:19], v[16:17]
	v_cndmask_b32_e32 v17, v17, v19, vcc
	v_cndmask_b32_e32 v16, v16, v18, vcc
	s_nop 0
	;; [unrolled: 6-line block ×3, first 2 shown]
	v_mov_b32_dpp v19, v17 row_shr:8 row_mask:0xf bank_mask:0xc
	v_mov_b32_dpp v18, v16 row_shr:8 row_mask:0xf bank_mask:0xc
	s_and_saveexec_b64 s[38:39], s[2:3]
	s_cbranch_execz .LBB236_24
; %bb.41:                               ;   in Loop: Header=BB236_25 Depth=2
	v_cmp_lt_i64_e32 vcc, v[18:19], v[16:17]
	v_cndmask_b32_e32 v17, v17, v19, vcc
	v_cndmask_b32_e32 v16, v16, v18, vcc
	v_mov_b32_e32 v18, s43
	v_add_co_u32_e32 v14, vcc, s42, v14
	v_addc_co_u32_e32 v15, vcc, v18, v15, vcc
	global_store_dwordx2 v[14:15], v[16:17], off
	s_branch .LBB236_24
.LBB236_42:                             ;   in Loop: Header=BB236_25 Depth=2
                                        ; implicit-def: $vgpr22_vgpr23
	s_branch .LBB236_27
.LBB236_43:                             ;   in Loop: Header=BB236_18 Depth=1
	s_or_b64 exec, exec, s[50:51]
.LBB236_44:                             ;   in Loop: Header=BB236_18 Depth=1
	s_or_b64 exec, exec, s[40:41]
	s_andn2_b64 vcc, exec, s[74:75]
	s_cbranch_vccnz .LBB236_58
; %bb.45:                               ;   in Loop: Header=BB236_18 Depth=1
	v_readlane_b32 s38, v39, 8
	v_readlane_b32 s39, v39, 9
	s_load_dwordx4 s[76:79], s[38:39], 0x0
	v_readlane_b32 s38, v39, 10
	s_waitcnt lgkmcnt(0)
	s_sub_u32 s50, s78, s38
	v_mov_b32_e32 v13, s77
	v_add_co_u32_e32 v12, vcc, s76, v1
	s_subb_u32 s51, s79, 0
	v_addc_co_u32_e32 v13, vcc, v13, v3, vcc
	v_cmp_gt_i64_e32 vcc, s[50:51], v[12:13]
	s_and_saveexec_b64 s[40:41], vcc
	s_cbranch_execz .LBB236_57
; %bb.46:                               ;   in Loop: Header=BB236_18 Depth=1
	v_readlane_b32 s76, v39, 0
	v_readlane_b32 s77, v39, 1
	v_lshlrev_b64 v[14:15], 2, v[12:13]
	s_mov_b64 s[52:53], s[76:77]
	v_mov_b32_e32 v16, s53
	v_add_co_u32_e32 v14, vcc, s52, v14
	v_readlane_b32 s38, v39, 12
	v_addc_co_u32_e32 v15, vcc, v16, v15, vcc
	v_lshlrev_b64 v[16:17], 3, v[12:13]
	v_mov_b32_e32 v18, s38
	v_readlane_b32 s38, v39, 11
	v_add_co_u32_e32 v16, vcc, s38, v16
	v_addc_co_u32_e32 v17, vcc, v18, v17, vcc
	s_mov_b64 s[54:55], 0
	v_readlane_b32 s78, v39, 2
	v_readlane_b32 s79, v39, 3
	;; [unrolled: 1-line block ×6, first 2 shown]
                                        ; implicit-def: $sgpr58_sgpr59
                                        ; implicit-def: $sgpr64_sgpr65
	s_branch .LBB236_48
.LBB236_47:                             ;   in Loop: Header=BB236_48 Depth=2
	s_or_b64 exec, exec, s[76:77]
	s_and_b64 s[38:39], exec, s[78:79]
	s_or_b64 s[54:55], s[38:39], s[54:55]
	s_andn2_b64 s[38:39], s[58:59], exec
	s_and_b64 s[52:53], s[64:65], exec
	s_or_b64 s[58:59], s[38:39], s[52:53]
	s_andn2_b64 exec, exec, s[54:55]
	s_cbranch_execz .LBB236_54
.LBB236_48:                             ;   Parent Loop BB236_18 Depth=1
                                        ; =>  This Inner Loop Header: Depth=2
	global_load_dword v18, v[14:15], off
                                        ; implicit-def: $sgpr76_sgpr77
	s_waitcnt vmcnt(0)
	v_subrev_u32_e32 v18, s47, v18
	v_cmp_gt_i32_e32 vcc, s86, v18
	v_cmp_ge_i32_e64 s[38:39], v18, v34
	s_or_b64 s[52:53], vcc, s[38:39]
	s_mov_b64 s[38:39], 0
	s_and_saveexec_b64 s[78:79], s[52:53]
	s_xor_b64 s[78:79], exec, s[78:79]
; %bb.49:                               ;   in Loop: Header=BB236_48 Depth=2
	v_cmp_lt_i32_e32 vcc, v18, v34
	s_mov_b64 s[76:77], -1
	s_and_b64 s[38:39], vcc, exec
; %bb.50:                               ;   in Loop: Header=BB236_48 Depth=2
	s_andn2_saveexec_b64 s[78:79], s[78:79]
	s_cbranch_execz .LBB236_52
; %bb.51:                               ;   in Loop: Header=BB236_48 Depth=2
	global_load_dwordx2 v[20:21], v[16:17], off offset:-4
	v_subrev_u32_e32 v19, s86, v18
	ds_write_b8 v19, v33 offset:16384
	v_lshlrev_b32_e32 v19, 3, v19
	s_or_b64 s[38:39], s[38:39], exec
	s_waitcnt vmcnt(0)
	v_mul_f32_e64 v22, v21, -s84
	v_mul_f32_e32 v21, s72, v21
	v_fmac_f32_e32 v22, s72, v20
	v_fmac_f32_e32 v21, s84, v20
	ds_add_f32 v19, v22
	ds_add_f32 v19, v21 offset:4
.LBB236_52:                             ;   in Loop: Header=BB236_48 Depth=2
	s_or_b64 exec, exec, s[78:79]
	s_andn2_b64 s[52:53], s[64:65], exec
	s_and_b64 s[64:65], s[76:77], exec
	s_mov_b64 s[78:79], -1
	s_or_b64 s[64:65], s[52:53], s[64:65]
	s_and_saveexec_b64 s[76:77], s[38:39]
	s_cbranch_execz .LBB236_47
; %bb.53:                               ;   in Loop: Header=BB236_48 Depth=2
	v_add_co_u32_e32 v12, vcc, 0x200, v12
	v_addc_co_u32_e32 v13, vcc, 0, v13, vcc
	v_add_co_u32_e32 v14, vcc, 0x800, v14
	v_addc_co_u32_e32 v15, vcc, 0, v15, vcc
	;; [unrolled: 2-line block ×3, first 2 shown]
	v_cmp_le_i64_e32 vcc, s[50:51], v[12:13]
	s_andn2_b64 s[64:65], s[64:65], exec
	s_orn2_b64 s[78:79], vcc, exec
	s_branch .LBB236_47
.LBB236_54:                             ;   in Loop: Header=BB236_18 Depth=1
	s_or_b64 exec, exec, s[54:55]
	s_and_saveexec_b64 s[38:39], s[58:59]
	s_xor_b64 s[38:39], exec, s[38:39]
; %bb.55:                               ;   in Loop: Header=BB236_18 Depth=1
	v_min_i32_e32 v35, v18, v35
; %bb.56:                               ;   in Loop: Header=BB236_18 Depth=1
	s_or_b64 exec, exec, s[38:39]
.LBB236_57:                             ;   in Loop: Header=BB236_18 Depth=1
	s_or_b64 exec, exec, s[40:41]
.LBB236_58:                             ;   in Loop: Header=BB236_18 Depth=1
	v_mov_b32_dpp v12, v35 row_shr:1 row_mask:0xf bank_mask:0xf
	v_min_i32_e32 v12, v12, v35
	s_nop 1
	v_mov_b32_dpp v13, v12 row_shr:2 row_mask:0xf bank_mask:0xf
	v_min_i32_e32 v12, v13, v12
	s_nop 1
	;; [unrolled: 3-line block ×3, first 2 shown]
	v_mov_b32_dpp v13, v12 row_shr:8 row_mask:0xf bank_mask:0xc
	s_and_saveexec_b64 s[38:39], s[2:3]
	s_cbranch_execz .LBB236_63
; %bb.59:                               ;   in Loop: Header=BB236_18 Depth=1
	s_mov_b64 s[40:41], exec
	v_min_i32_e32 v12, v13, v12
	s_brev_b32 s50, -2
.LBB236_60:                             ;   Parent Loop BB236_18 Depth=1
                                        ; =>  This Inner Loop Header: Depth=2
	s_ff1_i32_b64 s51, s[40:41]
	v_readlane_b32 s54, v12, s51
	s_lshl_b64 s[52:53], 1, s51
	s_min_i32 s50, s50, s54
	s_andn2_b64 s[40:41], s[40:41], s[52:53]
	s_cmp_lg_u64 s[40:41], 0
	s_cbranch_scc1 .LBB236_60
; %bb.61:                               ;   in Loop: Header=BB236_18 Depth=1
	v_mbcnt_lo_u32_b32 v12, exec_lo, 0
	v_mbcnt_hi_u32_b32 v12, exec_hi, v12
	v_cmp_eq_u32_e32 vcc, 0, v12
	s_and_saveexec_b64 s[40:41], vcc
	s_xor_b64 s[40:41], exec, s[40:41]
	s_cbranch_execz .LBB236_63
; %bb.62:                               ;   in Loop: Header=BB236_18 Depth=1
	v_mov_b32_e32 v12, s50
	ds_min_i32 v4, v12 offset:18432
.LBB236_63:                             ;   in Loop: Header=BB236_18 Depth=1
	s_or_b64 exec, exec, s[38:39]
	s_add_i32 s50, s46, s86
	s_mov_b64 s[38:39], 0
	v_mov_b32_e32 v14, v32
	v_mov_b32_e32 v15, v0
	s_waitcnt lgkmcnt(0)
	s_barrier
	s_branch .LBB236_65
.LBB236_64:                             ;   in Loop: Header=BB236_65 Depth=2
	s_or_b64 exec, exec, s[40:41]
	s_waitcnt lgkmcnt(0)
	s_barrier
	ds_read_b32 v12, v4 offset:60
	v_add_u32_e32 v14, 0x1000, v14
	s_waitcnt lgkmcnt(0)
	v_ashrrev_i32_e32 v13, 31, v12
	v_add_co_u32_e32 v10, vcc, v10, v12
	v_addc_co_u32_e32 v11, vcc, v11, v13, vcc
	v_add_u32_e32 v12, 0x200, v15
	v_cmp_lt_u32_e32 vcc, s49, v15
	s_or_b64 s[38:39], vcc, s[38:39]
	v_mov_b32_e32 v15, v12
	s_andn2_b64 exec, exec, s[38:39]
	s_cbranch_execz .LBB236_17
.LBB236_65:                             ;   Parent Loop BB236_18 Depth=1
                                        ; =>  This Inner Loop Header: Depth=2
	ds_read_u8 v28, v15 offset:16384
	ds_read_b64 v[12:13], v14
	s_waitcnt lgkmcnt(0)
	s_barrier
	v_cmp_ne_u16_e32 vcc, 0, v28
	s_bcnt1_i32_b64 s40, vcc
	v_and_b32_e32 v16, vcc_lo, v8
	v_bcnt_u32_b32 v21, v16, 0
	v_mov_b32_e32 v16, s40
	ds_write_b32 v30, v16
	s_waitcnt lgkmcnt(0)
	s_barrier
	ds_read_b128 v[16:19], v4
	v_and_b32_e32 v20, vcc_hi, v9
	v_bcnt_u32_b32 v29, v20, v21
	ds_read_b128 v[20:23], v4 offset:16
	ds_read_b128 v[24:27], v4 offset:32
	ds_read_b96 v[34:36], v4 offset:48
	s_waitcnt lgkmcnt(3)
	v_cndmask_b32_e64 v16, v16, 0, s[6:7]
	v_add_u32_e32 v16, v16, v29
	v_cndmask_b32_e64 v17, v17, 0, s[8:9]
	v_cndmask_b32_e64 v18, v18, 0, s[10:11]
	v_add3_u32 v16, v16, v17, v18
	v_cndmask_b32_e64 v17, v19, 0, s[12:13]
	s_waitcnt lgkmcnt(2)
	v_cndmask_b32_e64 v18, v20, 0, s[14:15]
	v_add3_u32 v16, v16, v17, v18
	v_cndmask_b32_e64 v17, v21, 0, s[16:17]
	v_cndmask_b32_e64 v18, v22, 0, s[18:19]
	v_add3_u32 v16, v16, v17, v18
	v_cndmask_b32_e64 v17, v23, 0, s[20:21]
	s_waitcnt lgkmcnt(1)
	v_cndmask_b32_e64 v18, v24, 0, s[22:23]
	v_add3_u32 v16, v16, v17, v18
	;; [unrolled: 7-line block ×3, first 2 shown]
	v_cndmask_b32_e64 v17, v35, 0, s[34:35]
	v_cndmask_b32_e64 v18, v36, 0, s[36:37]
	v_add3_u32 v16, v16, v17, v18
	v_and_b32_e32 v17, 1, v28
	v_cmp_eq_u32_e32 vcc, 1, v17
	s_and_saveexec_b64 s[40:41], vcc
	s_cbranch_execz .LBB236_67
; %bb.66:                               ;   in Loop: Header=BB236_65 Depth=2
	v_ashrrev_i32_e32 v17, 31, v16
	v_add_co_u32_e32 v18, vcc, v10, v16
	v_addc_co_u32_e32 v19, vcc, v11, v17, vcc
	v_lshlrev_b64 v[20:21], 2, v[18:19]
	v_mov_b32_e32 v17, s92
	v_add_co_u32_e32 v20, vcc, s91, v20
	v_addc_co_u32_e32 v21, vcc, v17, v21, vcc
	v_lshlrev_b64 v[18:19], 3, v[18:19]
	v_mov_b32_e32 v17, s94
	v_add_co_u32_e32 v18, vcc, s93, v18
	v_add_u32_e32 v22, s50, v15
	v_addc_co_u32_e32 v19, vcc, v17, v19, vcc
	global_store_dword v[20:21], v22, off
	global_store_dwordx2 v[18:19], v[12:13], off
.LBB236_67:                             ;   in Loop: Header=BB236_65 Depth=2
	s_or_b64 exec, exec, s[40:41]
	s_and_saveexec_b64 s[40:41], s[4:5]
	s_cbranch_execz .LBB236_64
; %bb.68:                               ;   in Loop: Header=BB236_65 Depth=2
	ds_write_b32 v4, v16 offset:60
	s_branch .LBB236_64
.LBB236_69:
	s_endpgm
	.section	.rodata,"a",@progbits
	.p2align	6, 0x0
	.amdhsa_kernel _ZN9rocsparseL36csrgemm_fill_block_per_row_multipassILj512ELj16ELj2048ELj32Eli21rocsparse_complex_numIfEEEvT4_PKS3_S5_NS_24const_host_device_scalarIT5_EEPKT3_S5_PKS7_SB_S5_SD_S8_SB_S5_SD_SB_PS3_PS7_PS9_21rocsparse_index_base_SH_SH_SH_bbb
		.amdhsa_group_segment_fixed_size 18436
		.amdhsa_private_segment_fixed_size 0
		.amdhsa_kernarg_size 164
		.amdhsa_user_sgpr_count 6
		.amdhsa_user_sgpr_private_segment_buffer 1
		.amdhsa_user_sgpr_dispatch_ptr 0
		.amdhsa_user_sgpr_queue_ptr 0
		.amdhsa_user_sgpr_kernarg_segment_ptr 1
		.amdhsa_user_sgpr_dispatch_id 0
		.amdhsa_user_sgpr_flat_scratch_init 0
		.amdhsa_user_sgpr_kernarg_preload_length 0
		.amdhsa_user_sgpr_kernarg_preload_offset 0
		.amdhsa_user_sgpr_private_segment_size 0
		.amdhsa_uses_dynamic_stack 0
		.amdhsa_system_sgpr_private_segment_wavefront_offset 0
		.amdhsa_system_sgpr_workgroup_id_x 1
		.amdhsa_system_sgpr_workgroup_id_y 0
		.amdhsa_system_sgpr_workgroup_id_z 0
		.amdhsa_system_sgpr_workgroup_info 0
		.amdhsa_system_vgpr_workitem_id 0
		.amdhsa_next_free_vgpr 40
		.amdhsa_next_free_sgpr 96
		.amdhsa_accum_offset 40
		.amdhsa_reserve_vcc 1
		.amdhsa_reserve_flat_scratch 0
		.amdhsa_float_round_mode_32 0
		.amdhsa_float_round_mode_16_64 0
		.amdhsa_float_denorm_mode_32 3
		.amdhsa_float_denorm_mode_16_64 3
		.amdhsa_dx10_clamp 1
		.amdhsa_ieee_mode 1
		.amdhsa_fp16_overflow 0
		.amdhsa_tg_split 0
		.amdhsa_exception_fp_ieee_invalid_op 0
		.amdhsa_exception_fp_denorm_src 0
		.amdhsa_exception_fp_ieee_div_zero 0
		.amdhsa_exception_fp_ieee_overflow 0
		.amdhsa_exception_fp_ieee_underflow 0
		.amdhsa_exception_fp_ieee_inexact 0
		.amdhsa_exception_int_div_zero 0
	.end_amdhsa_kernel
	.section	.text._ZN9rocsparseL36csrgemm_fill_block_per_row_multipassILj512ELj16ELj2048ELj32Eli21rocsparse_complex_numIfEEEvT4_PKS3_S5_NS_24const_host_device_scalarIT5_EEPKT3_S5_PKS7_SB_S5_SD_S8_SB_S5_SD_SB_PS3_PS7_PS9_21rocsparse_index_base_SH_SH_SH_bbb,"axG",@progbits,_ZN9rocsparseL36csrgemm_fill_block_per_row_multipassILj512ELj16ELj2048ELj32Eli21rocsparse_complex_numIfEEEvT4_PKS3_S5_NS_24const_host_device_scalarIT5_EEPKT3_S5_PKS7_SB_S5_SD_S8_SB_S5_SD_SB_PS3_PS7_PS9_21rocsparse_index_base_SH_SH_SH_bbb,comdat
.Lfunc_end236:
	.size	_ZN9rocsparseL36csrgemm_fill_block_per_row_multipassILj512ELj16ELj2048ELj32Eli21rocsparse_complex_numIfEEEvT4_PKS3_S5_NS_24const_host_device_scalarIT5_EEPKT3_S5_PKS7_SB_S5_SD_S8_SB_S5_SD_SB_PS3_PS7_PS9_21rocsparse_index_base_SH_SH_SH_bbb, .Lfunc_end236-_ZN9rocsparseL36csrgemm_fill_block_per_row_multipassILj512ELj16ELj2048ELj32Eli21rocsparse_complex_numIfEEEvT4_PKS3_S5_NS_24const_host_device_scalarIT5_EEPKT3_S5_PKS7_SB_S5_SD_S8_SB_S5_SD_SB_PS3_PS7_PS9_21rocsparse_index_base_SH_SH_SH_bbb
                                        ; -- End function
	.section	.AMDGPU.csdata,"",@progbits
; Kernel info:
; codeLenInByte = 3164
; NumSgprs: 100
; NumVgprs: 40
; NumAgprs: 0
; TotalNumVgprs: 40
; ScratchSize: 0
; MemoryBound: 0
; FloatMode: 240
; IeeeMode: 1
; LDSByteSize: 18436 bytes/workgroup (compile time only)
; SGPRBlocks: 12
; VGPRBlocks: 4
; NumSGPRsForWavesPerEU: 100
; NumVGPRsForWavesPerEU: 40
; AccumOffset: 40
; Occupancy: 6
; WaveLimiterHint : 1
; COMPUTE_PGM_RSRC2:SCRATCH_EN: 0
; COMPUTE_PGM_RSRC2:USER_SGPR: 6
; COMPUTE_PGM_RSRC2:TRAP_HANDLER: 0
; COMPUTE_PGM_RSRC2:TGID_X_EN: 1
; COMPUTE_PGM_RSRC2:TGID_Y_EN: 0
; COMPUTE_PGM_RSRC2:TGID_Z_EN: 0
; COMPUTE_PGM_RSRC2:TIDIG_COMP_CNT: 0
; COMPUTE_PGM_RSRC3_GFX90A:ACCUM_OFFSET: 9
; COMPUTE_PGM_RSRC3_GFX90A:TG_SPLIT: 0
	.section	.text._ZN9rocsparseL36csrgemm_fill_block_per_row_multipassILj512ELj16ELj2048ELj64Eli21rocsparse_complex_numIfEEEvT4_PKS3_S5_NS_24const_host_device_scalarIT5_EEPKT3_S5_PKS7_SB_S5_SD_S8_SB_S5_SD_SB_PS3_PS7_PS9_21rocsparse_index_base_SH_SH_SH_bbb,"axG",@progbits,_ZN9rocsparseL36csrgemm_fill_block_per_row_multipassILj512ELj16ELj2048ELj64Eli21rocsparse_complex_numIfEEEvT4_PKS3_S5_NS_24const_host_device_scalarIT5_EEPKT3_S5_PKS7_SB_S5_SD_S8_SB_S5_SD_SB_PS3_PS7_PS9_21rocsparse_index_base_SH_SH_SH_bbb,comdat
	.globl	_ZN9rocsparseL36csrgemm_fill_block_per_row_multipassILj512ELj16ELj2048ELj64Eli21rocsparse_complex_numIfEEEvT4_PKS3_S5_NS_24const_host_device_scalarIT5_EEPKT3_S5_PKS7_SB_S5_SD_S8_SB_S5_SD_SB_PS3_PS7_PS9_21rocsparse_index_base_SH_SH_SH_bbb ; -- Begin function _ZN9rocsparseL36csrgemm_fill_block_per_row_multipassILj512ELj16ELj2048ELj64Eli21rocsparse_complex_numIfEEEvT4_PKS3_S5_NS_24const_host_device_scalarIT5_EEPKT3_S5_PKS7_SB_S5_SD_S8_SB_S5_SD_SB_PS3_PS7_PS9_21rocsparse_index_base_SH_SH_SH_bbb
	.p2align	8
	.type	_ZN9rocsparseL36csrgemm_fill_block_per_row_multipassILj512ELj16ELj2048ELj64Eli21rocsparse_complex_numIfEEEvT4_PKS3_S5_NS_24const_host_device_scalarIT5_EEPKT3_S5_PKS7_SB_S5_SD_S8_SB_S5_SD_SB_PS3_PS7_PS9_21rocsparse_index_base_SH_SH_SH_bbb,@function
_ZN9rocsparseL36csrgemm_fill_block_per_row_multipassILj512ELj16ELj2048ELj64Eli21rocsparse_complex_numIfEEEvT4_PKS3_S5_NS_24const_host_device_scalarIT5_EEPKT3_S5_PKS7_SB_S5_SD_S8_SB_S5_SD_SB_PS3_PS7_PS9_21rocsparse_index_base_SH_SH_SH_bbb: ; @_ZN9rocsparseL36csrgemm_fill_block_per_row_multipassILj512ELj16ELj2048ELj64Eli21rocsparse_complex_numIfEEEvT4_PKS3_S5_NS_24const_host_device_scalarIT5_EEPKT3_S5_PKS7_SB_S5_SD_S8_SB_S5_SD_SB_PS3_PS7_PS9_21rocsparse_index_base_SH_SH_SH_bbb
; %bb.0:
	s_load_dwordx8 s[20:27], s[4:5], 0x80
	s_load_dword s7, s[4:5], 0xa0
	s_load_dwordx8 s[36:43], s[4:5], 0x60
	s_load_dwordx8 s[44:51], s[4:5], 0x40
	s_load_dwordx4 s[8:11], s[4:5], 0x8
	s_load_dwordx8 s[52:59], s[4:5], 0x20
	s_waitcnt lgkmcnt(0)
	s_bitcmp1_b32 s7, 0
	s_cselect_b64 s[12:13], -1, 0
	s_bitcmp1_b32 s7, 16
	s_cselect_b64 s[0:1], -1, 0
	s_xor_b64 s[2:3], s[0:1], -1
	s_mov_b32 s29, 0
	s_bitcmp0_b32 s7, 0
	s_mov_b32 s33, 0
	s_cbranch_scc1 .LBB237_5
; %bb.1:
	s_load_dwordx2 s[28:29], s[4:5], 0x18
	v_cndmask_b32_e64 v1, 0, 1, s[2:3]
	v_cmp_ne_u32_e64 s[0:1], 1, v1
	s_andn2_b64 vcc, exec, s[2:3]
	s_waitcnt lgkmcnt(0)
	s_mov_b32 s33, s28
	s_cbranch_vccnz .LBB237_3
; %bb.2:
	s_load_dword s33, s[28:29], 0x0
.LBB237_3:
	s_and_b64 vcc, exec, s[0:1]
	s_cbranch_vccnz .LBB237_5
; %bb.4:
	s_load_dword s29, s[28:29], 0x4
.LBB237_5:
	s_bitcmp1_b32 s7, 8
	s_cselect_b64 s[30:31], -1, 0
	s_bfe_u32 s0, s7, 0x10008
	s_mov_b32 s68, 0
	s_cmp_eq_u32 s0, 0
	s_mov_b32 s28, 0
	s_cbranch_scc1 .LBB237_11
; %bb.6:
	v_cndmask_b32_e64 v1, 0, 1, s[2:3]
	v_cmp_ne_u32_e64 s[0:1], 1, v1
	s_andn2_b64 vcc, exec, s[2:3]
	s_mov_b32 s28, s48
	s_cbranch_vccnz .LBB237_8
; %bb.7:
	s_load_dword s28, s[48:49], 0x0
.LBB237_8:
	s_and_b64 vcc, exec, s[0:1]
	s_cbranch_vccnz .LBB237_10
; %bb.9:
	s_load_dword s49, s[48:49], 0x4
.LBB237_10:
	s_waitcnt lgkmcnt(0)
	s_mov_b32 s68, s49
.LBB237_11:
	s_load_dword s0, s[8:9], 0x0
	s_mov_b32 s1, 0
	v_cndmask_b32_e64 v1, 0, 1, s[12:13]
	s_mov_b64 s[34:35], 0
	s_mov_b64 s[2:3], 0
	s_waitcnt lgkmcnt(0)
	s_add_i32 s0, s0, s6
	s_lshl_b64 s[0:1], s[0:1], 2
	s_add_u32 s0, s10, s0
	s_addc_u32 s1, s11, s1
	s_load_dword s6, s[0:1], 0x0
	v_cmp_ne_u32_e64 s[0:1], 1, v1
	s_andn2_b64 vcc, exec, s[12:13]
	s_cbranch_vccz .LBB237_14
; %bb.12:
	s_and_b64 vcc, exec, s[0:1]
	s_cbranch_vccz .LBB237_15
.LBB237_13:
	s_load_dword s69, s[4:5], 0x0
	s_waitcnt lgkmcnt(0)
	s_cmp_lt_i32 s69, 1
	s_cbranch_scc0 .LBB237_16
	s_branch .LBB237_69
.LBB237_14:
	s_waitcnt lgkmcnt(0)
	s_ashr_i32 s7, s6, 31
	s_lshl_b64 s[2:3], s[6:7], 3
	s_add_u32 s2, s52, s2
	s_addc_u32 s3, s53, s3
	s_load_dwordx2 s[2:3], s[2:3], 0x0
	s_waitcnt lgkmcnt(0)
	s_sub_u32 s2, s2, s24
	s_subb_u32 s3, s3, 0
	s_and_b64 vcc, exec, s[0:1]
	s_cbranch_vccnz .LBB237_13
.LBB237_15:
	s_waitcnt lgkmcnt(0)
	s_ashr_i32 s7, s6, 31
	s_lshl_b64 s[0:1], s[6:7], 3
	s_add_u32 s0, s52, s0
	s_addc_u32 s1, s53, s1
	s_load_dwordx2 s[0:1], s[0:1], 0x8
	s_waitcnt lgkmcnt(0)
	s_sub_u32 s34, s0, s24
	s_subb_u32 s35, s1, 0
	s_load_dword s69, s[4:5], 0x0
	s_waitcnt lgkmcnt(0)
	s_cmp_lt_i32 s69, 1
	s_cbranch_scc1 .LBB237_69
.LBB237_16:
	s_ashr_i32 s7, s6, 31
	s_lshl_b64 s[4:5], s[6:7], 3
	s_add_u32 s0, s40, s4
	s_addc_u32 s1, s41, s5
	s_load_dwordx2 s[6:7], s[0:1], 0x0
	v_lshrrev_b32_e32 v5, 4, v0
	v_mov_b32_e32 v1, s3
	v_add_co_u32_e32 v6, vcc, s2, v5
	s_waitcnt lgkmcnt(0)
	s_sub_u32 s52, s6, s26
	s_subb_u32 s53, s7, 0
	v_addc_co_u32_e32 v7, vcc, 0, v1, vcc
	v_cmp_gt_i64_e32 vcc, s[34:35], v[6:7]
	s_add_u32 s40, s50, s4
	s_addc_u32 s41, s51, s5
	s_and_b64 s[48:49], s[12:13], vcc
	s_add_u32 s73, s58, 8
	s_addc_u32 s74, s59, 0
	s_add_u32 s75, s42, -4
	s_addc_u32 s76, s43, -1
	s_add_u32 s77, s20, -8
	s_addc_u32 s78, s21, -1
	v_subrev_co_u32_e64 v1, s[4:5], s27, v0
	v_mbcnt_lo_u32_b32 v8, -1, 0
	s_add_u32 s79, s46, 4
	v_subb_co_u32_e64 v3, s[4:5], 0, 0, s[4:5]
	v_mbcnt_hi_u32_b32 v8, -1, v8
	s_addc_u32 s80, s47, 0
	v_and_b32_e32 v2, 15, v0
	s_mov_b32 s70, 0
	v_mov_b32_e32 v4, 0
	v_sub_u32_e32 v8, 63, v8
	s_movk_i32 s4, 0x1ff
	s_movk_i32 s8, 0x80
	;; [unrolled: 1-line block ×7, first 2 shown]
	s_add_u32 s81, s38, 4
	v_cmp_eq_u32_e64 s[0:1], 0, v0
	s_mov_b32 s71, s25
	v_cmp_eq_u32_e64 s[2:3], 15, v2
	s_mov_b32 s72, s27
	v_lshrrev_b64 v[8:9], v8, -1
	v_and_b32_e32 v30, 28, v5
	v_cmp_eq_u32_e64 s[4:5], s4, v0
	v_cmp_gt_u32_e64 s[6:7], 64, v0
	v_cmp_gt_u32_e64 s[8:9], s8, v0
	;; [unrolled: 1-line block ×7, first 2 shown]
	v_or_b32_e32 v31, 0xfffffe00, v0
	v_lshlrev_b32_e32 v32, 3, v0
	s_addc_u32 s82, s39, 0
	v_mov_b32_e32 v34, 0x800
	v_pk_mov_b32 v[10:11], s[52:53], s[52:53] op_sel:[0,1]
	v_mov_b32_e32 v5, v4
	s_movk_i32 s83, 0x5ff
	v_mov_b32_e32 v33, 1
	s_mov_b32 s84, s70
	s_branch .LBB237_18
.LBB237_17:                             ;   in Loop: Header=BB237_18 Depth=1
	s_or_b64 exec, exec, s[20:21]
	ds_read_b32 v12, v4 offset:18432
	s_waitcnt lgkmcnt(0)
	s_barrier
	v_cmp_le_i32_e32 vcc, s69, v12
	v_readfirstlane_b32 s84, v12
	v_add_u32_e32 v34, 0x800, v12
	s_cbranch_vccnz .LBB237_69
.LBB237_18:                             ; =>This Loop Header: Depth=1
                                        ;     Child Loop BB237_19 Depth 2
                                        ;     Child Loop BB237_25 Depth 2
                                        ;       Child Loop BB237_31 Depth 3
                                        ;     Child Loop BB237_48 Depth 2
                                        ;     Child Loop BB237_60 Depth 2
                                        ;     Child Loop BB237_65 Depth 2
	s_mov_b64 s[20:21], 0
	v_mov_b32_e32 v12, v32
	v_mov_b32_e32 v13, v31
.LBB237_19:                             ;   Parent Loop BB237_18 Depth=1
                                        ; =>  This Inner Loop Header: Depth=2
	ds_write_b8 v13, v4 offset:16896
	ds_write_b64 v12, v[4:5]
	v_add_u32_e32 v13, 0x200, v13
	v_cmp_lt_u32_e32 vcc, s83, v13
	s_or_b64 s[20:21], vcc, s[20:21]
	v_add_u32_e32 v12, 0x1000, v12
	s_andn2_b64 exec, exec, s[20:21]
	s_cbranch_execnz .LBB237_19
; %bb.20:                               ;   in Loop: Header=BB237_18 Depth=1
	s_or_b64 exec, exec, s[20:21]
	s_and_saveexec_b64 s[20:21], s[0:1]
	s_cbranch_execz .LBB237_22
; %bb.21:                               ;   in Loop: Header=BB237_18 Depth=1
	v_mov_b32_e32 v12, s69
	ds_write_b32 v4, v12 offset:18432
.LBB237_22:                             ;   in Loop: Header=BB237_18 Depth=1
	s_or_b64 exec, exec, s[20:21]
	v_mov_b32_e32 v35, s69
	s_waitcnt lgkmcnt(0)
	s_barrier
	s_and_saveexec_b64 s[38:39], s[48:49]
	s_cbranch_execz .LBB237_44
; %bb.23:                               ;   in Loop: Header=BB237_18 Depth=1
	s_cmp_lg_u32 s84, 0
	s_mov_b64 s[42:43], 0
	s_cselect_b64 s[46:47], -1, 0
	v_mov_b32_e32 v35, s69
	v_pk_mov_b32 v[12:13], v[6:7], v[6:7] op_sel:[0,1]
	s_branch .LBB237_25
.LBB237_24:                             ;   in Loop: Header=BB237_25 Depth=2
	s_or_b64 exec, exec, s[20:21]
	v_add_co_u32_e32 v12, vcc, 32, v12
	v_addc_co_u32_e32 v13, vcc, 0, v13, vcc
	v_cmp_le_i64_e32 vcc, s[34:35], v[12:13]
	s_or_b64 s[42:43], vcc, s[42:43]
	s_andn2_b64 exec, exec, s[42:43]
	s_cbranch_execz .LBB237_43
.LBB237_25:                             ;   Parent Loop BB237_18 Depth=1
                                        ; =>  This Loop Header: Depth=2
                                        ;       Child Loop BB237_31 Depth 3
	v_lshlrev_b64 v[14:15], 2, v[12:13]
	v_mov_b32_e32 v16, s55
	v_add_co_u32_e32 v14, vcc, s54, v14
	v_addc_co_u32_e32 v15, vcc, v16, v15, vcc
	global_load_dword v18, v[14:15], off
	v_lshlrev_b64 v[14:15], 3, v[12:13]
	v_mov_b32_e32 v17, s57
	v_add_co_u32_e32 v16, vcc, s56, v14
	v_addc_co_u32_e32 v17, vcc, v17, v15, vcc
	global_load_dwordx2 v[20:21], v[16:17], off
	s_and_b64 vcc, exec, s[46:47]
	s_waitcnt vmcnt(1)
	v_subrev_u32_e32 v16, s24, v18
	v_ashrrev_i32_e32 v17, 31, v16
	s_cbranch_vccz .LBB237_42
; %bb.26:                               ;   in Loop: Header=BB237_25 Depth=2
	v_mov_b32_e32 v19, s23
	v_add_co_u32_e32 v18, vcc, s22, v14
	v_addc_co_u32_e32 v19, vcc, v19, v15, vcc
	global_load_dwordx2 v[22:23], v[18:19], off
	s_cbranch_execnz .LBB237_28
.LBB237_27:                             ;   in Loop: Header=BB237_25 Depth=2
	v_lshlrev_b64 v[18:19], 3, v[16:17]
	s_waitcnt vmcnt(0)
	v_mov_b32_e32 v22, s59
	v_add_co_u32_e32 v18, vcc, s58, v18
	v_addc_co_u32_e32 v19, vcc, v22, v19, vcc
	global_load_dwordx2 v[18:19], v[18:19], off
	v_mov_b32_e32 v23, s70
	s_waitcnt vmcnt(0)
	v_subrev_co_u32_e32 v22, vcc, s71, v18
	v_subb_co_u32_e32 v23, vcc, v19, v23, vcc
.LBB237_28:                             ;   in Loop: Header=BB237_25 Depth=2
	v_lshlrev_b64 v[16:17], 3, v[16:17]
	v_mov_b32_e32 v18, s74
	v_add_co_u32_e32 v16, vcc, s73, v16
	v_addc_co_u32_e32 v17, vcc, v18, v17, vcc
	global_load_dwordx2 v[16:17], v[16:17], off
	v_mov_b32_e32 v19, s70
	s_waitcnt vmcnt(0)
	v_subrev_co_u32_e32 v18, vcc, s71, v16
	v_subb_co_u32_e32 v19, vcc, v17, v19, vcc
	v_add_co_u32_e32 v16, vcc, v22, v2
	v_addc_co_u32_e32 v17, vcc, 0, v23, vcc
	v_cmp_lt_i64_e32 vcc, v[16:17], v[18:19]
	s_and_saveexec_b64 s[50:51], vcc
	s_cbranch_execz .LBB237_40
; %bb.29:                               ;   in Loop: Header=BB237_25 Depth=2
	v_mul_f32_e64 v36, v21, -s29
	v_mul_f32_e32 v37, s33, v21
	v_fmac_f32_e32 v36, s33, v20
	v_fmac_f32_e32 v37, s29, v20
	v_lshlrev_b64 v[20:21], 2, v[16:17]
	v_mov_b32_e32 v22, s45
	v_add_co_u32_e32 v20, vcc, s44, v20
	v_addc_co_u32_e32 v21, vcc, v22, v21, vcc
	v_lshlrev_b64 v[22:23], 3, v[16:17]
	v_mov_b32_e32 v24, s80
	v_add_co_u32_e32 v22, vcc, s79, v22
	v_addc_co_u32_e32 v23, vcc, v24, v23, vcc
	s_mov_b64 s[60:61], 0
	v_pk_mov_b32 v[24:25], v[16:17], v[16:17] op_sel:[0,1]
                                        ; implicit-def: $sgpr52_sgpr53
                                        ; implicit-def: $sgpr62_sgpr63
	s_branch .LBB237_31
.LBB237_30:                             ;   in Loop: Header=BB237_31 Depth=3
	s_or_b64 exec, exec, s[64:65]
	s_and_b64 s[20:21], exec, s[66:67]
	s_or_b64 s[60:61], s[20:21], s[60:61]
	s_andn2_b64 s[20:21], s[52:53], exec
	s_and_b64 s[52:53], s[62:63], exec
	s_or_b64 s[52:53], s[20:21], s[52:53]
	v_pk_mov_b32 v[24:25], v[26:27], v[26:27] op_sel:[0,1]
	s_andn2_b64 exec, exec, s[60:61]
	s_cbranch_execz .LBB237_37
.LBB237_31:                             ;   Parent Loop BB237_18 Depth=1
                                        ;     Parent Loop BB237_25 Depth=2
                                        ; =>    This Inner Loop Header: Depth=3
	global_load_dword v26, v[20:21], off
                                        ; implicit-def: $sgpr64_sgpr65
	s_waitcnt vmcnt(0)
	v_subrev_u32_e32 v38, s25, v26
	v_cmp_gt_i32_e32 vcc, s84, v38
	v_cmp_ge_i32_e64 s[20:21], v38, v34
	s_or_b64 s[66:67], vcc, s[20:21]
	s_mov_b64 s[20:21], 0
	s_and_saveexec_b64 s[86:87], s[66:67]
	s_xor_b64 s[66:67], exec, s[86:87]
; %bb.32:                               ;   in Loop: Header=BB237_31 Depth=3
	v_cmp_lt_i32_e32 vcc, v38, v34
	s_mov_b64 s[64:65], -1
	s_and_b64 s[20:21], vcc, exec
; %bb.33:                               ;   in Loop: Header=BB237_31 Depth=3
	s_andn2_saveexec_b64 s[66:67], s[66:67]
	s_cbranch_execz .LBB237_35
; %bb.34:                               ;   in Loop: Header=BB237_31 Depth=3
	global_load_dwordx2 v[26:27], v[22:23], off offset:-4
	v_subrev_u32_e32 v28, s84, v38
	ds_write_b8 v28, v33 offset:16384
	v_lshlrev_b32_e32 v28, 3, v28
	s_or_b64 s[20:21], s[20:21], exec
	s_waitcnt vmcnt(0)
	v_mul_f32_e64 v29, v27, -v37
	v_mul_f32_e32 v27, v36, v27
	v_fmac_f32_e32 v29, v36, v26
	v_fmac_f32_e32 v27, v37, v26
	ds_add_f32 v28, v29
	ds_add_f32 v28, v27 offset:4
.LBB237_35:                             ;   in Loop: Header=BB237_31 Depth=3
	s_or_b64 exec, exec, s[66:67]
	s_andn2_b64 s[62:63], s[62:63], exec
	s_and_b64 s[64:65], s[64:65], exec
	s_mov_b64 s[66:67], -1
	s_or_b64 s[62:63], s[62:63], s[64:65]
	v_pk_mov_b32 v[28:29], v[24:25], v[24:25] op_sel:[0,1]
                                        ; implicit-def: $vgpr26_vgpr27
	s_and_saveexec_b64 s[64:65], s[20:21]
	s_cbranch_execz .LBB237_30
; %bb.36:                               ;   in Loop: Header=BB237_31 Depth=3
	v_add_co_u32_e32 v26, vcc, 16, v24
	v_addc_co_u32_e32 v27, vcc, 0, v25, vcc
	v_add_co_u32_e32 v20, vcc, 64, v20
	v_addc_co_u32_e32 v21, vcc, 0, v21, vcc
	;; [unrolled: 2-line block ×3, first 2 shown]
	v_cmp_ge_i64_e32 vcc, v[26:27], v[18:19]
	s_andn2_b64 s[62:63], s[62:63], exec
	s_orn2_b64 s[66:67], vcc, exec
	v_pk_mov_b32 v[28:29], v[24:25], v[24:25] op_sel:[0,1]
	s_branch .LBB237_30
.LBB237_37:                             ;   in Loop: Header=BB237_25 Depth=2
	s_or_b64 exec, exec, s[60:61]
	s_and_saveexec_b64 s[20:21], s[52:53]
	s_xor_b64 s[20:21], exec, s[20:21]
; %bb.38:                               ;   in Loop: Header=BB237_25 Depth=2
	v_min_i32_e32 v35, v38, v35
	v_pk_mov_b32 v[16:17], v[28:29], v[28:29] op_sel:[0,1]
; %bb.39:                               ;   in Loop: Header=BB237_25 Depth=2
	s_or_b64 exec, exec, s[20:21]
.LBB237_40:                             ;   in Loop: Header=BB237_25 Depth=2
	s_or_b64 exec, exec, s[50:51]
	v_mov_b32_dpp v18, v16 row_shr:1 row_mask:0xf bank_mask:0xf
	v_mov_b32_dpp v19, v17 row_shr:1 row_mask:0xf bank_mask:0xf
	v_cmp_lt_i64_e32 vcc, v[18:19], v[16:17]
	v_cndmask_b32_e32 v17, v17, v19, vcc
	v_cndmask_b32_e32 v16, v16, v18, vcc
	s_nop 0
	v_mov_b32_dpp v19, v17 row_shr:2 row_mask:0xf bank_mask:0xf
	v_mov_b32_dpp v18, v16 row_shr:2 row_mask:0xf bank_mask:0xf
	v_cmp_lt_i64_e32 vcc, v[18:19], v[16:17]
	v_cndmask_b32_e32 v17, v17, v19, vcc
	v_cndmask_b32_e32 v16, v16, v18, vcc
	s_nop 0
	;; [unrolled: 6-line block ×3, first 2 shown]
	v_mov_b32_dpp v19, v17 row_shr:8 row_mask:0xf bank_mask:0xc
	v_mov_b32_dpp v18, v16 row_shr:8 row_mask:0xf bank_mask:0xc
	s_and_saveexec_b64 s[20:21], s[2:3]
	s_cbranch_execz .LBB237_24
; %bb.41:                               ;   in Loop: Header=BB237_25 Depth=2
	v_cmp_lt_i64_e32 vcc, v[18:19], v[16:17]
	v_cndmask_b32_e32 v17, v17, v19, vcc
	v_cndmask_b32_e32 v16, v16, v18, vcc
	v_mov_b32_e32 v18, s23
	v_add_co_u32_e32 v14, vcc, s22, v14
	v_addc_co_u32_e32 v15, vcc, v18, v15, vcc
	global_store_dwordx2 v[14:15], v[16:17], off
	s_branch .LBB237_24
.LBB237_42:                             ;   in Loop: Header=BB237_25 Depth=2
                                        ; implicit-def: $vgpr22_vgpr23
	s_branch .LBB237_27
.LBB237_43:                             ;   in Loop: Header=BB237_18 Depth=1
	s_or_b64 exec, exec, s[42:43]
.LBB237_44:                             ;   in Loop: Header=BB237_18 Depth=1
	s_or_b64 exec, exec, s[38:39]
	s_andn2_b64 vcc, exec, s[30:31]
	s_cbranch_vccnz .LBB237_58
; %bb.45:                               ;   in Loop: Header=BB237_18 Depth=1
	s_load_dwordx4 s[60:63], s[40:41], 0x0
	s_waitcnt lgkmcnt(0)
	s_sub_u32 s42, s62, s72
	v_mov_b32_e32 v13, s61
	v_add_co_u32_e32 v12, vcc, s60, v1
	s_subb_u32 s43, s63, 0
	v_addc_co_u32_e32 v13, vcc, v13, v3, vcc
	v_cmp_gt_i64_e32 vcc, s[42:43], v[12:13]
	s_and_saveexec_b64 s[38:39], vcc
	s_cbranch_execz .LBB237_57
; %bb.46:                               ;   in Loop: Header=BB237_18 Depth=1
	v_lshlrev_b64 v[14:15], 2, v[12:13]
	v_mov_b32_e32 v16, s37
	v_add_co_u32_e32 v14, vcc, s36, v14
	v_addc_co_u32_e32 v15, vcc, v16, v15, vcc
	v_lshlrev_b64 v[16:17], 3, v[12:13]
	v_mov_b32_e32 v18, s82
	v_add_co_u32_e32 v16, vcc, s81, v16
	v_addc_co_u32_e32 v17, vcc, v18, v17, vcc
	s_mov_b64 s[46:47], 0
                                        ; implicit-def: $sgpr50_sgpr51
                                        ; implicit-def: $sgpr52_sgpr53
	s_branch .LBB237_48
.LBB237_47:                             ;   in Loop: Header=BB237_48 Depth=2
	s_or_b64 exec, exec, s[60:61]
	s_and_b64 s[20:21], exec, s[62:63]
	s_or_b64 s[46:47], s[20:21], s[46:47]
	s_andn2_b64 s[20:21], s[50:51], exec
	s_and_b64 s[50:51], s[52:53], exec
	s_or_b64 s[50:51], s[20:21], s[50:51]
	s_andn2_b64 exec, exec, s[46:47]
	s_cbranch_execz .LBB237_54
.LBB237_48:                             ;   Parent Loop BB237_18 Depth=1
                                        ; =>  This Inner Loop Header: Depth=2
	global_load_dword v18, v[14:15], off
                                        ; implicit-def: $sgpr60_sgpr61
	s_waitcnt vmcnt(0)
	v_subrev_u32_e32 v18, s27, v18
	v_cmp_gt_i32_e32 vcc, s84, v18
	v_cmp_ge_i32_e64 s[20:21], v18, v34
	s_or_b64 s[62:63], vcc, s[20:21]
	s_mov_b64 s[20:21], 0
	s_and_saveexec_b64 s[64:65], s[62:63]
	s_xor_b64 s[62:63], exec, s[64:65]
; %bb.49:                               ;   in Loop: Header=BB237_48 Depth=2
	v_cmp_lt_i32_e32 vcc, v18, v34
	s_mov_b64 s[60:61], -1
	s_and_b64 s[20:21], vcc, exec
; %bb.50:                               ;   in Loop: Header=BB237_48 Depth=2
	s_andn2_saveexec_b64 s[62:63], s[62:63]
	s_cbranch_execz .LBB237_52
; %bb.51:                               ;   in Loop: Header=BB237_48 Depth=2
	global_load_dwordx2 v[20:21], v[16:17], off offset:-4
	v_subrev_u32_e32 v19, s84, v18
	ds_write_b8 v19, v33 offset:16384
	v_lshlrev_b32_e32 v19, 3, v19
	s_or_b64 s[20:21], s[20:21], exec
	s_waitcnt vmcnt(0)
	v_mul_f32_e64 v22, v21, -s68
	v_mul_f32_e32 v21, s28, v21
	v_fmac_f32_e32 v22, s28, v20
	v_fmac_f32_e32 v21, s68, v20
	ds_add_f32 v19, v22
	ds_add_f32 v19, v21 offset:4
.LBB237_52:                             ;   in Loop: Header=BB237_48 Depth=2
	s_or_b64 exec, exec, s[62:63]
	s_andn2_b64 s[52:53], s[52:53], exec
	s_and_b64 s[60:61], s[60:61], exec
	s_mov_b64 s[62:63], -1
	s_or_b64 s[52:53], s[52:53], s[60:61]
	s_and_saveexec_b64 s[60:61], s[20:21]
	s_cbranch_execz .LBB237_47
; %bb.53:                               ;   in Loop: Header=BB237_48 Depth=2
	v_add_co_u32_e32 v12, vcc, 0x200, v12
	v_addc_co_u32_e32 v13, vcc, 0, v13, vcc
	v_add_co_u32_e32 v14, vcc, 0x800, v14
	v_addc_co_u32_e32 v15, vcc, 0, v15, vcc
	;; [unrolled: 2-line block ×3, first 2 shown]
	v_cmp_le_i64_e32 vcc, s[42:43], v[12:13]
	s_andn2_b64 s[52:53], s[52:53], exec
	s_orn2_b64 s[62:63], vcc, exec
	s_branch .LBB237_47
.LBB237_54:                             ;   in Loop: Header=BB237_18 Depth=1
	s_or_b64 exec, exec, s[46:47]
	s_and_saveexec_b64 s[20:21], s[50:51]
	s_xor_b64 s[20:21], exec, s[20:21]
; %bb.55:                               ;   in Loop: Header=BB237_18 Depth=1
	v_min_i32_e32 v35, v18, v35
; %bb.56:                               ;   in Loop: Header=BB237_18 Depth=1
	s_or_b64 exec, exec, s[20:21]
.LBB237_57:                             ;   in Loop: Header=BB237_18 Depth=1
	s_or_b64 exec, exec, s[38:39]
.LBB237_58:                             ;   in Loop: Header=BB237_18 Depth=1
	v_mov_b32_dpp v12, v35 row_shr:1 row_mask:0xf bank_mask:0xf
	v_min_i32_e32 v12, v12, v35
	s_nop 1
	v_mov_b32_dpp v13, v12 row_shr:2 row_mask:0xf bank_mask:0xf
	v_min_i32_e32 v12, v13, v12
	s_nop 1
	;; [unrolled: 3-line block ×3, first 2 shown]
	v_mov_b32_dpp v13, v12 row_shr:8 row_mask:0xf bank_mask:0xc
	s_and_saveexec_b64 s[20:21], s[2:3]
	s_cbranch_execz .LBB237_63
; %bb.59:                               ;   in Loop: Header=BB237_18 Depth=1
	s_mov_b64 s[38:39], exec
	v_min_i32_e32 v12, v13, v12
	s_brev_b32 s42, -2
.LBB237_60:                             ;   Parent Loop BB237_18 Depth=1
                                        ; =>  This Inner Loop Header: Depth=2
	s_ff1_i32_b64 s43, s[38:39]
	v_readlane_b32 s50, v12, s43
	s_lshl_b64 s[46:47], 1, s43
	s_min_i32 s42, s42, s50
	s_andn2_b64 s[38:39], s[38:39], s[46:47]
	s_cmp_lg_u64 s[38:39], 0
	s_cbranch_scc1 .LBB237_60
; %bb.61:                               ;   in Loop: Header=BB237_18 Depth=1
	v_mbcnt_lo_u32_b32 v12, exec_lo, 0
	v_mbcnt_hi_u32_b32 v12, exec_hi, v12
	v_cmp_eq_u32_e32 vcc, 0, v12
	s_and_saveexec_b64 s[38:39], vcc
	s_xor_b64 s[38:39], exec, s[38:39]
	s_cbranch_execz .LBB237_63
; %bb.62:                               ;   in Loop: Header=BB237_18 Depth=1
	v_mov_b32_e32 v12, s42
	ds_min_i32 v4, v12 offset:18432
.LBB237_63:                             ;   in Loop: Header=BB237_18 Depth=1
	s_or_b64 exec, exec, s[20:21]
	s_add_i32 s42, s26, s84
	s_mov_b64 s[20:21], 0
	v_mov_b32_e32 v14, v32
	v_mov_b32_e32 v15, v0
	s_waitcnt lgkmcnt(0)
	s_barrier
	s_branch .LBB237_65
.LBB237_64:                             ;   in Loop: Header=BB237_65 Depth=2
	s_or_b64 exec, exec, s[38:39]
	s_waitcnt lgkmcnt(0)
	s_barrier
	ds_read_b32 v12, v4 offset:28
	v_add_u32_e32 v14, 0x1000, v14
	s_waitcnt lgkmcnt(0)
	v_ashrrev_i32_e32 v13, 31, v12
	v_add_co_u32_e32 v10, vcc, v10, v12
	v_addc_co_u32_e32 v11, vcc, v11, v13, vcc
	v_add_u32_e32 v12, 0x200, v15
	v_cmp_lt_u32_e32 vcc, s83, v15
	s_or_b64 s[20:21], vcc, s[20:21]
	v_mov_b32_e32 v15, v12
	s_andn2_b64 exec, exec, s[20:21]
	s_cbranch_execz .LBB237_17
.LBB237_65:                             ;   Parent Loop BB237_18 Depth=1
                                        ; =>  This Inner Loop Header: Depth=2
	ds_read_u8 v23, v15 offset:16384
	ds_read_b64 v[12:13], v14
	s_waitcnt lgkmcnt(0)
	s_barrier
	v_cmp_ne_u16_e32 vcc, 0, v23
	s_bcnt1_i32_b64 s38, vcc
	v_mov_b32_e32 v16, s38
	ds_write_b32 v30, v16
	s_waitcnt lgkmcnt(0)
	s_barrier
	ds_read_b128 v[16:19], v4
	v_and_b32_e32 v21, vcc_lo, v8
	v_and_b32_e32 v20, vcc_hi, v9
	v_bcnt_u32_b32 v21, v21, 0
	v_bcnt_u32_b32 v24, v20, v21
	ds_read_b96 v[20:22], v4 offset:16
	s_waitcnt lgkmcnt(1)
	v_cndmask_b32_e64 v16, v16, 0, s[6:7]
	v_add_u32_e32 v16, v16, v24
	v_cndmask_b32_e64 v17, v17, 0, s[8:9]
	v_cndmask_b32_e64 v18, v18, 0, s[10:11]
	v_add3_u32 v16, v16, v17, v18
	v_cndmask_b32_e64 v17, v19, 0, s[12:13]
	s_waitcnt lgkmcnt(0)
	v_cndmask_b32_e64 v18, v20, 0, s[14:15]
	v_add3_u32 v16, v16, v17, v18
	v_cndmask_b32_e64 v17, v21, 0, s[16:17]
	v_cndmask_b32_e64 v18, v22, 0, s[18:19]
	v_add3_u32 v16, v16, v17, v18
	v_and_b32_e32 v17, 1, v23
	v_cmp_eq_u32_e32 vcc, 1, v17
	s_and_saveexec_b64 s[38:39], vcc
	s_cbranch_execz .LBB237_67
; %bb.66:                               ;   in Loop: Header=BB237_65 Depth=2
	v_ashrrev_i32_e32 v17, 31, v16
	v_add_co_u32_e32 v18, vcc, v10, v16
	v_addc_co_u32_e32 v19, vcc, v11, v17, vcc
	v_lshlrev_b64 v[20:21], 2, v[18:19]
	v_mov_b32_e32 v17, s76
	v_add_co_u32_e32 v20, vcc, s75, v20
	v_addc_co_u32_e32 v21, vcc, v17, v21, vcc
	v_lshlrev_b64 v[18:19], 3, v[18:19]
	v_mov_b32_e32 v17, s78
	v_add_co_u32_e32 v18, vcc, s77, v18
	v_add_u32_e32 v22, s42, v15
	v_addc_co_u32_e32 v19, vcc, v17, v19, vcc
	global_store_dword v[20:21], v22, off
	global_store_dwordx2 v[18:19], v[12:13], off
.LBB237_67:                             ;   in Loop: Header=BB237_65 Depth=2
	s_or_b64 exec, exec, s[38:39]
	s_and_saveexec_b64 s[38:39], s[4:5]
	s_cbranch_execz .LBB237_64
; %bb.68:                               ;   in Loop: Header=BB237_65 Depth=2
	ds_write_b32 v4, v16 offset:28
	s_branch .LBB237_64
.LBB237_69:
	s_endpgm
	.section	.rodata,"a",@progbits
	.p2align	6, 0x0
	.amdhsa_kernel _ZN9rocsparseL36csrgemm_fill_block_per_row_multipassILj512ELj16ELj2048ELj64Eli21rocsparse_complex_numIfEEEvT4_PKS3_S5_NS_24const_host_device_scalarIT5_EEPKT3_S5_PKS7_SB_S5_SD_S8_SB_S5_SD_SB_PS3_PS7_PS9_21rocsparse_index_base_SH_SH_SH_bbb
		.amdhsa_group_segment_fixed_size 18436
		.amdhsa_private_segment_fixed_size 0
		.amdhsa_kernarg_size 164
		.amdhsa_user_sgpr_count 6
		.amdhsa_user_sgpr_private_segment_buffer 1
		.amdhsa_user_sgpr_dispatch_ptr 0
		.amdhsa_user_sgpr_queue_ptr 0
		.amdhsa_user_sgpr_kernarg_segment_ptr 1
		.amdhsa_user_sgpr_dispatch_id 0
		.amdhsa_user_sgpr_flat_scratch_init 0
		.amdhsa_user_sgpr_kernarg_preload_length 0
		.amdhsa_user_sgpr_kernarg_preload_offset 0
		.amdhsa_user_sgpr_private_segment_size 0
		.amdhsa_uses_dynamic_stack 0
		.amdhsa_system_sgpr_private_segment_wavefront_offset 0
		.amdhsa_system_sgpr_workgroup_id_x 1
		.amdhsa_system_sgpr_workgroup_id_y 0
		.amdhsa_system_sgpr_workgroup_id_z 0
		.amdhsa_system_sgpr_workgroup_info 0
		.amdhsa_system_vgpr_workitem_id 0
		.amdhsa_next_free_vgpr 39
		.amdhsa_next_free_sgpr 88
		.amdhsa_accum_offset 40
		.amdhsa_reserve_vcc 1
		.amdhsa_reserve_flat_scratch 0
		.amdhsa_float_round_mode_32 0
		.amdhsa_float_round_mode_16_64 0
		.amdhsa_float_denorm_mode_32 3
		.amdhsa_float_denorm_mode_16_64 3
		.amdhsa_dx10_clamp 1
		.amdhsa_ieee_mode 1
		.amdhsa_fp16_overflow 0
		.amdhsa_tg_split 0
		.amdhsa_exception_fp_ieee_invalid_op 0
		.amdhsa_exception_fp_denorm_src 0
		.amdhsa_exception_fp_ieee_div_zero 0
		.amdhsa_exception_fp_ieee_overflow 0
		.amdhsa_exception_fp_ieee_underflow 0
		.amdhsa_exception_fp_ieee_inexact 0
		.amdhsa_exception_int_div_zero 0
	.end_amdhsa_kernel
	.section	.text._ZN9rocsparseL36csrgemm_fill_block_per_row_multipassILj512ELj16ELj2048ELj64Eli21rocsparse_complex_numIfEEEvT4_PKS3_S5_NS_24const_host_device_scalarIT5_EEPKT3_S5_PKS7_SB_S5_SD_S8_SB_S5_SD_SB_PS3_PS7_PS9_21rocsparse_index_base_SH_SH_SH_bbb,"axG",@progbits,_ZN9rocsparseL36csrgemm_fill_block_per_row_multipassILj512ELj16ELj2048ELj64Eli21rocsparse_complex_numIfEEEvT4_PKS3_S5_NS_24const_host_device_scalarIT5_EEPKT3_S5_PKS7_SB_S5_SD_S8_SB_S5_SD_SB_PS3_PS7_PS9_21rocsparse_index_base_SH_SH_SH_bbb,comdat
.Lfunc_end237:
	.size	_ZN9rocsparseL36csrgemm_fill_block_per_row_multipassILj512ELj16ELj2048ELj64Eli21rocsparse_complex_numIfEEEvT4_PKS3_S5_NS_24const_host_device_scalarIT5_EEPKT3_S5_PKS7_SB_S5_SD_S8_SB_S5_SD_SB_PS3_PS7_PS9_21rocsparse_index_base_SH_SH_SH_bbb, .Lfunc_end237-_ZN9rocsparseL36csrgemm_fill_block_per_row_multipassILj512ELj16ELj2048ELj64Eli21rocsparse_complex_numIfEEEvT4_PKS3_S5_NS_24const_host_device_scalarIT5_EEPKT3_S5_PKS7_SB_S5_SD_S8_SB_S5_SD_SB_PS3_PS7_PS9_21rocsparse_index_base_SH_SH_SH_bbb
                                        ; -- End function
	.section	.AMDGPU.csdata,"",@progbits
; Kernel info:
; codeLenInByte = 2664
; NumSgprs: 92
; NumVgprs: 39
; NumAgprs: 0
; TotalNumVgprs: 39
; ScratchSize: 0
; MemoryBound: 0
; FloatMode: 240
; IeeeMode: 1
; LDSByteSize: 18436 bytes/workgroup (compile time only)
; SGPRBlocks: 11
; VGPRBlocks: 4
; NumSGPRsForWavesPerEU: 92
; NumVGPRsForWavesPerEU: 39
; AccumOffset: 40
; Occupancy: 6
; WaveLimiterHint : 1
; COMPUTE_PGM_RSRC2:SCRATCH_EN: 0
; COMPUTE_PGM_RSRC2:USER_SGPR: 6
; COMPUTE_PGM_RSRC2:TRAP_HANDLER: 0
; COMPUTE_PGM_RSRC2:TGID_X_EN: 1
; COMPUTE_PGM_RSRC2:TGID_Y_EN: 0
; COMPUTE_PGM_RSRC2:TGID_Z_EN: 0
; COMPUTE_PGM_RSRC2:TIDIG_COMP_CNT: 0
; COMPUTE_PGM_RSRC3_GFX90A:ACCUM_OFFSET: 9
; COMPUTE_PGM_RSRC3_GFX90A:TG_SPLIT: 0
	.section	.text._ZN9rocsparseL26csrgemm_group_reduce_part2ILj256ELj11E21rocsparse_complex_numIdEliEEvT3_PKT2_PS3_Pij,"axG",@progbits,_ZN9rocsparseL26csrgemm_group_reduce_part2ILj256ELj11E21rocsparse_complex_numIdEliEEvT3_PKT2_PS3_Pij,comdat
	.globl	_ZN9rocsparseL26csrgemm_group_reduce_part2ILj256ELj11E21rocsparse_complex_numIdEliEEvT3_PKT2_PS3_Pij ; -- Begin function _ZN9rocsparseL26csrgemm_group_reduce_part2ILj256ELj11E21rocsparse_complex_numIdEliEEvT3_PKT2_PS3_Pij
	.p2align	8
	.type	_ZN9rocsparseL26csrgemm_group_reduce_part2ILj256ELj11E21rocsparse_complex_numIdEliEEvT3_PKT2_PS3_Pij,@function
_ZN9rocsparseL26csrgemm_group_reduce_part2ILj256ELj11E21rocsparse_complex_numIdEliEEvT3_PKT2_PS3_Pij: ; @_ZN9rocsparseL26csrgemm_group_reduce_part2ILj256ELj11E21rocsparse_complex_numIdEliEEvT3_PKT2_PS3_Pij
; %bb.0:
	s_load_dword s7, s[4:5], 0x0
	s_load_dwordx2 s[0:1], s[4:5], 0x10
	v_mul_u32_u24_e32 v1, 11, v0
	v_lshl_or_b32 v2, s6, 8, v0
	v_lshlrev_b32_e32 v1, 2, v1
	v_mov_b32_e32 v6, 0
	s_waitcnt lgkmcnt(0)
	v_cmp_gt_i32_e32 vcc, s7, v2
	ds_write2_b32 v1, v6, v6 offset1:1
	ds_write2_b32 v1, v6, v6 offset0:2 offset1:3
	ds_write2_b32 v1, v6, v6 offset0:4 offset1:5
	ds_write2_b32 v1, v6, v6 offset0:6 offset1:7
	ds_write2_b32 v1, v6, v6 offset0:8 offset1:9
	ds_write_b32 v1, v6 offset:40
	s_waitcnt lgkmcnt(0)
	s_and_saveexec_b64 s[2:3], vcc
	s_cbranch_execz .LBB238_43
; %bb.1:
	s_load_dword s12, s[4:5], 0x20
	s_load_dwordx2 s[8:9], s[4:5], 0x8
	s_load_dwordx2 s[10:11], s[4:5], 0x18
	s_load_dword s13, s[4:5], 0x28
	s_mov_b64 s[4:5], 0
	s_waitcnt lgkmcnt(0)
	s_cmp_lt_u32 s12, 0x14084
	s_cselect_b64 s[22:23], -1, 0
	s_cmp_lt_u32 s12, 0x28084
	s_cselect_b64 s[26:27], -1, 0
	;; [unrolled: 2-line block ×4, first 2 shown]
	s_lshl_b32 s33, s13, 8
	v_mov_b32_e32 v7, s9
	s_mov_b64 s[12:13], 0x100
	s_mov_b64 s[14:15], 0x200
	;; [unrolled: 1-line block ×5, first 2 shown]
	s_xor_b64 s[22:23], s[22:23], -1
	v_mov_b32_e32 v8, 6
	s_mov_b64 s[24:25], 0x2001
	s_xor_b64 s[26:27], s[26:27], -1
	v_mov_b32_e32 v9, 7
	s_mov_b64 s[28:29], 0x4001
	;; [unrolled: 3-line block ×3, first 2 shown]
	s_xor_b64 s[36:37], s[36:37], -1
	v_mov_b32_e32 v11, 9
	v_mov_b32_e32 v12, 10
	;; [unrolled: 1-line block ×7, first 2 shown]
	s_branch .LBB238_3
.LBB238_2:                              ;   in Loop: Header=BB238_3 Depth=1
	s_or_b64 exec, exec, s[38:39]
	v_add_u32_e32 v2, s33, v2
	v_cmp_le_i32_e32 vcc, s7, v2
	s_or_b64 s[4:5], vcc, s[4:5]
	s_andn2_b64 exec, exec, s[4:5]
	s_cbranch_execz .LBB238_43
.LBB238_3:                              ; =>This Inner Loop Header: Depth=1
	v_ashrrev_i32_e32 v3, 31, v2
	v_lshlrev_b64 v[4:5], 3, v[2:3]
	v_add_co_u32_e32 v4, vcc, s8, v4
	v_addc_co_u32_e32 v5, vcc, v7, v5, vcc
	global_load_dwordx4 v[18:21], v[4:5], off
	s_waitcnt vmcnt(0)
	v_sub_co_u32_e32 v4, vcc, v20, v18
	v_subb_co_u32_e32 v5, vcc, v21, v19, vcc
	v_cmp_lt_i64_e32 vcc, 16, v[4:5]
	s_and_saveexec_b64 s[38:39], vcc
	s_xor_b64 s[38:39], exec, s[38:39]
	s_cbranch_execz .LBB238_41
; %bb.4:                                ;   in Loop: Header=BB238_3 Depth=1
	v_cmp_lt_u64_e32 vcc, 32, v[4:5]
	s_and_saveexec_b64 s[40:41], vcc
	s_xor_b64 s[40:41], exec, s[40:41]
	s_cbranch_execz .LBB238_38
; %bb.5:                                ;   in Loop: Header=BB238_3 Depth=1
	v_cmp_lt_u64_e32 vcc, s[12:13], v[4:5]
	;; [unrolled: 5-line block ×5, first 2 shown]
	s_and_saveexec_b64 s[48:49], vcc
	s_xor_b64 s[48:49], exec, s[48:49]
	s_cbranch_execz .LBB238_26
; %bb.9:                                ;   in Loop: Header=BB238_3 Depth=1
	v_cmp_gt_u64_e32 vcc, s[20:21], v[4:5]
	s_and_b64 s[50:51], s[22:23], vcc
	s_and_saveexec_b64 s[52:53], s[50:51]
	s_xor_b64 s[50:51], exec, s[52:53]
	s_cbranch_execz .LBB238_11
; %bb.10:                               ;   in Loop: Header=BB238_3 Depth=1
	ds_read_b32 v18, v1 offset:24
	v_lshlrev_b64 v[4:5], 2, v[2:3]
	v_mov_b32_e32 v19, s11
	v_add_co_u32_e32 v4, vcc, s10, v4
	s_waitcnt lgkmcnt(0)
	v_add_u32_e32 v18, 1, v18
	v_addc_co_u32_e32 v5, vcc, v19, v5, vcc
	ds_write_b32 v1, v18 offset:24
	global_store_dword v[4:5], v8, off
                                        ; implicit-def: $vgpr4_vgpr5
.LBB238_11:                             ;   in Loop: Header=BB238_3 Depth=1
	s_andn2_saveexec_b64 s[50:51], s[50:51]
	s_cbranch_execz .LBB238_25
; %bb.12:                               ;   in Loop: Header=BB238_3 Depth=1
	v_cmp_gt_u64_e32 vcc, s[24:25], v[4:5]
	s_and_b64 s[52:53], s[26:27], vcc
	s_and_saveexec_b64 s[54:55], s[52:53]
	s_xor_b64 s[52:53], exec, s[54:55]
	s_cbranch_execz .LBB238_14
; %bb.13:                               ;   in Loop: Header=BB238_3 Depth=1
	ds_read_b32 v18, v1 offset:28
	v_lshlrev_b64 v[4:5], 2, v[2:3]
	v_mov_b32_e32 v19, s11
	v_add_co_u32_e32 v4, vcc, s10, v4
	s_waitcnt lgkmcnt(0)
	v_add_u32_e32 v18, 1, v18
	v_addc_co_u32_e32 v5, vcc, v19, v5, vcc
	ds_write_b32 v1, v18 offset:28
	global_store_dword v[4:5], v9, off
                                        ; implicit-def: $vgpr4_vgpr5
.LBB238_14:                             ;   in Loop: Header=BB238_3 Depth=1
	s_andn2_saveexec_b64 s[52:53], s[52:53]
	s_cbranch_execz .LBB238_24
; %bb.15:                               ;   in Loop: Header=BB238_3 Depth=1
	;; [unrolled: 20-line block ×3, first 2 shown]
	v_cmp_gt_u64_e32 vcc, s[34:35], v[4:5]
	v_lshlrev_b64 v[4:5], 2, v[2:3]
	s_and_b64 s[56:57], s[36:37], vcc
	v_mov_b32_e32 v18, s11
	v_add_co_u32_e32 v4, vcc, s10, v4
	v_addc_co_u32_e32 v5, vcc, v18, v5, vcc
	s_and_saveexec_b64 s[58:59], s[56:57]
	s_xor_b64 s[56:57], exec, s[58:59]
	s_cbranch_execz .LBB238_20
; %bb.19:                               ;   in Loop: Header=BB238_3 Depth=1
	ds_read_b32 v18, v1 offset:36
	global_store_dword v[4:5], v11, off
                                        ; implicit-def: $vgpr4_vgpr5
	s_waitcnt lgkmcnt(0)
	v_add_u32_e32 v18, 1, v18
	ds_write_b32 v1, v18 offset:36
.LBB238_20:                             ;   in Loop: Header=BB238_3 Depth=1
	s_andn2_saveexec_b64 s[56:57], s[56:57]
	s_cbranch_execz .LBB238_22
; %bb.21:                               ;   in Loop: Header=BB238_3 Depth=1
	ds_read_b32 v18, v1 offset:40
	global_store_dword v[4:5], v12, off
	s_waitcnt lgkmcnt(0)
	v_add_u32_e32 v18, 1, v18
	ds_write_b32 v1, v18 offset:40
.LBB238_22:                             ;   in Loop: Header=BB238_3 Depth=1
	s_or_b64 exec, exec, s[56:57]
.LBB238_23:                             ;   in Loop: Header=BB238_3 Depth=1
	s_or_b64 exec, exec, s[54:55]
.LBB238_24:                             ;   in Loop: Header=BB238_3 Depth=1
	s_or_b64 exec, exec, s[52:53]
.LBB238_25:                             ;   in Loop: Header=BB238_3 Depth=1
	s_or_b64 exec, exec, s[50:51]
.LBB238_26:                             ;   in Loop: Header=BB238_3 Depth=1
	s_andn2_saveexec_b64 s[48:49], s[48:49]
	s_cbranch_execz .LBB238_28
; %bb.27:                               ;   in Loop: Header=BB238_3 Depth=1
	ds_read_b32 v18, v1 offset:20
	v_lshlrev_b64 v[4:5], 2, v[2:3]
	v_mov_b32_e32 v19, s11
	v_add_co_u32_e32 v4, vcc, s10, v4
	s_waitcnt lgkmcnt(0)
	v_add_u32_e32 v18, 1, v18
	v_addc_co_u32_e32 v5, vcc, v19, v5, vcc
	ds_write_b32 v1, v18 offset:20
	global_store_dword v[4:5], v13, off
.LBB238_28:                             ;   in Loop: Header=BB238_3 Depth=1
	s_or_b64 exec, exec, s[48:49]
.LBB238_29:                             ;   in Loop: Header=BB238_3 Depth=1
	s_andn2_saveexec_b64 s[46:47], s[46:47]
	s_cbranch_execz .LBB238_31
; %bb.30:                               ;   in Loop: Header=BB238_3 Depth=1
	ds_read_b32 v18, v1 offset:16
	v_lshlrev_b64 v[4:5], 2, v[2:3]
	v_mov_b32_e32 v19, s11
	v_add_co_u32_e32 v4, vcc, s10, v4
	s_waitcnt lgkmcnt(0)
	v_add_u32_e32 v18, 1, v18
	v_addc_co_u32_e32 v5, vcc, v19, v5, vcc
	ds_write_b32 v1, v18 offset:16
	global_store_dword v[4:5], v14, off
.LBB238_31:                             ;   in Loop: Header=BB238_3 Depth=1
	s_or_b64 exec, exec, s[46:47]
.LBB238_32:                             ;   in Loop: Header=BB238_3 Depth=1
	s_andn2_saveexec_b64 s[44:45], s[44:45]
	s_cbranch_execz .LBB238_34
; %bb.33:                               ;   in Loop: Header=BB238_3 Depth=1
	ds_read_b32 v18, v1 offset:12
	v_lshlrev_b64 v[4:5], 2, v[2:3]
	v_mov_b32_e32 v19, s11
	v_add_co_u32_e32 v4, vcc, s10, v4
	s_waitcnt lgkmcnt(0)
	v_add_u32_e32 v18, 1, v18
	v_addc_co_u32_e32 v5, vcc, v19, v5, vcc
	ds_write_b32 v1, v18 offset:12
	global_store_dword v[4:5], v15, off
.LBB238_34:                             ;   in Loop: Header=BB238_3 Depth=1
	s_or_b64 exec, exec, s[44:45]
.LBB238_35:                             ;   in Loop: Header=BB238_3 Depth=1
	s_andn2_saveexec_b64 s[42:43], s[42:43]
	s_cbranch_execz .LBB238_37
; %bb.36:                               ;   in Loop: Header=BB238_3 Depth=1
	ds_read_b32 v18, v1 offset:8
	v_lshlrev_b64 v[4:5], 2, v[2:3]
	v_mov_b32_e32 v19, s11
	v_add_co_u32_e32 v4, vcc, s10, v4
	s_waitcnt lgkmcnt(0)
	v_add_u32_e32 v18, 1, v18
	v_addc_co_u32_e32 v5, vcc, v19, v5, vcc
	ds_write_b32 v1, v18 offset:8
	global_store_dword v[4:5], v16, off
.LBB238_37:                             ;   in Loop: Header=BB238_3 Depth=1
	s_or_b64 exec, exec, s[42:43]
.LBB238_38:                             ;   in Loop: Header=BB238_3 Depth=1
	s_andn2_saveexec_b64 s[40:41], s[40:41]
	s_cbranch_execz .LBB238_40
; %bb.39:                               ;   in Loop: Header=BB238_3 Depth=1
	ds_read_b32 v18, v1 offset:4
	v_lshlrev_b64 v[4:5], 2, v[2:3]
	v_mov_b32_e32 v19, s11
	v_add_co_u32_e32 v4, vcc, s10, v4
	s_waitcnt lgkmcnt(0)
	v_add_u32_e32 v18, 1, v18
	v_addc_co_u32_e32 v5, vcc, v19, v5, vcc
	ds_write_b32 v1, v18 offset:4
	global_store_dword v[4:5], v17, off
.LBB238_40:                             ;   in Loop: Header=BB238_3 Depth=1
	s_or_b64 exec, exec, s[40:41]
.LBB238_41:                             ;   in Loop: Header=BB238_3 Depth=1
	s_andn2_saveexec_b64 s[38:39], s[38:39]
	s_cbranch_execz .LBB238_2
; %bb.42:                               ;   in Loop: Header=BB238_3 Depth=1
	ds_read_b32 v18, v1
	v_lshlrev_b64 v[4:5], 2, v[2:3]
	v_mov_b32_e32 v3, s11
	v_add_co_u32_e32 v4, vcc, s10, v4
	s_waitcnt lgkmcnt(0)
	v_add_u32_e32 v18, 1, v18
	v_addc_co_u32_e32 v5, vcc, v3, v5, vcc
	ds_write_b32 v1, v18
	global_store_dword v[4:5], v6, off
	s_branch .LBB238_2
.LBB238_43:
	s_or_b64 exec, exec, s[2:3]
	s_movk_i32 s2, 0x80
	v_cmp_gt_u32_e32 vcc, s2, v0
	s_waitcnt lgkmcnt(0)
	s_barrier
	s_barrier
	;; [unrolled: 1-line block ×3, first 2 shown]
	s_and_saveexec_b64 s[2:3], vcc
	s_cbranch_execz .LBB238_45
; %bb.44:
	v_add_u32_e32 v2, 0x1600, v1
	v_add_u32_e32 v4, 0x1608, v1
	v_add_u32_e32 v6, 0x1610, v1
	ds_read2_b32 v[2:3], v2 offset1:1
	ds_read2_b32 v[4:5], v4 offset1:1
	;; [unrolled: 1-line block ×4, first 2 shown]
	ds_read2_b32 v[10:11], v1 offset0:2 offset1:3
	ds_read2_b32 v[12:13], v1 offset0:4 offset1:5
	;; [unrolled: 1-line block ×4, first 2 shown]
	s_waitcnt lgkmcnt(4)
	v_add_u32_e32 v3, v9, v3
	v_add_u32_e32 v2, v8, v2
	ds_write2_b32 v1, v2, v3 offset1:1
	s_waitcnt lgkmcnt(4)
	v_add_u32_e32 v2, v11, v5
	v_add_u32_e32 v3, v10, v4
	ds_write2_b32 v1, v3, v2 offset0:2 offset1:3
	v_add_u32_e32 v2, 0x1618, v1
	ds_read2_b32 v[2:3], v2 offset1:1
	s_waitcnt lgkmcnt(5)
	v_add_u32_e32 v4, v13, v7
	v_add_u32_e32 v5, v12, v6
	ds_write2_b32 v1, v5, v4 offset0:4 offset1:5
	v_add_u32_e32 v4, 0x1620, v1
	ds_read2_b32 v[4:5], v4 offset1:1
	s_waitcnt lgkmcnt(2)
	v_add_u32_e32 v7, v14, v2
	v_add_u32_e32 v2, 40, v1
	;; [unrolled: 1-line block ×3, first 2 shown]
	ds_read2st64_b32 v[2:3], v2 offset1:22
	s_waitcnt lgkmcnt(1)
	v_add_u32_e32 v5, v17, v5
	v_add_u32_e32 v4, v16, v4
	ds_write2_b32 v1, v7, v6 offset0:6 offset1:7
	ds_write2_b32 v1, v4, v5 offset0:8 offset1:9
	s_waitcnt lgkmcnt(2)
	v_add_u32_e32 v2, v2, v3
	ds_write_b32 v1, v2 offset:40
.LBB238_45:
	s_or_b64 exec, exec, s[2:3]
	v_cmp_gt_u32_e32 vcc, 64, v0
	s_waitcnt lgkmcnt(0)
	s_barrier
	s_and_saveexec_b64 s[2:3], vcc
	s_cbranch_execz .LBB238_47
; %bb.46:
	v_add_u32_e32 v2, 0xb00, v1
	v_add_u32_e32 v4, 0xb08, v1
	;; [unrolled: 1-line block ×3, first 2 shown]
	ds_read2_b32 v[2:3], v2 offset1:1
	ds_read2_b32 v[4:5], v4 offset1:1
	;; [unrolled: 1-line block ×4, first 2 shown]
	ds_read2_b32 v[10:11], v1 offset0:2 offset1:3
	ds_read2_b32 v[12:13], v1 offset0:4 offset1:5
	;; [unrolled: 1-line block ×4, first 2 shown]
	s_waitcnt lgkmcnt(4)
	v_add_u32_e32 v3, v9, v3
	v_add_u32_e32 v2, v8, v2
	ds_write2_b32 v1, v2, v3 offset1:1
	s_waitcnt lgkmcnt(4)
	v_add_u32_e32 v2, v11, v5
	v_add_u32_e32 v3, v10, v4
	ds_write2_b32 v1, v3, v2 offset0:2 offset1:3
	v_add_u32_e32 v2, 0xb18, v1
	ds_read2_b32 v[2:3], v2 offset1:1
	s_waitcnt lgkmcnt(5)
	v_add_u32_e32 v4, v13, v7
	v_add_u32_e32 v5, v12, v6
	ds_write2_b32 v1, v5, v4 offset0:4 offset1:5
	v_add_u32_e32 v4, 0xb20, v1
	ds_read2_b32 v[4:5], v4 offset1:1
	s_waitcnt lgkmcnt(2)
	v_add_u32_e32 v7, v14, v2
	v_add_u32_e32 v2, 40, v1
	;; [unrolled: 1-line block ×3, first 2 shown]
	ds_read2st64_b32 v[2:3], v2 offset1:11
	s_waitcnt lgkmcnt(1)
	v_add_u32_e32 v5, v17, v5
	v_add_u32_e32 v4, v16, v4
	ds_write2_b32 v1, v7, v6 offset0:6 offset1:7
	ds_write2_b32 v1, v4, v5 offset0:8 offset1:9
	s_waitcnt lgkmcnt(2)
	v_add_u32_e32 v2, v2, v3
	ds_write_b32 v1, v2 offset:40
.LBB238_47:
	s_or_b64 exec, exec, s[2:3]
	v_cmp_gt_u32_e32 vcc, 32, v0
	s_waitcnt lgkmcnt(0)
	s_barrier
	s_and_saveexec_b64 s[2:3], vcc
	s_cbranch_execz .LBB238_49
; %bb.48:
	v_add_u32_e32 v2, 0x580, v1
	ds_read2_b32 v[2:3], v2 offset1:1
	ds_read2_b32 v[4:5], v1 offset1:1
	ds_read2_b32 v[6:7], v1 offset0:2 offset1:3
	ds_read2_b32 v[8:9], v1 offset0:4 offset1:5
	;; [unrolled: 1-line block ×3, first 2 shown]
	ds_read_b32 v16, v1 offset:1448
	s_waitcnt lgkmcnt(4)
	v_add_u32_e32 v3, v5, v3
	v_add_u32_e32 v2, v4, v2
	ds_write2_b32 v1, v2, v3 offset1:1
	v_add_u32_e32 v2, 0x588, v1
	ds_read2_b32 v[2:3], v2 offset1:1
	v_add_u32_e32 v4, 0x590, v1
	v_add_u32_e32 v12, 0x598, v1
	;; [unrolled: 1-line block ×3, first 2 shown]
	ds_read2_b32 v[4:5], v4 offset1:1
	ds_read2_b32 v[12:13], v12 offset1:1
	;; [unrolled: 1-line block ×3, first 2 shown]
	s_waitcnt lgkmcnt(3)
	v_add_u32_e32 v3, v7, v3
	v_add_u32_e32 v2, v6, v2
	ds_write2_b32 v1, v2, v3 offset0:2 offset1:3
	s_waitcnt lgkmcnt(3)
	v_add_u32_e32 v2, v9, v5
	v_add_u32_e32 v3, v8, v4
	ds_write2_b32 v1, v3, v2 offset0:4 offset1:5
	ds_read2_b32 v[2:3], v1 offset0:8 offset1:9
	ds_read_b32 v6, v1 offset:40
	s_waitcnt lgkmcnt(5)
	v_add_u32_e32 v4, v11, v13
	v_add_u32_e32 v5, v10, v12
	ds_write2_b32 v1, v5, v4 offset0:6 offset1:7
	s_waitcnt lgkmcnt(2)
	v_add_u32_e32 v3, v3, v15
	v_add_u32_e32 v2, v2, v14
	ds_write2_b32 v1, v2, v3 offset0:8 offset1:9
	s_waitcnt lgkmcnt(2)
	v_add_u32_e32 v2, v6, v16
	ds_write_b32 v1, v2 offset:40
.LBB238_49:
	s_or_b64 exec, exec, s[2:3]
	v_cmp_gt_u32_e32 vcc, 16, v0
	s_waitcnt lgkmcnt(0)
	s_barrier
	s_and_saveexec_b64 s[2:3], vcc
	s_cbranch_execz .LBB238_51
; %bb.50:
	ds_read2_b32 v[2:3], v1 offset0:176 offset1:177
	ds_read2_b32 v[4:5], v1 offset0:178 offset1:179
	ds_read2_b32 v[6:7], v1 offset0:180 offset1:181
	ds_read2_b32 v[8:9], v1 offset1:1
	ds_read2_b32 v[10:11], v1 offset0:2 offset1:3
	ds_read2_b32 v[12:13], v1 offset0:4 offset1:5
	ds_read2_b32 v[14:15], v1 offset0:6 offset1:7
	ds_read2_b32 v[16:17], v1 offset0:8 offset1:9
	s_waitcnt lgkmcnt(4)
	v_add_u32_e32 v3, v9, v3
	v_add_u32_e32 v2, v8, v2
	ds_write2_b32 v1, v2, v3 offset1:1
	s_waitcnt lgkmcnt(4)
	v_add_u32_e32 v2, v11, v5
	v_add_u32_e32 v3, v10, v4
	ds_write2_b32 v1, v3, v2 offset0:2 offset1:3
	ds_read2_b32 v[2:3], v1 offset0:182 offset1:183
	s_waitcnt lgkmcnt(5)
	v_add_u32_e32 v4, v13, v7
	v_add_u32_e32 v5, v12, v6
	ds_write2_b32 v1, v5, v4 offset0:4 offset1:5
	ds_read2_b32 v[4:5], v1 offset0:184 offset1:185
	s_waitcnt lgkmcnt(2)
	v_add_u32_e32 v6, v15, v3
	v_add_u32_e32 v7, v14, v2
	ds_read2_b32 v[2:3], v1 offset0:10 offset1:186
	ds_write2_b32 v1, v7, v6 offset0:6 offset1:7
	s_waitcnt lgkmcnt(2)
	v_add_u32_e32 v5, v17, v5
	v_add_u32_e32 v4, v16, v4
	ds_write2_b32 v1, v4, v5 offset0:8 offset1:9
	s_waitcnt lgkmcnt(2)
	v_add_u32_e32 v2, v2, v3
	ds_write_b32 v1, v2 offset:40
.LBB238_51:
	s_or_b64 exec, exec, s[2:3]
	v_cmp_gt_u32_e32 vcc, 8, v0
	s_waitcnt lgkmcnt(0)
	s_barrier
	s_and_saveexec_b64 s[2:3], vcc
	s_cbranch_execz .LBB238_53
; %bb.52:
	ds_read2_b32 v[2:3], v1 offset0:88 offset1:89
	ds_read2_b32 v[4:5], v1 offset0:90 offset1:91
	ds_read2_b32 v[6:7], v1 offset0:92 offset1:93
	ds_read2_b32 v[8:9], v1 offset1:1
	ds_read2_b32 v[10:11], v1 offset0:2 offset1:3
	ds_read2_b32 v[12:13], v1 offset0:4 offset1:5
	ds_read2_b32 v[14:15], v1 offset0:6 offset1:7
	ds_read2_b32 v[16:17], v1 offset0:8 offset1:9
	s_waitcnt lgkmcnt(4)
	v_add_u32_e32 v3, v9, v3
	v_add_u32_e32 v2, v8, v2
	ds_write2_b32 v1, v2, v3 offset1:1
	s_waitcnt lgkmcnt(4)
	v_add_u32_e32 v2, v11, v5
	v_add_u32_e32 v3, v10, v4
	ds_write2_b32 v1, v3, v2 offset0:2 offset1:3
	ds_read2_b32 v[2:3], v1 offset0:94 offset1:95
	s_waitcnt lgkmcnt(5)
	v_add_u32_e32 v4, v13, v7
	v_add_u32_e32 v5, v12, v6
	ds_write2_b32 v1, v5, v4 offset0:4 offset1:5
	ds_read2_b32 v[4:5], v1 offset0:96 offset1:97
	s_waitcnt lgkmcnt(2)
	v_add_u32_e32 v6, v15, v3
	v_add_u32_e32 v7, v14, v2
	ds_read2_b32 v[2:3], v1 offset0:10 offset1:98
	ds_write2_b32 v1, v7, v6 offset0:6 offset1:7
	s_waitcnt lgkmcnt(2)
	v_add_u32_e32 v5, v17, v5
	v_add_u32_e32 v4, v16, v4
	ds_write2_b32 v1, v4, v5 offset0:8 offset1:9
	s_waitcnt lgkmcnt(2)
	v_add_u32_e32 v2, v2, v3
	ds_write_b32 v1, v2 offset:40
.LBB238_53:
	;; [unrolled: 42-line block ×4, first 2 shown]
	s_or_b64 exec, exec, s[2:3]
	v_cmp_eq_u32_e32 vcc, 0, v0
	s_waitcnt lgkmcnt(0)
	s_barrier
	s_and_saveexec_b64 s[2:3], vcc
	s_cbranch_execz .LBB238_59
; %bb.58:
	v_mov_b32_e32 v1, 0
	ds_read2_b32 v[14:15], v1 offset0:11 offset1:12
	ds_read_b128 v[2:5], v1
	ds_read_b128 v[6:9], v1 offset:16
	ds_read_b96 v[10:12], v1 offset:32
	ds_read2_b32 v[16:17], v1 offset0:13 offset1:14
	s_waitcnt lgkmcnt(3)
	v_add_u32_e32 v3, v3, v15
	v_add_u32_e32 v2, v2, v14
	ds_read2_b32 v[14:15], v1 offset0:15 offset1:16
	ds_read2_b32 v[18:19], v1 offset0:17 offset1:18
	;; [unrolled: 1-line block ×3, first 2 shown]
	s_waitcnt lgkmcnt(3)
	v_add_u32_e32 v5, v5, v17
	v_add_u32_e32 v4, v4, v16
	ds_write_b128 v1, v[2:5]
	s_waitcnt lgkmcnt(3)
	v_add_u32_e32 v2, v6, v14
	ds_read_b32 v6, v1 offset:84
	v_add_u32_e32 v3, v7, v15
	s_waitcnt lgkmcnt(3)
	v_add_u32_e32 v5, v9, v19
	v_add_u32_e32 v4, v8, v18
	ds_write_b128 v1, v[2:5] offset:16
	s_waitcnt lgkmcnt(3)
	v_add_u32_e32 v3, v11, v21
	v_add_u32_e32 v2, v10, v20
	s_waitcnt lgkmcnt(1)
	v_add_u32_e32 v4, v12, v6
	ds_write_b96 v1, v[2:4] offset:32
.LBB238_59:
	s_or_b64 exec, exec, s[2:3]
	v_cmp_gt_u32_e32 vcc, 11, v0
	s_waitcnt lgkmcnt(0)
	s_barrier
	s_and_saveexec_b64 s[2:3], vcc
	s_cbranch_execz .LBB238_61
; %bb.60:
	v_mad_u64_u32 v[2:3], s[2:3], s6, 11, v[0:1]
	v_lshlrev_b32_e32 v0, 2, v0
	ds_read_b32 v4, v0
	v_mov_b32_e32 v3, 0
	v_lshlrev_b64 v[2:3], 2, v[2:3]
	v_mov_b32_e32 v1, s1
	v_add_co_u32_e32 v0, vcc, s0, v2
	v_addc_co_u32_e32 v1, vcc, v1, v3, vcc
	s_waitcnt lgkmcnt(0)
	global_store_dword v[0:1], v4, off
.LBB238_61:
	s_endpgm
	.section	.rodata,"a",@progbits
	.p2align	6, 0x0
	.amdhsa_kernel _ZN9rocsparseL26csrgemm_group_reduce_part2ILj256ELj11E21rocsparse_complex_numIdEliEEvT3_PKT2_PS3_Pij
		.amdhsa_group_segment_fixed_size 11264
		.amdhsa_private_segment_fixed_size 0
		.amdhsa_kernarg_size 296
		.amdhsa_user_sgpr_count 6
		.amdhsa_user_sgpr_private_segment_buffer 1
		.amdhsa_user_sgpr_dispatch_ptr 0
		.amdhsa_user_sgpr_queue_ptr 0
		.amdhsa_user_sgpr_kernarg_segment_ptr 1
		.amdhsa_user_sgpr_dispatch_id 0
		.amdhsa_user_sgpr_flat_scratch_init 0
		.amdhsa_user_sgpr_kernarg_preload_length 0
		.amdhsa_user_sgpr_kernarg_preload_offset 0
		.amdhsa_user_sgpr_private_segment_size 0
		.amdhsa_uses_dynamic_stack 0
		.amdhsa_system_sgpr_private_segment_wavefront_offset 0
		.amdhsa_system_sgpr_workgroup_id_x 1
		.amdhsa_system_sgpr_workgroup_id_y 0
		.amdhsa_system_sgpr_workgroup_id_z 0
		.amdhsa_system_sgpr_workgroup_info 0
		.amdhsa_system_vgpr_workitem_id 0
		.amdhsa_next_free_vgpr 22
		.amdhsa_next_free_sgpr 60
		.amdhsa_accum_offset 24
		.amdhsa_reserve_vcc 1
		.amdhsa_reserve_flat_scratch 0
		.amdhsa_float_round_mode_32 0
		.amdhsa_float_round_mode_16_64 0
		.amdhsa_float_denorm_mode_32 3
		.amdhsa_float_denorm_mode_16_64 3
		.amdhsa_dx10_clamp 1
		.amdhsa_ieee_mode 1
		.amdhsa_fp16_overflow 0
		.amdhsa_tg_split 0
		.amdhsa_exception_fp_ieee_invalid_op 0
		.amdhsa_exception_fp_denorm_src 0
		.amdhsa_exception_fp_ieee_div_zero 0
		.amdhsa_exception_fp_ieee_overflow 0
		.amdhsa_exception_fp_ieee_underflow 0
		.amdhsa_exception_fp_ieee_inexact 0
		.amdhsa_exception_int_div_zero 0
	.end_amdhsa_kernel
	.section	.text._ZN9rocsparseL26csrgemm_group_reduce_part2ILj256ELj11E21rocsparse_complex_numIdEliEEvT3_PKT2_PS3_Pij,"axG",@progbits,_ZN9rocsparseL26csrgemm_group_reduce_part2ILj256ELj11E21rocsparse_complex_numIdEliEEvT3_PKT2_PS3_Pij,comdat
.Lfunc_end238:
	.size	_ZN9rocsparseL26csrgemm_group_reduce_part2ILj256ELj11E21rocsparse_complex_numIdEliEEvT3_PKT2_PS3_Pij, .Lfunc_end238-_ZN9rocsparseL26csrgemm_group_reduce_part2ILj256ELj11E21rocsparse_complex_numIdEliEEvT3_PKT2_PS3_Pij
                                        ; -- End function
	.section	.AMDGPU.csdata,"",@progbits
; Kernel info:
; codeLenInByte = 3256
; NumSgprs: 64
; NumVgprs: 22
; NumAgprs: 0
; TotalNumVgprs: 22
; ScratchSize: 0
; MemoryBound: 0
; FloatMode: 240
; IeeeMode: 1
; LDSByteSize: 11264 bytes/workgroup (compile time only)
; SGPRBlocks: 7
; VGPRBlocks: 2
; NumSGPRsForWavesPerEU: 64
; NumVGPRsForWavesPerEU: 22
; AccumOffset: 24
; Occupancy: 5
; WaveLimiterHint : 0
; COMPUTE_PGM_RSRC2:SCRATCH_EN: 0
; COMPUTE_PGM_RSRC2:USER_SGPR: 6
; COMPUTE_PGM_RSRC2:TRAP_HANDLER: 0
; COMPUTE_PGM_RSRC2:TGID_X_EN: 1
; COMPUTE_PGM_RSRC2:TGID_Y_EN: 0
; COMPUTE_PGM_RSRC2:TGID_Z_EN: 0
; COMPUTE_PGM_RSRC2:TIDIG_COMP_CNT: 0
; COMPUTE_PGM_RSRC3_GFX90A:ACCUM_OFFSET: 5
; COMPUTE_PGM_RSRC3_GFX90A:TG_SPLIT: 0
	.section	.text._ZN9rocsparseL23csrgemm_fill_wf_per_rowILj256ELj8ELj16ELj137Eli21rocsparse_complex_numIdEEEvT4_S3_PKS3_S5_NS_24const_host_device_scalarIT5_EEPKT3_S5_PKS7_SB_S5_SD_S8_SB_S5_SD_SB_PS3_PS7_21rocsparse_index_base_SG_SG_SG_bbb,"axG",@progbits,_ZN9rocsparseL23csrgemm_fill_wf_per_rowILj256ELj8ELj16ELj137Eli21rocsparse_complex_numIdEEEvT4_S3_PKS3_S5_NS_24const_host_device_scalarIT5_EEPKT3_S5_PKS7_SB_S5_SD_S8_SB_S5_SD_SB_PS3_PS7_21rocsparse_index_base_SG_SG_SG_bbb,comdat
	.globl	_ZN9rocsparseL23csrgemm_fill_wf_per_rowILj256ELj8ELj16ELj137Eli21rocsparse_complex_numIdEEEvT4_S3_PKS3_S5_NS_24const_host_device_scalarIT5_EEPKT3_S5_PKS7_SB_S5_SD_S8_SB_S5_SD_SB_PS3_PS7_21rocsparse_index_base_SG_SG_SG_bbb ; -- Begin function _ZN9rocsparseL23csrgemm_fill_wf_per_rowILj256ELj8ELj16ELj137Eli21rocsparse_complex_numIdEEEvT4_S3_PKS3_S5_NS_24const_host_device_scalarIT5_EEPKT3_S5_PKS7_SB_S5_SD_S8_SB_S5_SD_SB_PS3_PS7_21rocsparse_index_base_SG_SG_SG_bbb
	.p2align	8
	.type	_ZN9rocsparseL23csrgemm_fill_wf_per_rowILj256ELj8ELj16ELj137Eli21rocsparse_complex_numIdEEEvT4_S3_PKS3_S5_NS_24const_host_device_scalarIT5_EEPKT3_S5_PKS7_SB_S5_SD_S8_SB_S5_SD_SB_PS3_PS7_21rocsparse_index_base_SG_SG_SG_bbb,@function
_ZN9rocsparseL23csrgemm_fill_wf_per_rowILj256ELj8ELj16ELj137Eli21rocsparse_complex_numIdEEEvT4_S3_PKS3_S5_NS_24const_host_device_scalarIT5_EEPKT3_S5_PKS7_SB_S5_SD_S8_SB_S5_SD_SB_PS3_PS7_21rocsparse_index_base_SG_SG_SG_bbb: ; @_ZN9rocsparseL23csrgemm_fill_wf_per_rowILj256ELj8ELj16ELj137Eli21rocsparse_complex_numIdEEEvT4_S3_PKS3_S5_NS_24const_host_device_scalarIT5_EEPKT3_S5_PKS7_SB_S5_SD_S8_SB_S5_SD_SB_PS3_PS7_21rocsparse_index_base_SG_SG_SG_bbb
; %bb.0:
	s_add_u32 flat_scratch_lo, s6, s9
	s_addc_u32 flat_scratch_hi, s7, 0
	s_load_dwordx4 s[12:15], s[4:5], 0x18
	s_load_dwordx4 s[48:51], s[4:5], 0x58
	s_add_u32 s0, s0, s9
	s_load_dword s9, s[4:5], 0xa8
	s_load_dwordx4 s[28:31], s[4:5], 0x98
	s_addc_u32 s1, s1, 0
	s_waitcnt lgkmcnt(0)
	v_mov_b32_e32 v1, s13
	buffer_store_dword v1, off, s[0:3], 0 offset:4
	s_bitcmp1_b32 s9, 0
	s_cselect_b64 s[52:53], -1, 0
	s_bitcmp1_b32 s9, 16
	v_mov_b32_e32 v1, s12
	s_cselect_b64 s[6:7], -1, 0
	buffer_store_dword v1, off, s[0:3], 0
	v_mov_b32_e32 v1, s49
	buffer_store_dword v1, off, s[0:3], 0 offset:12
	v_mov_b32_e32 v1, s48
	s_xor_b64 s[10:11], s[6:7], -1
	buffer_store_dword v1, off, s[0:3], 0 offset:8
	v_pk_mov_b32 v[4:5], 0, 0
	v_cndmask_b32_e64 v1, 0, 1, s[10:11]
	s_bitcmp0_b32 s9, 0
	v_cmp_ne_u32_e64 s[10:11], 1, v1
	v_pk_mov_b32 v[10:11], v[4:5], v[4:5] op_sel:[0,1]
	v_pk_mov_b32 v[12:13], v[4:5], v[4:5] op_sel:[0,1]
	s_cbranch_scc1 .LBB239_3
; %bb.1:
	s_mov_b64 s[16:17], src_private_base
	s_and_b64 s[18:19], s[6:7], exec
	s_cselect_b32 s16, s17, s13
	v_mov_b32_e32 v1, 0
	v_mov_b32_e32 v2, s12
	v_cndmask_b32_e64 v2, v2, v1, s[6:7]
	v_mov_b32_e32 v3, s16
	flat_load_dwordx2 v[10:11], v[2:3]
	s_and_b64 vcc, exec, s[10:11]
	v_pk_mov_b32 v[12:13], s[14:15], s[14:15] op_sel:[0,1]
	s_cbranch_vccnz .LBB239_3
; %bb.2:
	v_pk_mov_b32 v[2:3], s[12:13], s[12:13] op_sel:[0,1]
	flat_load_dwordx2 v[12:13], v[2:3] offset:8
.LBB239_3:
	s_load_dwordx4 s[36:39], s[4:5], 0x88
	s_load_dwordx8 s[12:19], s[4:5], 0x68
	s_load_dwordx4 s[40:43], s[4:5], 0x48
	s_load_dwordx4 s[44:47], s[4:5], 0x8
	s_load_dwordx8 s[20:27], s[4:5], 0x28
	s_bitcmp1_b32 s9, 8
	s_cselect_b64 s[34:35], -1, 0
	s_bfe_u32 s9, s9, 0x10008
	s_mov_b64 s[54:55], 0
	s_cmp_eq_u32 s9, 0
	v_pk_mov_b32 v[6:7], v[4:5], v[4:5] op_sel:[0,1]
	s_cbranch_scc1 .LBB239_6
; %bb.4:
	s_mov_b64 s[56:57], src_private_base
	s_and_b64 s[58:59], s[6:7], exec
	s_cselect_b32 s9, s57, s49
	v_mov_b32_e32 v1, 8
	v_mov_b32_e32 v2, s48
	v_cndmask_b32_e64 v2, v2, v1, s[6:7]
	v_mov_b32_e32 v3, s9
	flat_load_dwordx2 v[6:7], v[2:3]
	s_and_b64 vcc, exec, s[10:11]
	v_pk_mov_b32 v[4:5], s[50:51], s[50:51] op_sel:[0,1]
	s_cbranch_vccnz .LBB239_6
; %bb.5:
	v_pk_mov_b32 v[2:3], s[48:49], s[48:49] op_sel:[0,1]
	flat_load_dwordx2 v[4:5], v[2:3] offset:8
.LBB239_6:
	s_load_dwordx2 s[4:5], s[4:5], 0x0
	v_and_b32_e32 v31, 7, v0
	v_lshrrev_b32_e32 v8, 3, v0
	v_lshlrev_b32_e32 v0, 4, v31
	v_lshl_or_b32 v27, v8, 8, v0
	v_lshlrev_b32_e32 v0, 6, v8
	v_lshlrev_b32_e32 v1, 2, v31
	s_movk_i32 s6, 0x2000
	v_or_b32_e32 v26, -8, v31
	v_or3_b32 v28, v0, v1, s6
	v_mov_b32_e32 v0, 0
	s_waitcnt lgkmcnt(0)
	v_mov_b32_e32 v9, s5
	v_mov_b32_e32 v1, v0
	;; [unrolled: 1-line block ×7, first 2 shown]
.LBB239_7:                              ; =>This Inner Loop Header: Depth=1
	v_add_co_u32_e32 v16, vcc, 8, v16
	s_xor_b64 s[6:7], vcc, -1
	s_and_b64 s[6:7], exec, s[6:7]
	ds_write_b32 v14, v9
	ds_write_b128 v15, v[0:3]
	v_add_u32_e32 v15, 0x80, v15
	s_or_b64 s[54:55], s[6:7], s[54:55]
	v_add_u32_e32 v14, 32, v14
	s_andn2_b64 exec, exec, s[54:55]
	s_cbranch_execnz .LBB239_7
; %bb.8:
	s_or_b64 exec, exec, s[54:55]
	s_lshl_b32 s6, s8, 5
	s_and_b32 s6, s6, 0x1fffffe0
	v_or_b32_e32 v0, s6, v8
	v_cmp_gt_i32_e32 vcc, s4, v0
	s_waitcnt lgkmcnt(0)
	s_and_saveexec_b64 s[6:7], vcc
	s_cbranch_execz .LBB239_52
; %bb.9:
	s_cmp_eq_u64 s[46:47], 0
	s_cbranch_scc1 .LBB239_11
; %bb.10:
	s_load_dword s4, s[44:45], 0x0
	v_mov_b32_e32 v2, s47
	s_waitcnt lgkmcnt(0)
	v_add_u32_e32 v0, s4, v0
	v_ashrrev_i32_e32 v1, 31, v0
	v_lshlrev_b64 v[0:1], 2, v[0:1]
	v_add_co_u32_e32 v0, vcc, s46, v0
	v_addc_co_u32_e32 v1, vcc, v2, v1, vcc
	global_load_dword v0, v[0:1], off
.LBB239_11:
	v_mov_b32_e32 v1, 0x2000
	v_lshl_or_b32 v29, v8, 6, v1
	s_waitcnt vmcnt(0)
	v_ashrrev_i32_e32 v1, 31, v0
	v_lshlrev_b32_e32 v30, 8, v8
	s_andn2_b64 vcc, exec, s[52:53]
	v_lshlrev_b64 v[8:9], 3, v[0:1]
	s_cbranch_vccnz .LBB239_31
; %bb.12:
	v_mov_b32_e32 v1, s21
	v_add_co_u32_e32 v0, vcc, s20, v8
	v_addc_co_u32_e32 v1, vcc, v1, v9, vcc
	global_load_dwordx4 v[0:3], v[0:1], off
	v_subrev_co_u32_e32 v16, vcc, s28, v31
	v_subb_co_u32_e64 v17, s[6:7], 0, 0, vcc
	s_mov_b32 s4, 0
	s_waitcnt vmcnt(0)
	v_subrev_co_u32_e32 v14, vcc, s28, v2
	v_subbrev_co_u32_e32 v15, vcc, 0, v3, vcc
	v_add_co_u32_e32 v16, vcc, v0, v16
	v_addc_co_u32_e32 v17, vcc, v1, v17, vcc
	v_cmp_lt_i64_e32 vcc, v[16:17], v[14:15]
	s_and_saveexec_b64 s[6:7], vcc
	s_cbranch_execz .LBB239_30
; %bb.13:
	s_mov_b32 s33, s29
	s_mov_b64 s[8:9], 0
	v_mov_b32_e32 v32, s23
	v_mov_b32_e32 v33, s27
	s_branch .LBB239_15
.LBB239_14:                             ;   in Loop: Header=BB239_15 Depth=1
	s_or_b64 exec, exec, s[10:11]
	v_add_co_u32_e32 v16, vcc, 8, v16
	v_addc_co_u32_e32 v17, vcc, 0, v17, vcc
	v_cmp_ge_i64_e32 vcc, v[16:17], v[14:15]
	s_or_b64 s[8:9], vcc, s[8:9]
	s_andn2_b64 exec, exec, s[8:9]
	s_cbranch_execz .LBB239_30
.LBB239_15:                             ; =>This Loop Header: Depth=1
                                        ;     Child Loop BB239_18 Depth 2
                                        ;       Child Loop BB239_20 Depth 3
	v_lshlrev_b64 v[0:1], 2, v[16:17]
	v_add_co_u32_e32 v0, vcc, s22, v0
	v_addc_co_u32_e32 v1, vcc, v32, v1, vcc
	global_load_dword v0, v[0:1], off
	s_waitcnt vmcnt(0)
	v_subrev_u32_e32 v0, s28, v0
	v_ashrrev_i32_e32 v1, 31, v0
	v_lshlrev_b64 v[0:1], 3, v[0:1]
	v_add_co_u32_e32 v0, vcc, s26, v0
	v_addc_co_u32_e32 v1, vcc, v33, v1, vcc
	global_load_dwordx4 v[0:3], v[0:1], off
	s_waitcnt vmcnt(0)
	v_cmp_lt_i64_e32 vcc, v[0:1], v[2:3]
	s_and_saveexec_b64 s[10:11], vcc
	s_cbranch_execz .LBB239_14
; %bb.16:                               ;   in Loop: Header=BB239_15 Depth=1
	v_lshlrev_b64 v[18:19], 4, v[16:17]
	v_mov_b32_e32 v20, s25
	v_add_co_u32_e32 v18, vcc, s24, v18
	v_addc_co_u32_e32 v19, vcc, v20, v19, vcc
	global_load_dwordx4 v[22:25], v[18:19], off
	v_mov_b32_e32 v18, s4
	v_subrev_co_u32_e32 v2, vcc, s33, v2
	v_subb_co_u32_e32 v3, vcc, v3, v18, vcc
	v_subrev_co_u32_e32 v0, vcc, s33, v0
	v_subb_co_u32_e32 v1, vcc, v1, v18, vcc
	s_mov_b64 s[20:21], 0
	s_waitcnt vmcnt(0)
	v_mul_f64 v[18:19], v[24:25], -v[12:13]
	v_mul_f64 v[20:21], v[10:11], v[24:25]
	v_fmac_f64_e32 v[18:19], v[10:11], v[22:23]
	v_fmac_f64_e32 v[20:21], v[12:13], v[22:23]
	s_branch .LBB239_18
.LBB239_17:                             ;   in Loop: Header=BB239_18 Depth=2
	s_or_b64 exec, exec, s[44:45]
	v_add_co_u32_e32 v0, vcc, 1, v0
	v_addc_co_u32_e32 v1, vcc, 0, v1, vcc
	v_cmp_ge_i64_e32 vcc, v[0:1], v[2:3]
	s_or_b64 s[20:21], vcc, s[20:21]
	s_andn2_b64 exec, exec, s[20:21]
	s_cbranch_execz .LBB239_14
.LBB239_18:                             ;   Parent Loop BB239_15 Depth=1
                                        ; =>  This Loop Header: Depth=2
                                        ;       Child Loop BB239_20 Depth 3
	v_lshlrev_b64 v[22:23], 2, v[0:1]
	v_mov_b32_e32 v24, s41
	v_add_co_u32_e32 v22, vcc, s40, v22
	v_addc_co_u32_e32 v23, vcc, v24, v23, vcc
	global_load_dword v24, v[22:23], off
	v_lshlrev_b64 v[22:23], 4, v[0:1]
	v_mov_b32_e32 v25, s43
	v_add_co_u32_e32 v22, vcc, s42, v22
	v_addc_co_u32_e32 v23, vcc, v25, v23, vcc
	global_load_dwordx4 v[36:39], v[22:23], off
	s_mov_b64 s[44:45], 0
	s_waitcnt vmcnt(1)
	v_subrev_u32_e32 v34, s29, v24
	v_lshl_add_u32 v35, v34, 3, v34
	v_and_b32_e32 v35, 15, v35
	s_waitcnt vmcnt(0)
	v_mul_f64 v[22:23], v[38:39], -v[20:21]
	v_mul_f64 v[24:25], v[18:19], v[38:39]
	v_fmac_f64_e32 v[22:23], v[18:19], v[36:37]
	v_fmac_f64_e32 v[24:25], v[20:21], v[36:37]
	s_branch .LBB239_20
.LBB239_19:                             ;   in Loop: Header=BB239_20 Depth=3
	s_or_b64 exec, exec, s[46:47]
	s_xor_b64 s[46:47], s[48:49], -1
	s_and_b64 s[46:47], exec, s[46:47]
	s_or_b64 s[44:45], s[46:47], s[44:45]
	s_andn2_b64 exec, exec, s[44:45]
	s_cbranch_execz .LBB239_17
.LBB239_20:                             ;   Parent Loop BB239_15 Depth=1
                                        ;     Parent Loop BB239_18 Depth=2
                                        ; =>    This Inner Loop Header: Depth=3
	v_lshl_add_u32 v36, v35, 2, v29
	ds_read_b32 v37, v36
                                        ; implicit-def: $sgpr48_sgpr49
	s_waitcnt lgkmcnt(0)
	v_cmp_ne_u32_e32 vcc, v37, v34
	s_and_saveexec_b64 s[46:47], vcc
	s_xor_b64 s[46:47], exec, s[46:47]
	s_cbranch_execz .LBB239_28
; %bb.21:                               ;   in Loop: Header=BB239_20 Depth=3
	v_cmp_ne_u32_e32 vcc, s5, v37
                                        ; implicit-def: $sgpr48_sgpr49
	s_and_saveexec_b64 s[50:51], vcc
	s_xor_b64 s[50:51], exec, s[50:51]
; %bb.22:                               ;   in Loop: Header=BB239_20 Depth=3
	v_add_u32_e32 v35, 1, v35
	v_and_b32_e32 v35, 15, v35
	s_mov_b64 s[48:49], -1
                                        ; implicit-def: $vgpr36
; %bb.23:                               ;   in Loop: Header=BB239_20 Depth=3
	s_andn2_saveexec_b64 s[50:51], s[50:51]
	s_cbranch_execz .LBB239_27
; %bb.24:                               ;   in Loop: Header=BB239_20 Depth=3
	v_mov_b32_e32 v37, s5
	ds_cmpst_rtn_b32 v36, v36, v37, v34
	s_mov_b64 s[52:53], -1
	s_waitcnt lgkmcnt(0)
	v_cmp_eq_u32_e32 vcc, s5, v36
	s_and_saveexec_b64 s[54:55], vcc
	s_cbranch_execz .LBB239_26
; %bb.25:                               ;   in Loop: Header=BB239_20 Depth=3
	v_lshl_add_u32 v36, v35, 4, v30
	ds_add_f64 v36, v[22:23]
	ds_add_f64 v36, v[24:25] offset:8
	s_xor_b64 s[52:53], exec, -1
.LBB239_26:                             ;   in Loop: Header=BB239_20 Depth=3
	s_or_b64 exec, exec, s[54:55]
	s_andn2_b64 s[48:49], s[48:49], exec
	s_and_b64 s[52:53], s[52:53], exec
	s_or_b64 s[48:49], s[48:49], s[52:53]
.LBB239_27:                             ;   in Loop: Header=BB239_20 Depth=3
	s_or_b64 exec, exec, s[50:51]
	s_and_b64 s[48:49], s[48:49], exec
.LBB239_28:                             ;   in Loop: Header=BB239_20 Depth=3
	s_andn2_saveexec_b64 s[46:47], s[46:47]
	s_cbranch_execz .LBB239_19
; %bb.29:                               ;   in Loop: Header=BB239_20 Depth=3
	v_lshl_add_u32 v36, v35, 4, v30
	ds_add_f64 v36, v[22:23]
	ds_add_f64 v36, v[24:25] offset:8
	s_andn2_b64 s[48:49], s[48:49], exec
	s_branch .LBB239_19
.LBB239_30:
	s_or_b64 exec, exec, s[6:7]
.LBB239_31:
	s_andn2_b64 vcc, exec, s[34:35]
	s_cbranch_vccnz .LBB239_48
; %bb.32:
	v_mov_b32_e32 v1, s13
	v_add_co_u32_e32 v0, vcc, s12, v8
	v_addc_co_u32_e32 v1, vcc, v1, v9, vcc
	global_load_dwordx4 v[10:13], v[0:1], off
	v_subrev_co_u32_e32 v2, vcc, s31, v31
	v_subb_co_u32_e64 v3, s[6:7], 0, 0, vcc
	s_waitcnt vmcnt(0)
	v_subrev_co_u32_e32 v0, vcc, s31, v12
	v_subbrev_co_u32_e32 v1, vcc, 0, v13, vcc
	v_add_co_u32_e32 v2, vcc, v10, v2
	v_addc_co_u32_e32 v3, vcc, v11, v3, vcc
	v_cmp_lt_i64_e32 vcc, v[2:3], v[0:1]
	s_and_saveexec_b64 s[6:7], vcc
	s_cbranch_execz .LBB239_47
; %bb.33:
	s_mov_b64 s[8:9], 0
	v_mov_b32_e32 v14, s15
	v_mov_b32_e32 v15, s17
	s_branch .LBB239_35
.LBB239_34:                             ;   in Loop: Header=BB239_35 Depth=1
	s_or_b64 exec, exec, s[10:11]
	v_add_co_u32_e32 v2, vcc, 8, v2
	v_addc_co_u32_e32 v3, vcc, 0, v3, vcc
	v_cmp_ge_i64_e32 vcc, v[2:3], v[0:1]
	s_or_b64 s[8:9], vcc, s[8:9]
	s_andn2_b64 exec, exec, s[8:9]
	s_cbranch_execz .LBB239_47
.LBB239_35:                             ; =>This Loop Header: Depth=1
                                        ;     Child Loop BB239_37 Depth 2
	v_lshlrev_b64 v[10:11], 2, v[2:3]
	v_add_co_u32_e32 v10, vcc, s14, v10
	v_addc_co_u32_e32 v11, vcc, v14, v11, vcc
	global_load_dword v12, v[10:11], off
	v_lshlrev_b64 v[10:11], 4, v[2:3]
	v_add_co_u32_e32 v10, vcc, s16, v10
	v_addc_co_u32_e32 v11, vcc, v15, v11, vcc
	global_load_dwordx4 v[18:21], v[10:11], off
	s_mov_b64 s[10:11], 0
	s_waitcnt vmcnt(1)
	v_subrev_u32_e32 v16, s31, v12
	v_lshl_add_u32 v17, v16, 3, v16
	v_and_b32_e32 v17, 15, v17
	s_waitcnt vmcnt(0)
	v_mul_f64 v[10:11], v[20:21], -v[4:5]
	v_mul_f64 v[12:13], v[6:7], v[20:21]
	v_fmac_f64_e32 v[10:11], v[6:7], v[18:19]
	v_fmac_f64_e32 v[12:13], v[4:5], v[18:19]
	s_branch .LBB239_37
.LBB239_36:                             ;   in Loop: Header=BB239_37 Depth=2
	s_or_b64 exec, exec, s[12:13]
	s_xor_b64 s[12:13], s[20:21], -1
	s_and_b64 s[12:13], exec, s[12:13]
	s_or_b64 s[10:11], s[12:13], s[10:11]
	s_andn2_b64 exec, exec, s[10:11]
	s_cbranch_execz .LBB239_34
.LBB239_37:                             ;   Parent Loop BB239_35 Depth=1
                                        ; =>  This Inner Loop Header: Depth=2
	v_lshl_add_u32 v18, v17, 2, v29
	ds_read_b32 v19, v18
                                        ; implicit-def: $sgpr20_sgpr21
	s_waitcnt lgkmcnt(0)
	v_cmp_ne_u32_e32 vcc, v19, v16
	s_and_saveexec_b64 s[12:13], vcc
	s_xor_b64 s[12:13], exec, s[12:13]
	s_cbranch_execz .LBB239_45
; %bb.38:                               ;   in Loop: Header=BB239_37 Depth=2
	v_cmp_ne_u32_e32 vcc, s5, v19
                                        ; implicit-def: $sgpr20_sgpr21
	s_and_saveexec_b64 s[22:23], vcc
	s_xor_b64 s[22:23], exec, s[22:23]
; %bb.39:                               ;   in Loop: Header=BB239_37 Depth=2
	v_add_u32_e32 v17, 1, v17
	v_and_b32_e32 v17, 15, v17
	s_mov_b64 s[20:21], -1
                                        ; implicit-def: $vgpr18
; %bb.40:                               ;   in Loop: Header=BB239_37 Depth=2
	s_andn2_saveexec_b64 s[22:23], s[22:23]
	s_cbranch_execz .LBB239_44
; %bb.41:                               ;   in Loop: Header=BB239_37 Depth=2
	v_mov_b32_e32 v19, s5
	ds_cmpst_rtn_b32 v18, v18, v19, v16
	s_mov_b64 s[24:25], -1
	s_waitcnt lgkmcnt(0)
	v_cmp_eq_u32_e32 vcc, s5, v18
	s_and_saveexec_b64 s[26:27], vcc
	s_cbranch_execz .LBB239_43
; %bb.42:                               ;   in Loop: Header=BB239_37 Depth=2
	v_lshl_add_u32 v18, v17, 4, v30
	ds_add_f64 v18, v[10:11]
	ds_add_f64 v18, v[12:13] offset:8
	s_xor_b64 s[24:25], exec, -1
.LBB239_43:                             ;   in Loop: Header=BB239_37 Depth=2
	s_or_b64 exec, exec, s[26:27]
	s_andn2_b64 s[20:21], s[20:21], exec
	s_and_b64 s[24:25], s[24:25], exec
	s_or_b64 s[20:21], s[20:21], s[24:25]
.LBB239_44:                             ;   in Loop: Header=BB239_37 Depth=2
	s_or_b64 exec, exec, s[22:23]
	s_and_b64 s[20:21], s[20:21], exec
.LBB239_45:                             ;   in Loop: Header=BB239_37 Depth=2
	s_andn2_saveexec_b64 s[12:13], s[12:13]
	s_cbranch_execz .LBB239_36
; %bb.46:                               ;   in Loop: Header=BB239_37 Depth=2
	v_lshl_add_u32 v18, v17, 4, v30
	ds_add_f64 v18, v[10:11]
	ds_add_f64 v18, v[12:13] offset:8
	s_andn2_b64 s[20:21], s[20:21], exec
	s_branch .LBB239_36
.LBB239_47:
	s_or_b64 exec, exec, s[6:7]
.LBB239_48:
	v_mov_b32_e32 v1, s19
	v_add_co_u32_e32 v0, vcc, s18, v8
	v_addc_co_u32_e32 v1, vcc, v1, v9, vcc
	s_waitcnt lgkmcnt(0)
	global_load_dwordx2 v[0:1], v[0:1], off
	s_mov_b64 s[6:7], 0
	s_waitcnt vmcnt(0)
	v_subrev_co_u32_e32 v0, vcc, s30, v0
	v_subbrev_co_u32_e32 v1, vcc, 0, v1, vcc
	s_branch .LBB239_50
.LBB239_49:                             ;   in Loop: Header=BB239_50 Depth=1
	s_or_b64 exec, exec, s[8:9]
	v_add_co_u32_e32 v26, vcc, 8, v26
	s_xor_b64 s[8:9], vcc, -1
	s_and_b64 s[8:9], exec, s[8:9]
	v_add_u32_e32 v27, 0x80, v27
	s_or_b64 s[6:7], s[8:9], s[6:7]
	v_add_u32_e32 v28, 32, v28
	s_andn2_b64 exec, exec, s[6:7]
	s_cbranch_execz .LBB239_52
.LBB239_50:                             ; =>This Inner Loop Header: Depth=1
	ds_read_b32 v2, v28
	s_waitcnt lgkmcnt(0)
	v_cmp_gt_i32_e32 vcc, s5, v2
	s_and_saveexec_b64 s[8:9], vcc
	s_cbranch_execz .LBB239_49
; %bb.51:                               ;   in Loop: Header=BB239_50 Depth=1
	ds_read_b128 v[4:7], v29
	ds_read_b128 v[8:11], v29 offset:16
	ds_read_b128 v[12:15], v29 offset:32
	;; [unrolled: 1-line block ×3, first 2 shown]
	s_waitcnt lgkmcnt(3)
	v_cmp_gt_i32_e32 vcc, v2, v4
	v_cndmask_b32_e64 v3, 0, 1, vcc
	v_add_co_u32_e32 v3, vcc, v0, v3
	v_addc_co_u32_e32 v4, vcc, 0, v1, vcc
	v_cmp_gt_i32_e32 vcc, v2, v5
	v_cndmask_b32_e64 v5, 0, 1, vcc
	v_add_co_u32_e32 v3, vcc, v3, v5
	v_addc_co_u32_e32 v4, vcc, 0, v4, vcc
	v_cmp_gt_i32_e32 vcc, v2, v6
	v_cndmask_b32_e64 v5, 0, 1, vcc
	v_add_co_u32_e32 v3, vcc, v3, v5
	v_addc_co_u32_e32 v4, vcc, 0, v4, vcc
	v_cmp_gt_i32_e32 vcc, v2, v7
	v_cndmask_b32_e64 v5, 0, 1, vcc
	v_add_co_u32_e32 v3, vcc, v3, v5
	v_addc_co_u32_e32 v4, vcc, 0, v4, vcc
	s_waitcnt lgkmcnt(2)
	v_cmp_gt_i32_e32 vcc, v2, v8
	v_cndmask_b32_e64 v5, 0, 1, vcc
	v_add_co_u32_e32 v3, vcc, v3, v5
	v_addc_co_u32_e32 v4, vcc, 0, v4, vcc
	v_cmp_gt_i32_e32 vcc, v2, v9
	v_cndmask_b32_e64 v5, 0, 1, vcc
	v_add_co_u32_e32 v3, vcc, v3, v5
	v_addc_co_u32_e32 v4, vcc, 0, v4, vcc
	v_cmp_gt_i32_e32 vcc, v2, v10
	v_cndmask_b32_e64 v5, 0, 1, vcc
	v_add_co_u32_e32 v3, vcc, v3, v5
	v_addc_co_u32_e32 v4, vcc, 0, v4, vcc
	v_cmp_gt_i32_e32 vcc, v2, v11
	v_cndmask_b32_e64 v5, 0, 1, vcc
	v_add_co_u32_e32 v3, vcc, v3, v5
	v_addc_co_u32_e32 v4, vcc, 0, v4, vcc
	;; [unrolled: 17-line block ×4, first 2 shown]
	v_add_u32_e32 v6, s30, v2
	v_lshlrev_b64 v[2:3], 2, v[4:5]
	v_mov_b32_e32 v7, s37
	v_add_co_u32_e32 v2, vcc, s36, v2
	v_addc_co_u32_e32 v3, vcc, v7, v3, vcc
	global_store_dword v[2:3], v6, off
	v_lshlrev_b64 v[6:7], 4, v[4:5]
	ds_read2_b64 v[2:5], v27 offset1:1
	v_mov_b32_e32 v8, s39
	v_add_co_u32_e32 v6, vcc, s38, v6
	v_addc_co_u32_e32 v7, vcc, v8, v7, vcc
	s_waitcnt lgkmcnt(0)
	global_store_dwordx4 v[6:7], v[2:5], off
	s_branch .LBB239_49
.LBB239_52:
	s_endpgm
	.section	.rodata,"a",@progbits
	.p2align	6, 0x0
	.amdhsa_kernel _ZN9rocsparseL23csrgemm_fill_wf_per_rowILj256ELj8ELj16ELj137Eli21rocsparse_complex_numIdEEEvT4_S3_PKS3_S5_NS_24const_host_device_scalarIT5_EEPKT3_S5_PKS7_SB_S5_SD_S8_SB_S5_SD_SB_PS3_PS7_21rocsparse_index_base_SG_SG_SG_bbb
		.amdhsa_group_segment_fixed_size 10240
		.amdhsa_private_segment_fixed_size 24
		.amdhsa_kernarg_size 172
		.amdhsa_user_sgpr_count 8
		.amdhsa_user_sgpr_private_segment_buffer 1
		.amdhsa_user_sgpr_dispatch_ptr 0
		.amdhsa_user_sgpr_queue_ptr 0
		.amdhsa_user_sgpr_kernarg_segment_ptr 1
		.amdhsa_user_sgpr_dispatch_id 0
		.amdhsa_user_sgpr_flat_scratch_init 1
		.amdhsa_user_sgpr_kernarg_preload_length 0
		.amdhsa_user_sgpr_kernarg_preload_offset 0
		.amdhsa_user_sgpr_private_segment_size 0
		.amdhsa_uses_dynamic_stack 0
		.amdhsa_system_sgpr_private_segment_wavefront_offset 1
		.amdhsa_system_sgpr_workgroup_id_x 1
		.amdhsa_system_sgpr_workgroup_id_y 0
		.amdhsa_system_sgpr_workgroup_id_z 0
		.amdhsa_system_sgpr_workgroup_info 0
		.amdhsa_system_vgpr_workitem_id 0
		.amdhsa_next_free_vgpr 40
		.amdhsa_next_free_sgpr 60
		.amdhsa_accum_offset 40
		.amdhsa_reserve_vcc 1
		.amdhsa_reserve_flat_scratch 1
		.amdhsa_float_round_mode_32 0
		.amdhsa_float_round_mode_16_64 0
		.amdhsa_float_denorm_mode_32 3
		.amdhsa_float_denorm_mode_16_64 3
		.amdhsa_dx10_clamp 1
		.amdhsa_ieee_mode 1
		.amdhsa_fp16_overflow 0
		.amdhsa_tg_split 0
		.amdhsa_exception_fp_ieee_invalid_op 0
		.amdhsa_exception_fp_denorm_src 0
		.amdhsa_exception_fp_ieee_div_zero 0
		.amdhsa_exception_fp_ieee_overflow 0
		.amdhsa_exception_fp_ieee_underflow 0
		.amdhsa_exception_fp_ieee_inexact 0
		.amdhsa_exception_int_div_zero 0
	.end_amdhsa_kernel
	.section	.text._ZN9rocsparseL23csrgemm_fill_wf_per_rowILj256ELj8ELj16ELj137Eli21rocsparse_complex_numIdEEEvT4_S3_PKS3_S5_NS_24const_host_device_scalarIT5_EEPKT3_S5_PKS7_SB_S5_SD_S8_SB_S5_SD_SB_PS3_PS7_21rocsparse_index_base_SG_SG_SG_bbb,"axG",@progbits,_ZN9rocsparseL23csrgemm_fill_wf_per_rowILj256ELj8ELj16ELj137Eli21rocsparse_complex_numIdEEEvT4_S3_PKS3_S5_NS_24const_host_device_scalarIT5_EEPKT3_S5_PKS7_SB_S5_SD_S8_SB_S5_SD_SB_PS3_PS7_21rocsparse_index_base_SG_SG_SG_bbb,comdat
.Lfunc_end239:
	.size	_ZN9rocsparseL23csrgemm_fill_wf_per_rowILj256ELj8ELj16ELj137Eli21rocsparse_complex_numIdEEEvT4_S3_PKS3_S5_NS_24const_host_device_scalarIT5_EEPKT3_S5_PKS7_SB_S5_SD_S8_SB_S5_SD_SB_PS3_PS7_21rocsparse_index_base_SG_SG_SG_bbb, .Lfunc_end239-_ZN9rocsparseL23csrgemm_fill_wf_per_rowILj256ELj8ELj16ELj137Eli21rocsparse_complex_numIdEEEvT4_S3_PKS3_S5_NS_24const_host_device_scalarIT5_EEPKT3_S5_PKS7_SB_S5_SD_S8_SB_S5_SD_SB_PS3_PS7_21rocsparse_index_base_SG_SG_SG_bbb
                                        ; -- End function
	.section	.AMDGPU.csdata,"",@progbits
; Kernel info:
; codeLenInByte = 2296
; NumSgprs: 66
; NumVgprs: 40
; NumAgprs: 0
; TotalNumVgprs: 40
; ScratchSize: 24
; MemoryBound: 0
; FloatMode: 240
; IeeeMode: 1
; LDSByteSize: 10240 bytes/workgroup (compile time only)
; SGPRBlocks: 8
; VGPRBlocks: 4
; NumSGPRsForWavesPerEU: 66
; NumVGPRsForWavesPerEU: 40
; AccumOffset: 40
; Occupancy: 6
; WaveLimiterHint : 1
; COMPUTE_PGM_RSRC2:SCRATCH_EN: 1
; COMPUTE_PGM_RSRC2:USER_SGPR: 8
; COMPUTE_PGM_RSRC2:TRAP_HANDLER: 0
; COMPUTE_PGM_RSRC2:TGID_X_EN: 1
; COMPUTE_PGM_RSRC2:TGID_Y_EN: 0
; COMPUTE_PGM_RSRC2:TGID_Z_EN: 0
; COMPUTE_PGM_RSRC2:TIDIG_COMP_CNT: 0
; COMPUTE_PGM_RSRC3_GFX90A:ACCUM_OFFSET: 9
; COMPUTE_PGM_RSRC3_GFX90A:TG_SPLIT: 0
	.section	.text._ZN9rocsparseL23csrgemm_fill_wf_per_rowILj256ELj16ELj32ELj137Eli21rocsparse_complex_numIdEEEvT4_S3_PKS3_S5_NS_24const_host_device_scalarIT5_EEPKT3_S5_PKS7_SB_S5_SD_S8_SB_S5_SD_SB_PS3_PS7_21rocsparse_index_base_SG_SG_SG_bbb,"axG",@progbits,_ZN9rocsparseL23csrgemm_fill_wf_per_rowILj256ELj16ELj32ELj137Eli21rocsparse_complex_numIdEEEvT4_S3_PKS3_S5_NS_24const_host_device_scalarIT5_EEPKT3_S5_PKS7_SB_S5_SD_S8_SB_S5_SD_SB_PS3_PS7_21rocsparse_index_base_SG_SG_SG_bbb,comdat
	.globl	_ZN9rocsparseL23csrgemm_fill_wf_per_rowILj256ELj16ELj32ELj137Eli21rocsparse_complex_numIdEEEvT4_S3_PKS3_S5_NS_24const_host_device_scalarIT5_EEPKT3_S5_PKS7_SB_S5_SD_S8_SB_S5_SD_SB_PS3_PS7_21rocsparse_index_base_SG_SG_SG_bbb ; -- Begin function _ZN9rocsparseL23csrgemm_fill_wf_per_rowILj256ELj16ELj32ELj137Eli21rocsparse_complex_numIdEEEvT4_S3_PKS3_S5_NS_24const_host_device_scalarIT5_EEPKT3_S5_PKS7_SB_S5_SD_S8_SB_S5_SD_SB_PS3_PS7_21rocsparse_index_base_SG_SG_SG_bbb
	.p2align	8
	.type	_ZN9rocsparseL23csrgemm_fill_wf_per_rowILj256ELj16ELj32ELj137Eli21rocsparse_complex_numIdEEEvT4_S3_PKS3_S5_NS_24const_host_device_scalarIT5_EEPKT3_S5_PKS7_SB_S5_SD_S8_SB_S5_SD_SB_PS3_PS7_21rocsparse_index_base_SG_SG_SG_bbb,@function
_ZN9rocsparseL23csrgemm_fill_wf_per_rowILj256ELj16ELj32ELj137Eli21rocsparse_complex_numIdEEEvT4_S3_PKS3_S5_NS_24const_host_device_scalarIT5_EEPKT3_S5_PKS7_SB_S5_SD_S8_SB_S5_SD_SB_PS3_PS7_21rocsparse_index_base_SG_SG_SG_bbb: ; @_ZN9rocsparseL23csrgemm_fill_wf_per_rowILj256ELj16ELj32ELj137Eli21rocsparse_complex_numIdEEEvT4_S3_PKS3_S5_NS_24const_host_device_scalarIT5_EEPKT3_S5_PKS7_SB_S5_SD_S8_SB_S5_SD_SB_PS3_PS7_21rocsparse_index_base_SG_SG_SG_bbb
; %bb.0:
	s_add_u32 flat_scratch_lo, s6, s9
	s_addc_u32 flat_scratch_hi, s7, 0
	s_load_dwordx4 s[12:15], s[4:5], 0x18
	s_load_dwordx4 s[48:51], s[4:5], 0x58
	s_add_u32 s0, s0, s9
	s_load_dword s9, s[4:5], 0xa8
	s_load_dwordx4 s[28:31], s[4:5], 0x98
	s_addc_u32 s1, s1, 0
	s_waitcnt lgkmcnt(0)
	v_mov_b32_e32 v1, s13
	buffer_store_dword v1, off, s[0:3], 0 offset:4
	s_bitcmp1_b32 s9, 0
	s_cselect_b64 s[52:53], -1, 0
	s_bitcmp1_b32 s9, 16
	v_mov_b32_e32 v1, s12
	s_cselect_b64 s[6:7], -1, 0
	buffer_store_dword v1, off, s[0:3], 0
	v_mov_b32_e32 v1, s49
	buffer_store_dword v1, off, s[0:3], 0 offset:12
	v_mov_b32_e32 v1, s48
	s_xor_b64 s[10:11], s[6:7], -1
	buffer_store_dword v1, off, s[0:3], 0 offset:8
	v_pk_mov_b32 v[4:5], 0, 0
	v_cndmask_b32_e64 v1, 0, 1, s[10:11]
	s_bitcmp0_b32 s9, 0
	v_cmp_ne_u32_e64 s[10:11], 1, v1
	v_pk_mov_b32 v[10:11], v[4:5], v[4:5] op_sel:[0,1]
	v_pk_mov_b32 v[12:13], v[4:5], v[4:5] op_sel:[0,1]
	s_cbranch_scc1 .LBB240_3
; %bb.1:
	s_mov_b64 s[16:17], src_private_base
	s_and_b64 s[18:19], s[6:7], exec
	s_cselect_b32 s16, s17, s13
	v_mov_b32_e32 v1, 0
	v_mov_b32_e32 v2, s12
	v_cndmask_b32_e64 v2, v2, v1, s[6:7]
	v_mov_b32_e32 v3, s16
	flat_load_dwordx2 v[10:11], v[2:3]
	s_and_b64 vcc, exec, s[10:11]
	v_pk_mov_b32 v[12:13], s[14:15], s[14:15] op_sel:[0,1]
	s_cbranch_vccnz .LBB240_3
; %bb.2:
	v_pk_mov_b32 v[2:3], s[12:13], s[12:13] op_sel:[0,1]
	flat_load_dwordx2 v[12:13], v[2:3] offset:8
.LBB240_3:
	s_load_dwordx4 s[36:39], s[4:5], 0x88
	s_load_dwordx8 s[12:19], s[4:5], 0x68
	s_load_dwordx4 s[40:43], s[4:5], 0x48
	s_load_dwordx4 s[44:47], s[4:5], 0x8
	s_load_dwordx8 s[20:27], s[4:5], 0x28
	s_bitcmp1_b32 s9, 8
	s_cselect_b64 s[34:35], -1, 0
	s_bfe_u32 s9, s9, 0x10008
	s_mov_b64 s[54:55], 0
	s_cmp_eq_u32 s9, 0
	v_pk_mov_b32 v[6:7], v[4:5], v[4:5] op_sel:[0,1]
	s_cbranch_scc1 .LBB240_6
; %bb.4:
	s_mov_b64 s[56:57], src_private_base
	s_and_b64 s[58:59], s[6:7], exec
	s_cselect_b32 s9, s57, s49
	v_mov_b32_e32 v1, 8
	v_mov_b32_e32 v2, s48
	v_cndmask_b32_e64 v2, v2, v1, s[6:7]
	v_mov_b32_e32 v3, s9
	flat_load_dwordx2 v[6:7], v[2:3]
	s_and_b64 vcc, exec, s[10:11]
	v_pk_mov_b32 v[4:5], s[50:51], s[50:51] op_sel:[0,1]
	s_cbranch_vccnz .LBB240_6
; %bb.5:
	v_pk_mov_b32 v[2:3], s[48:49], s[48:49] op_sel:[0,1]
	flat_load_dwordx2 v[4:5], v[2:3] offset:8
.LBB240_6:
	s_load_dwordx2 s[4:5], s[4:5], 0x0
	v_and_b32_e32 v31, 15, v0
	v_lshrrev_b32_e32 v8, 4, v0
	v_lshlrev_b32_e32 v0, 4, v31
	v_lshl_or_b32 v27, v8, 9, v0
	v_lshlrev_b32_e32 v0, 7, v8
	v_lshlrev_b32_e32 v1, 2, v31
	s_movk_i32 s6, 0x2000
	v_or_b32_e32 v26, -16, v31
	v_or3_b32 v28, v0, v1, s6
	v_mov_b32_e32 v0, 0
	s_waitcnt lgkmcnt(0)
	v_mov_b32_e32 v9, s5
	v_mov_b32_e32 v1, v0
	;; [unrolled: 1-line block ×7, first 2 shown]
.LBB240_7:                              ; =>This Inner Loop Header: Depth=1
	v_add_co_u32_e32 v16, vcc, 16, v16
	s_xor_b64 s[6:7], vcc, -1
	s_and_b64 s[6:7], exec, s[6:7]
	ds_write_b32 v14, v9
	ds_write_b128 v15, v[0:3]
	v_add_u32_e32 v15, 0x100, v15
	s_or_b64 s[54:55], s[6:7], s[54:55]
	v_add_u32_e32 v14, 64, v14
	s_andn2_b64 exec, exec, s[54:55]
	s_cbranch_execnz .LBB240_7
; %bb.8:
	s_or_b64 exec, exec, s[54:55]
	s_lshl_b32 s6, s8, 4
	s_and_b32 s6, s6, 0xffffff0
	v_or_b32_e32 v0, s6, v8
	v_cmp_gt_i32_e32 vcc, s4, v0
	s_waitcnt lgkmcnt(0)
	s_and_saveexec_b64 s[6:7], vcc
	s_cbranch_execz .LBB240_52
; %bb.9:
	s_cmp_eq_u64 s[46:47], 0
	s_cbranch_scc1 .LBB240_11
; %bb.10:
	s_load_dword s4, s[44:45], 0x0
	v_mov_b32_e32 v2, s47
	s_waitcnt lgkmcnt(0)
	v_add_u32_e32 v0, s4, v0
	v_ashrrev_i32_e32 v1, 31, v0
	v_lshlrev_b64 v[0:1], 2, v[0:1]
	v_add_co_u32_e32 v0, vcc, s46, v0
	v_addc_co_u32_e32 v1, vcc, v2, v1, vcc
	global_load_dword v0, v[0:1], off
.LBB240_11:
	v_mov_b32_e32 v1, 0x2000
	v_lshl_or_b32 v29, v8, 7, v1
	s_waitcnt vmcnt(0)
	v_ashrrev_i32_e32 v1, 31, v0
	v_lshlrev_b32_e32 v30, 9, v8
	s_andn2_b64 vcc, exec, s[52:53]
	v_lshlrev_b64 v[8:9], 3, v[0:1]
	s_cbranch_vccnz .LBB240_31
; %bb.12:
	v_mov_b32_e32 v1, s21
	v_add_co_u32_e32 v0, vcc, s20, v8
	v_addc_co_u32_e32 v1, vcc, v1, v9, vcc
	global_load_dwordx4 v[0:3], v[0:1], off
	v_subrev_co_u32_e32 v16, vcc, s28, v31
	v_subb_co_u32_e64 v17, s[6:7], 0, 0, vcc
	s_mov_b32 s4, 0
	s_waitcnt vmcnt(0)
	v_subrev_co_u32_e32 v14, vcc, s28, v2
	v_subbrev_co_u32_e32 v15, vcc, 0, v3, vcc
	v_add_co_u32_e32 v16, vcc, v0, v16
	v_addc_co_u32_e32 v17, vcc, v1, v17, vcc
	v_cmp_lt_i64_e32 vcc, v[16:17], v[14:15]
	s_and_saveexec_b64 s[6:7], vcc
	s_cbranch_execz .LBB240_30
; %bb.13:
	s_mov_b32 s33, s29
	s_mov_b64 s[8:9], 0
	v_mov_b32_e32 v32, s23
	v_mov_b32_e32 v33, s27
	s_branch .LBB240_15
.LBB240_14:                             ;   in Loop: Header=BB240_15 Depth=1
	s_or_b64 exec, exec, s[10:11]
	v_add_co_u32_e32 v16, vcc, 16, v16
	v_addc_co_u32_e32 v17, vcc, 0, v17, vcc
	v_cmp_ge_i64_e32 vcc, v[16:17], v[14:15]
	s_or_b64 s[8:9], vcc, s[8:9]
	s_andn2_b64 exec, exec, s[8:9]
	s_cbranch_execz .LBB240_30
.LBB240_15:                             ; =>This Loop Header: Depth=1
                                        ;     Child Loop BB240_18 Depth 2
                                        ;       Child Loop BB240_20 Depth 3
	v_lshlrev_b64 v[0:1], 2, v[16:17]
	v_add_co_u32_e32 v0, vcc, s22, v0
	v_addc_co_u32_e32 v1, vcc, v32, v1, vcc
	global_load_dword v0, v[0:1], off
	s_waitcnt vmcnt(0)
	v_subrev_u32_e32 v0, s28, v0
	v_ashrrev_i32_e32 v1, 31, v0
	v_lshlrev_b64 v[0:1], 3, v[0:1]
	v_add_co_u32_e32 v0, vcc, s26, v0
	v_addc_co_u32_e32 v1, vcc, v33, v1, vcc
	global_load_dwordx4 v[0:3], v[0:1], off
	s_waitcnt vmcnt(0)
	v_cmp_lt_i64_e32 vcc, v[0:1], v[2:3]
	s_and_saveexec_b64 s[10:11], vcc
	s_cbranch_execz .LBB240_14
; %bb.16:                               ;   in Loop: Header=BB240_15 Depth=1
	v_lshlrev_b64 v[18:19], 4, v[16:17]
	v_mov_b32_e32 v20, s25
	v_add_co_u32_e32 v18, vcc, s24, v18
	v_addc_co_u32_e32 v19, vcc, v20, v19, vcc
	global_load_dwordx4 v[22:25], v[18:19], off
	v_mov_b32_e32 v18, s4
	v_subrev_co_u32_e32 v2, vcc, s33, v2
	v_subb_co_u32_e32 v3, vcc, v3, v18, vcc
	v_subrev_co_u32_e32 v0, vcc, s33, v0
	v_subb_co_u32_e32 v1, vcc, v1, v18, vcc
	s_mov_b64 s[20:21], 0
	s_waitcnt vmcnt(0)
	v_mul_f64 v[18:19], v[24:25], -v[12:13]
	v_mul_f64 v[20:21], v[10:11], v[24:25]
	v_fmac_f64_e32 v[18:19], v[10:11], v[22:23]
	v_fmac_f64_e32 v[20:21], v[12:13], v[22:23]
	s_branch .LBB240_18
.LBB240_17:                             ;   in Loop: Header=BB240_18 Depth=2
	s_or_b64 exec, exec, s[44:45]
	v_add_co_u32_e32 v0, vcc, 1, v0
	v_addc_co_u32_e32 v1, vcc, 0, v1, vcc
	v_cmp_ge_i64_e32 vcc, v[0:1], v[2:3]
	s_or_b64 s[20:21], vcc, s[20:21]
	s_andn2_b64 exec, exec, s[20:21]
	s_cbranch_execz .LBB240_14
.LBB240_18:                             ;   Parent Loop BB240_15 Depth=1
                                        ; =>  This Loop Header: Depth=2
                                        ;       Child Loop BB240_20 Depth 3
	v_lshlrev_b64 v[22:23], 2, v[0:1]
	v_mov_b32_e32 v24, s41
	v_add_co_u32_e32 v22, vcc, s40, v22
	v_addc_co_u32_e32 v23, vcc, v24, v23, vcc
	global_load_dword v24, v[22:23], off
	v_lshlrev_b64 v[22:23], 4, v[0:1]
	v_mov_b32_e32 v25, s43
	v_add_co_u32_e32 v22, vcc, s42, v22
	v_addc_co_u32_e32 v23, vcc, v25, v23, vcc
	global_load_dwordx4 v[36:39], v[22:23], off
	s_mov_b64 s[44:45], 0
	s_waitcnt vmcnt(1)
	v_subrev_u32_e32 v34, s29, v24
	v_lshl_add_u32 v35, v34, 3, v34
	v_and_b32_e32 v35, 31, v35
	s_waitcnt vmcnt(0)
	v_mul_f64 v[22:23], v[38:39], -v[20:21]
	v_mul_f64 v[24:25], v[18:19], v[38:39]
	v_fmac_f64_e32 v[22:23], v[18:19], v[36:37]
	v_fmac_f64_e32 v[24:25], v[20:21], v[36:37]
	s_branch .LBB240_20
.LBB240_19:                             ;   in Loop: Header=BB240_20 Depth=3
	s_or_b64 exec, exec, s[46:47]
	s_xor_b64 s[46:47], s[48:49], -1
	s_and_b64 s[46:47], exec, s[46:47]
	s_or_b64 s[44:45], s[46:47], s[44:45]
	s_andn2_b64 exec, exec, s[44:45]
	s_cbranch_execz .LBB240_17
.LBB240_20:                             ;   Parent Loop BB240_15 Depth=1
                                        ;     Parent Loop BB240_18 Depth=2
                                        ; =>    This Inner Loop Header: Depth=3
	v_lshl_add_u32 v36, v35, 2, v29
	ds_read_b32 v37, v36
                                        ; implicit-def: $sgpr48_sgpr49
	s_waitcnt lgkmcnt(0)
	v_cmp_ne_u32_e32 vcc, v37, v34
	s_and_saveexec_b64 s[46:47], vcc
	s_xor_b64 s[46:47], exec, s[46:47]
	s_cbranch_execz .LBB240_28
; %bb.21:                               ;   in Loop: Header=BB240_20 Depth=3
	v_cmp_ne_u32_e32 vcc, s5, v37
                                        ; implicit-def: $sgpr48_sgpr49
	s_and_saveexec_b64 s[50:51], vcc
	s_xor_b64 s[50:51], exec, s[50:51]
; %bb.22:                               ;   in Loop: Header=BB240_20 Depth=3
	v_add_u32_e32 v35, 1, v35
	v_and_b32_e32 v35, 31, v35
	s_mov_b64 s[48:49], -1
                                        ; implicit-def: $vgpr36
; %bb.23:                               ;   in Loop: Header=BB240_20 Depth=3
	s_andn2_saveexec_b64 s[50:51], s[50:51]
	s_cbranch_execz .LBB240_27
; %bb.24:                               ;   in Loop: Header=BB240_20 Depth=3
	v_mov_b32_e32 v37, s5
	ds_cmpst_rtn_b32 v36, v36, v37, v34
	s_mov_b64 s[52:53], -1
	s_waitcnt lgkmcnt(0)
	v_cmp_eq_u32_e32 vcc, s5, v36
	s_and_saveexec_b64 s[54:55], vcc
	s_cbranch_execz .LBB240_26
; %bb.25:                               ;   in Loop: Header=BB240_20 Depth=3
	v_lshl_add_u32 v36, v35, 4, v30
	ds_add_f64 v36, v[22:23]
	ds_add_f64 v36, v[24:25] offset:8
	s_xor_b64 s[52:53], exec, -1
.LBB240_26:                             ;   in Loop: Header=BB240_20 Depth=3
	s_or_b64 exec, exec, s[54:55]
	s_andn2_b64 s[48:49], s[48:49], exec
	s_and_b64 s[52:53], s[52:53], exec
	s_or_b64 s[48:49], s[48:49], s[52:53]
.LBB240_27:                             ;   in Loop: Header=BB240_20 Depth=3
	s_or_b64 exec, exec, s[50:51]
	s_and_b64 s[48:49], s[48:49], exec
.LBB240_28:                             ;   in Loop: Header=BB240_20 Depth=3
	s_andn2_saveexec_b64 s[46:47], s[46:47]
	s_cbranch_execz .LBB240_19
; %bb.29:                               ;   in Loop: Header=BB240_20 Depth=3
	v_lshl_add_u32 v36, v35, 4, v30
	ds_add_f64 v36, v[22:23]
	ds_add_f64 v36, v[24:25] offset:8
	s_andn2_b64 s[48:49], s[48:49], exec
	s_branch .LBB240_19
.LBB240_30:
	s_or_b64 exec, exec, s[6:7]
.LBB240_31:
	s_andn2_b64 vcc, exec, s[34:35]
	s_cbranch_vccnz .LBB240_48
; %bb.32:
	v_mov_b32_e32 v1, s13
	v_add_co_u32_e32 v0, vcc, s12, v8
	v_addc_co_u32_e32 v1, vcc, v1, v9, vcc
	global_load_dwordx4 v[10:13], v[0:1], off
	v_subrev_co_u32_e32 v2, vcc, s31, v31
	v_subb_co_u32_e64 v3, s[6:7], 0, 0, vcc
	s_waitcnt vmcnt(0)
	v_subrev_co_u32_e32 v0, vcc, s31, v12
	v_subbrev_co_u32_e32 v1, vcc, 0, v13, vcc
	v_add_co_u32_e32 v2, vcc, v10, v2
	v_addc_co_u32_e32 v3, vcc, v11, v3, vcc
	v_cmp_lt_i64_e32 vcc, v[2:3], v[0:1]
	s_and_saveexec_b64 s[6:7], vcc
	s_cbranch_execz .LBB240_47
; %bb.33:
	s_mov_b64 s[8:9], 0
	v_mov_b32_e32 v14, s15
	v_mov_b32_e32 v15, s17
	s_branch .LBB240_35
.LBB240_34:                             ;   in Loop: Header=BB240_35 Depth=1
	s_or_b64 exec, exec, s[10:11]
	v_add_co_u32_e32 v2, vcc, 16, v2
	v_addc_co_u32_e32 v3, vcc, 0, v3, vcc
	v_cmp_ge_i64_e32 vcc, v[2:3], v[0:1]
	s_or_b64 s[8:9], vcc, s[8:9]
	s_andn2_b64 exec, exec, s[8:9]
	s_cbranch_execz .LBB240_47
.LBB240_35:                             ; =>This Loop Header: Depth=1
                                        ;     Child Loop BB240_37 Depth 2
	v_lshlrev_b64 v[10:11], 2, v[2:3]
	v_add_co_u32_e32 v10, vcc, s14, v10
	v_addc_co_u32_e32 v11, vcc, v14, v11, vcc
	global_load_dword v12, v[10:11], off
	v_lshlrev_b64 v[10:11], 4, v[2:3]
	v_add_co_u32_e32 v10, vcc, s16, v10
	v_addc_co_u32_e32 v11, vcc, v15, v11, vcc
	global_load_dwordx4 v[18:21], v[10:11], off
	s_mov_b64 s[10:11], 0
	s_waitcnt vmcnt(1)
	v_subrev_u32_e32 v16, s31, v12
	v_lshl_add_u32 v17, v16, 3, v16
	v_and_b32_e32 v17, 31, v17
	s_waitcnt vmcnt(0)
	v_mul_f64 v[10:11], v[20:21], -v[4:5]
	v_mul_f64 v[12:13], v[6:7], v[20:21]
	v_fmac_f64_e32 v[10:11], v[6:7], v[18:19]
	v_fmac_f64_e32 v[12:13], v[4:5], v[18:19]
	s_branch .LBB240_37
.LBB240_36:                             ;   in Loop: Header=BB240_37 Depth=2
	s_or_b64 exec, exec, s[12:13]
	s_xor_b64 s[12:13], s[20:21], -1
	s_and_b64 s[12:13], exec, s[12:13]
	s_or_b64 s[10:11], s[12:13], s[10:11]
	s_andn2_b64 exec, exec, s[10:11]
	s_cbranch_execz .LBB240_34
.LBB240_37:                             ;   Parent Loop BB240_35 Depth=1
                                        ; =>  This Inner Loop Header: Depth=2
	v_lshl_add_u32 v18, v17, 2, v29
	ds_read_b32 v19, v18
                                        ; implicit-def: $sgpr20_sgpr21
	s_waitcnt lgkmcnt(0)
	v_cmp_ne_u32_e32 vcc, v19, v16
	s_and_saveexec_b64 s[12:13], vcc
	s_xor_b64 s[12:13], exec, s[12:13]
	s_cbranch_execz .LBB240_45
; %bb.38:                               ;   in Loop: Header=BB240_37 Depth=2
	v_cmp_ne_u32_e32 vcc, s5, v19
                                        ; implicit-def: $sgpr20_sgpr21
	s_and_saveexec_b64 s[22:23], vcc
	s_xor_b64 s[22:23], exec, s[22:23]
; %bb.39:                               ;   in Loop: Header=BB240_37 Depth=2
	v_add_u32_e32 v17, 1, v17
	v_and_b32_e32 v17, 31, v17
	s_mov_b64 s[20:21], -1
                                        ; implicit-def: $vgpr18
; %bb.40:                               ;   in Loop: Header=BB240_37 Depth=2
	s_andn2_saveexec_b64 s[22:23], s[22:23]
	s_cbranch_execz .LBB240_44
; %bb.41:                               ;   in Loop: Header=BB240_37 Depth=2
	v_mov_b32_e32 v19, s5
	ds_cmpst_rtn_b32 v18, v18, v19, v16
	s_mov_b64 s[24:25], -1
	s_waitcnt lgkmcnt(0)
	v_cmp_eq_u32_e32 vcc, s5, v18
	s_and_saveexec_b64 s[26:27], vcc
	s_cbranch_execz .LBB240_43
; %bb.42:                               ;   in Loop: Header=BB240_37 Depth=2
	v_lshl_add_u32 v18, v17, 4, v30
	ds_add_f64 v18, v[10:11]
	ds_add_f64 v18, v[12:13] offset:8
	s_xor_b64 s[24:25], exec, -1
.LBB240_43:                             ;   in Loop: Header=BB240_37 Depth=2
	s_or_b64 exec, exec, s[26:27]
	s_andn2_b64 s[20:21], s[20:21], exec
	s_and_b64 s[24:25], s[24:25], exec
	s_or_b64 s[20:21], s[20:21], s[24:25]
.LBB240_44:                             ;   in Loop: Header=BB240_37 Depth=2
	s_or_b64 exec, exec, s[22:23]
	s_and_b64 s[20:21], s[20:21], exec
.LBB240_45:                             ;   in Loop: Header=BB240_37 Depth=2
	s_andn2_saveexec_b64 s[12:13], s[12:13]
	s_cbranch_execz .LBB240_36
; %bb.46:                               ;   in Loop: Header=BB240_37 Depth=2
	v_lshl_add_u32 v18, v17, 4, v30
	ds_add_f64 v18, v[10:11]
	ds_add_f64 v18, v[12:13] offset:8
	s_andn2_b64 s[20:21], s[20:21], exec
	s_branch .LBB240_36
.LBB240_47:
	s_or_b64 exec, exec, s[6:7]
.LBB240_48:
	v_mov_b32_e32 v1, s19
	v_add_co_u32_e32 v0, vcc, s18, v8
	v_addc_co_u32_e32 v1, vcc, v1, v9, vcc
	s_waitcnt lgkmcnt(0)
	global_load_dwordx2 v[0:1], v[0:1], off
	s_mov_b64 s[6:7], 0
	s_waitcnt vmcnt(0)
	v_subrev_co_u32_e32 v0, vcc, s30, v0
	v_subbrev_co_u32_e32 v1, vcc, 0, v1, vcc
	s_branch .LBB240_50
.LBB240_49:                             ;   in Loop: Header=BB240_50 Depth=1
	s_or_b64 exec, exec, s[8:9]
	v_add_co_u32_e32 v26, vcc, 16, v26
	s_xor_b64 s[8:9], vcc, -1
	s_and_b64 s[8:9], exec, s[8:9]
	v_add_u32_e32 v27, 0x100, v27
	s_or_b64 s[6:7], s[8:9], s[6:7]
	v_add_u32_e32 v28, 64, v28
	s_andn2_b64 exec, exec, s[6:7]
	s_cbranch_execz .LBB240_52
.LBB240_50:                             ; =>This Inner Loop Header: Depth=1
	ds_read_b32 v2, v28
	s_waitcnt lgkmcnt(0)
	v_cmp_gt_i32_e32 vcc, s5, v2
	s_and_saveexec_b64 s[8:9], vcc
	s_cbranch_execz .LBB240_49
; %bb.51:                               ;   in Loop: Header=BB240_50 Depth=1
	ds_read_b128 v[4:7], v29
	ds_read_b128 v[8:11], v29 offset:16
	ds_read_b128 v[12:15], v29 offset:32
	;; [unrolled: 1-line block ×3, first 2 shown]
	s_waitcnt lgkmcnt(3)
	v_cmp_gt_i32_e32 vcc, v2, v4
	v_cndmask_b32_e64 v3, 0, 1, vcc
	v_add_co_u32_e32 v3, vcc, v0, v3
	v_addc_co_u32_e32 v4, vcc, 0, v1, vcc
	v_cmp_gt_i32_e32 vcc, v2, v5
	v_cndmask_b32_e64 v5, 0, 1, vcc
	v_add_co_u32_e32 v3, vcc, v3, v5
	v_addc_co_u32_e32 v4, vcc, 0, v4, vcc
	v_cmp_gt_i32_e32 vcc, v2, v6
	v_cndmask_b32_e64 v5, 0, 1, vcc
	v_add_co_u32_e32 v3, vcc, v3, v5
	v_addc_co_u32_e32 v4, vcc, 0, v4, vcc
	v_cmp_gt_i32_e32 vcc, v2, v7
	v_cndmask_b32_e64 v5, 0, 1, vcc
	v_add_co_u32_e32 v3, vcc, v3, v5
	v_addc_co_u32_e32 v4, vcc, 0, v4, vcc
	s_waitcnt lgkmcnt(2)
	v_cmp_gt_i32_e32 vcc, v2, v8
	v_cndmask_b32_e64 v5, 0, 1, vcc
	v_add_co_u32_e32 v3, vcc, v3, v5
	v_addc_co_u32_e32 v4, vcc, 0, v4, vcc
	v_cmp_gt_i32_e32 vcc, v2, v9
	v_cndmask_b32_e64 v5, 0, 1, vcc
	v_add_co_u32_e32 v3, vcc, v3, v5
	v_addc_co_u32_e32 v4, vcc, 0, v4, vcc
	v_cmp_gt_i32_e32 vcc, v2, v10
	v_cndmask_b32_e64 v5, 0, 1, vcc
	v_add_co_u32_e32 v3, vcc, v3, v5
	v_addc_co_u32_e32 v4, vcc, 0, v4, vcc
	v_cmp_gt_i32_e32 vcc, v2, v11
	v_cndmask_b32_e64 v5, 0, 1, vcc
	v_add_co_u32_e32 v3, vcc, v3, v5
	v_addc_co_u32_e32 v4, vcc, 0, v4, vcc
	;; [unrolled: 17-line block ×3, first 2 shown]
	s_waitcnt lgkmcnt(0)
	v_cmp_gt_i32_e32 vcc, v2, v16
	v_cndmask_b32_e64 v5, 0, 1, vcc
	v_add_co_u32_e32 v3, vcc, v3, v5
	v_addc_co_u32_e32 v4, vcc, 0, v4, vcc
	v_cmp_gt_i32_e32 vcc, v2, v17
	v_cndmask_b32_e64 v5, 0, 1, vcc
	v_add_co_u32_e32 v3, vcc, v3, v5
	v_addc_co_u32_e32 v4, vcc, 0, v4, vcc
	;; [unrolled: 4-line block ×3, first 2 shown]
	ds_read_b128 v[4:7], v29 offset:64
	v_cmp_gt_i32_e32 vcc, v2, v19
	v_cndmask_b32_e64 v9, 0, 1, vcc
	v_add_co_u32_e32 v3, vcc, v3, v9
	v_addc_co_u32_e32 v12, vcc, 0, v8, vcc
	ds_read_b128 v[8:11], v29 offset:80
	s_waitcnt lgkmcnt(1)
	v_cmp_gt_i32_e32 vcc, v2, v4
	v_cndmask_b32_e64 v4, 0, 1, vcc
	v_add_co_u32_e32 v3, vcc, v3, v4
	v_addc_co_u32_e32 v4, vcc, 0, v12, vcc
	v_cmp_gt_i32_e32 vcc, v2, v5
	v_cndmask_b32_e64 v5, 0, 1, vcc
	v_add_co_u32_e32 v3, vcc, v3, v5
	v_addc_co_u32_e32 v4, vcc, 0, v4, vcc
	;; [unrolled: 4-line block ×4, first 2 shown]
	s_waitcnt lgkmcnt(0)
	v_cmp_gt_i32_e32 vcc, v2, v8
	v_cndmask_b32_e64 v5, 0, 1, vcc
	v_add_co_u32_e32 v3, vcc, v3, v5
	v_addc_co_u32_e32 v4, vcc, 0, v4, vcc
	v_cmp_gt_i32_e32 vcc, v2, v9
	v_cndmask_b32_e64 v5, 0, 1, vcc
	v_add_co_u32_e32 v3, vcc, v3, v5
	v_addc_co_u32_e32 v4, vcc, 0, v4, vcc
	;; [unrolled: 4-line block ×3, first 2 shown]
	ds_read_b128 v[4:7], v29 offset:96
	v_cmp_gt_i32_e32 vcc, v2, v11
	v_cndmask_b32_e64 v9, 0, 1, vcc
	v_add_co_u32_e32 v3, vcc, v3, v9
	v_addc_co_u32_e32 v12, vcc, 0, v8, vcc
	ds_read_b128 v[8:11], v29 offset:112
	s_waitcnt lgkmcnt(1)
	v_cmp_gt_i32_e32 vcc, v2, v4
	v_cndmask_b32_e64 v4, 0, 1, vcc
	v_add_co_u32_e32 v3, vcc, v3, v4
	v_addc_co_u32_e32 v4, vcc, 0, v12, vcc
	v_cmp_gt_i32_e32 vcc, v2, v5
	v_cndmask_b32_e64 v5, 0, 1, vcc
	v_add_co_u32_e32 v3, vcc, v3, v5
	v_addc_co_u32_e32 v4, vcc, 0, v4, vcc
	;; [unrolled: 4-line block ×4, first 2 shown]
	s_waitcnt lgkmcnt(0)
	v_cmp_gt_i32_e32 vcc, v2, v8
	v_cndmask_b32_e64 v5, 0, 1, vcc
	v_add_co_u32_e32 v3, vcc, v3, v5
	v_addc_co_u32_e32 v4, vcc, 0, v4, vcc
	v_cmp_gt_i32_e32 vcc, v2, v9
	v_cndmask_b32_e64 v5, 0, 1, vcc
	v_add_co_u32_e32 v3, vcc, v3, v5
	v_addc_co_u32_e32 v4, vcc, 0, v4, vcc
	;; [unrolled: 4-line block ×4, first 2 shown]
	v_add_u32_e32 v6, s30, v2
	v_lshlrev_b64 v[2:3], 2, v[4:5]
	v_mov_b32_e32 v7, s37
	v_add_co_u32_e32 v2, vcc, s36, v2
	v_addc_co_u32_e32 v3, vcc, v7, v3, vcc
	global_store_dword v[2:3], v6, off
	v_lshlrev_b64 v[6:7], 4, v[4:5]
	ds_read2_b64 v[2:5], v27 offset1:1
	v_mov_b32_e32 v8, s39
	v_add_co_u32_e32 v6, vcc, s38, v6
	v_addc_co_u32_e32 v7, vcc, v8, v7, vcc
	s_waitcnt lgkmcnt(0)
	global_store_dwordx4 v[6:7], v[2:5], off
	s_branch .LBB240_49
.LBB240_52:
	s_endpgm
	.section	.rodata,"a",@progbits
	.p2align	6, 0x0
	.amdhsa_kernel _ZN9rocsparseL23csrgemm_fill_wf_per_rowILj256ELj16ELj32ELj137Eli21rocsparse_complex_numIdEEEvT4_S3_PKS3_S5_NS_24const_host_device_scalarIT5_EEPKT3_S5_PKS7_SB_S5_SD_S8_SB_S5_SD_SB_PS3_PS7_21rocsparse_index_base_SG_SG_SG_bbb
		.amdhsa_group_segment_fixed_size 10240
		.amdhsa_private_segment_fixed_size 24
		.amdhsa_kernarg_size 172
		.amdhsa_user_sgpr_count 8
		.amdhsa_user_sgpr_private_segment_buffer 1
		.amdhsa_user_sgpr_dispatch_ptr 0
		.amdhsa_user_sgpr_queue_ptr 0
		.amdhsa_user_sgpr_kernarg_segment_ptr 1
		.amdhsa_user_sgpr_dispatch_id 0
		.amdhsa_user_sgpr_flat_scratch_init 1
		.amdhsa_user_sgpr_kernarg_preload_length 0
		.amdhsa_user_sgpr_kernarg_preload_offset 0
		.amdhsa_user_sgpr_private_segment_size 0
		.amdhsa_uses_dynamic_stack 0
		.amdhsa_system_sgpr_private_segment_wavefront_offset 1
		.amdhsa_system_sgpr_workgroup_id_x 1
		.amdhsa_system_sgpr_workgroup_id_y 0
		.amdhsa_system_sgpr_workgroup_id_z 0
		.amdhsa_system_sgpr_workgroup_info 0
		.amdhsa_system_vgpr_workitem_id 0
		.amdhsa_next_free_vgpr 40
		.amdhsa_next_free_sgpr 60
		.amdhsa_accum_offset 40
		.amdhsa_reserve_vcc 1
		.amdhsa_reserve_flat_scratch 1
		.amdhsa_float_round_mode_32 0
		.amdhsa_float_round_mode_16_64 0
		.amdhsa_float_denorm_mode_32 3
		.amdhsa_float_denorm_mode_16_64 3
		.amdhsa_dx10_clamp 1
		.amdhsa_ieee_mode 1
		.amdhsa_fp16_overflow 0
		.amdhsa_tg_split 0
		.amdhsa_exception_fp_ieee_invalid_op 0
		.amdhsa_exception_fp_denorm_src 0
		.amdhsa_exception_fp_ieee_div_zero 0
		.amdhsa_exception_fp_ieee_overflow 0
		.amdhsa_exception_fp_ieee_underflow 0
		.amdhsa_exception_fp_ieee_inexact 0
		.amdhsa_exception_int_div_zero 0
	.end_amdhsa_kernel
	.section	.text._ZN9rocsparseL23csrgemm_fill_wf_per_rowILj256ELj16ELj32ELj137Eli21rocsparse_complex_numIdEEEvT4_S3_PKS3_S5_NS_24const_host_device_scalarIT5_EEPKT3_S5_PKS7_SB_S5_SD_S8_SB_S5_SD_SB_PS3_PS7_21rocsparse_index_base_SG_SG_SG_bbb,"axG",@progbits,_ZN9rocsparseL23csrgemm_fill_wf_per_rowILj256ELj16ELj32ELj137Eli21rocsparse_complex_numIdEEEvT4_S3_PKS3_S5_NS_24const_host_device_scalarIT5_EEPKT3_S5_PKS7_SB_S5_SD_S8_SB_S5_SD_SB_PS3_PS7_21rocsparse_index_base_SG_SG_SG_bbb,comdat
.Lfunc_end240:
	.size	_ZN9rocsparseL23csrgemm_fill_wf_per_rowILj256ELj16ELj32ELj137Eli21rocsparse_complex_numIdEEEvT4_S3_PKS3_S5_NS_24const_host_device_scalarIT5_EEPKT3_S5_PKS7_SB_S5_SD_S8_SB_S5_SD_SB_PS3_PS7_21rocsparse_index_base_SG_SG_SG_bbb, .Lfunc_end240-_ZN9rocsparseL23csrgemm_fill_wf_per_rowILj256ELj16ELj32ELj137Eli21rocsparse_complex_numIdEEEvT4_S3_PKS3_S5_NS_24const_host_device_scalarIT5_EEPKT3_S5_PKS7_SB_S5_SD_S8_SB_S5_SD_SB_PS3_PS7_21rocsparse_index_base_SG_SG_SG_bbb
                                        ; -- End function
	.section	.AMDGPU.csdata,"",@progbits
; Kernel info:
; codeLenInByte = 2664
; NumSgprs: 66
; NumVgprs: 40
; NumAgprs: 0
; TotalNumVgprs: 40
; ScratchSize: 24
; MemoryBound: 0
; FloatMode: 240
; IeeeMode: 1
; LDSByteSize: 10240 bytes/workgroup (compile time only)
; SGPRBlocks: 8
; VGPRBlocks: 4
; NumSGPRsForWavesPerEU: 66
; NumVGPRsForWavesPerEU: 40
; AccumOffset: 40
; Occupancy: 6
; WaveLimiterHint : 1
; COMPUTE_PGM_RSRC2:SCRATCH_EN: 1
; COMPUTE_PGM_RSRC2:USER_SGPR: 8
; COMPUTE_PGM_RSRC2:TRAP_HANDLER: 0
; COMPUTE_PGM_RSRC2:TGID_X_EN: 1
; COMPUTE_PGM_RSRC2:TGID_Y_EN: 0
; COMPUTE_PGM_RSRC2:TGID_Z_EN: 0
; COMPUTE_PGM_RSRC2:TIDIG_COMP_CNT: 0
; COMPUTE_PGM_RSRC3_GFX90A:ACCUM_OFFSET: 9
; COMPUTE_PGM_RSRC3_GFX90A:TG_SPLIT: 0
	.section	.text._ZN9rocsparseL26csrgemm_fill_block_per_rowILj128ELj16ELj256ELj137ELj32Eli21rocsparse_complex_numIdEEEvT5_PKS3_S5_NS_24const_host_device_scalarIT6_EEPKT4_S5_PKS7_SB_S5_SD_S8_SB_S5_SD_SB_PS3_PS7_21rocsparse_index_base_SG_SG_SG_bbb,"axG",@progbits,_ZN9rocsparseL26csrgemm_fill_block_per_rowILj128ELj16ELj256ELj137ELj32Eli21rocsparse_complex_numIdEEEvT5_PKS3_S5_NS_24const_host_device_scalarIT6_EEPKT4_S5_PKS7_SB_S5_SD_S8_SB_S5_SD_SB_PS3_PS7_21rocsparse_index_base_SG_SG_SG_bbb,comdat
	.globl	_ZN9rocsparseL26csrgemm_fill_block_per_rowILj128ELj16ELj256ELj137ELj32Eli21rocsparse_complex_numIdEEEvT5_PKS3_S5_NS_24const_host_device_scalarIT6_EEPKT4_S5_PKS7_SB_S5_SD_S8_SB_S5_SD_SB_PS3_PS7_21rocsparse_index_base_SG_SG_SG_bbb ; -- Begin function _ZN9rocsparseL26csrgemm_fill_block_per_rowILj128ELj16ELj256ELj137ELj32Eli21rocsparse_complex_numIdEEEvT5_PKS3_S5_NS_24const_host_device_scalarIT6_EEPKT4_S5_PKS7_SB_S5_SD_S8_SB_S5_SD_SB_PS3_PS7_21rocsparse_index_base_SG_SG_SG_bbb
	.p2align	8
	.type	_ZN9rocsparseL26csrgemm_fill_block_per_rowILj128ELj16ELj256ELj137ELj32Eli21rocsparse_complex_numIdEEEvT5_PKS3_S5_NS_24const_host_device_scalarIT6_EEPKT4_S5_PKS7_SB_S5_SD_S8_SB_S5_SD_SB_PS3_PS7_21rocsparse_index_base_SG_SG_SG_bbb,@function
_ZN9rocsparseL26csrgemm_fill_block_per_rowILj128ELj16ELj256ELj137ELj32Eli21rocsparse_complex_numIdEEEvT5_PKS3_S5_NS_24const_host_device_scalarIT6_EEPKT4_S5_PKS7_SB_S5_SD_S8_SB_S5_SD_SB_PS3_PS7_21rocsparse_index_base_SG_SG_SG_bbb: ; @_ZN9rocsparseL26csrgemm_fill_block_per_rowILj128ELj16ELj256ELj137ELj32Eli21rocsparse_complex_numIdEEEvT5_PKS3_S5_NS_24const_host_device_scalarIT6_EEPKT4_S5_PKS7_SB_S5_SD_S8_SB_S5_SD_SB_PS3_PS7_21rocsparse_index_base_SG_SG_SG_bbb
; %bb.0:
	s_add_u32 flat_scratch_lo, s6, s9
	s_addc_u32 flat_scratch_hi, s7, 0
	s_add_u32 s0, s0, s9
	s_load_dword s9, s[4:5], 0xa8
	s_load_dwordx4 s[16:19], s[4:5], 0x18
	s_load_dwordx4 s[12:15], s[4:5], 0x58
	s_addc_u32 s1, s1, 0
	v_pk_mov_b32 v[2:3], 0, 0
	s_waitcnt lgkmcnt(0)
	s_bitcmp1_b32 s9, 0
	v_mov_b32_e32 v1, s17
	s_cselect_b64 s[50:51], -1, 0
	s_bitcmp1_b32 s9, 16
	buffer_store_dword v1, off, s[0:3], 0 offset:20
	v_mov_b32_e32 v1, s16
	s_cselect_b64 s[6:7], -1, 0
	buffer_store_dword v1, off, s[0:3], 0 offset:16
	v_mov_b32_e32 v1, s13
	buffer_store_dword v1, off, s[0:3], 0 offset:28
	v_mov_b32_e32 v1, s12
	s_xor_b64 s[10:11], s[6:7], -1
	buffer_store_dword v1, off, s[0:3], 0 offset:24
	v_cndmask_b32_e64 v1, 0, 1, s[10:11]
	s_bitcmp0_b32 s9, 0
	v_cmp_ne_u32_e64 s[10:11], 1, v1
	v_pk_mov_b32 v[6:7], v[2:3], v[2:3] op_sel:[0,1]
	v_pk_mov_b32 v[8:9], v[2:3], v[2:3] op_sel:[0,1]
	s_cbranch_scc1 .LBB241_3
; %bb.1:
	s_mov_b64 s[20:21], src_private_base
	s_and_b64 s[22:23], s[6:7], exec
	s_cselect_b32 s20, s21, s17
	v_mov_b32_e32 v1, 16
	v_mov_b32_e32 v4, s16
	v_cndmask_b32_e64 v4, v4, v1, s[6:7]
	v_mov_b32_e32 v5, s20
	flat_load_dwordx2 v[6:7], v[4:5]
	s_and_b64 vcc, exec, s[10:11]
	v_pk_mov_b32 v[8:9], s[18:19], s[18:19] op_sel:[0,1]
	s_cbranch_vccnz .LBB241_3
; %bb.2:
	v_pk_mov_b32 v[4:5], s[16:17], s[16:17] op_sel:[0,1]
	flat_load_dwordx2 v[8:9], v[4:5] offset:8
.LBB241_3:
	s_load_dwordx4 s[28:31], s[4:5], 0x98
	s_bitcmp1_b32 s9, 8
	s_cselect_b64 s[48:49], -1, 0
	s_bfe_u32 s9, s9, 0x10008
	s_cmp_eq_u32 s9, 0
	v_pk_mov_b32 v[4:5], v[2:3], v[2:3] op_sel:[0,1]
	s_cbranch_scc1 .LBB241_6
; %bb.4:
	s_mov_b64 s[16:17], src_private_base
	s_and_b64 s[18:19], s[6:7], exec
	s_cselect_b32 s9, s17, s13
	v_mov_b32_e32 v1, 24
	v_mov_b32_e32 v2, s12
	v_cndmask_b32_e64 v2, v2, v1, s[6:7]
	v_mov_b32_e32 v3, s9
	flat_load_dwordx2 v[4:5], v[2:3]
	s_and_b64 vcc, exec, s[10:11]
	v_pk_mov_b32 v[2:3], s[14:15], s[14:15] op_sel:[0,1]
	s_cbranch_vccnz .LBB241_6
; %bb.5:
	v_pk_mov_b32 v[2:3], s[12:13], s[12:13] op_sel:[0,1]
	flat_load_dwordx2 v[2:3], v[2:3] offset:8
.LBB241_6:
	s_load_dwordx4 s[36:39], s[4:5], 0x88
	s_load_dwordx8 s[12:19], s[4:5], 0x68
	s_load_dwordx4 s[40:43], s[4:5], 0x48
	s_load_dwordx8 s[20:27], s[4:5], 0x28
	s_load_dwordx4 s[44:47], s[4:5], 0x8
	s_load_dword s33, s[4:5], 0x0
	s_movk_i32 s4, 0x100
	v_cmp_gt_u32_e64 s[4:5], s4, v0
	v_lshl_add_u32 v25, v0, 4, 0
	v_lshl_add_u32 v1, v0, 2, 0
	s_and_saveexec_b64 s[6:7], s[4:5]
	s_cbranch_execz .LBB241_9
; %bb.7:
	s_mov_b32 s34, 0
	s_mov_b32 s35, s34
	;; [unrolled: 1-line block ×4, first 2 shown]
	v_add_u32_e32 v14, 0x400, v25
	v_or_b32_e32 v15, 0xffffff80, v0
	v_lshl_add_u32 v16, v0, 2, 0
	s_mov_b64 s[10:11], 0
	s_waitcnt lgkmcnt(0)
	v_mov_b32_e32 v17, s33
	v_pk_mov_b32 v[10:11], s[34:35], s[34:35] op_sel:[0,1]
	v_pk_mov_b32 v[12:13], s[52:53], s[52:53] op_sel:[0,1]
.LBB241_8:                              ; =>This Inner Loop Header: Depth=1
	v_add_co_u32_e32 v15, vcc, 0x80, v15
	s_xor_b64 s[34:35], vcc, -1
	s_and_b64 s[34:35], exec, s[34:35]
	ds_write_b32 v16, v17
	ds_write2_b64 v14, v[10:11], v[12:13] offset1:1
	v_add_u32_e32 v14, 0x800, v14
	s_or_b64 s[10:11], s[34:35], s[10:11]
	v_add_u32_e32 v16, 0x200, v16
	s_andn2_b64 exec, exec, s[10:11]
	s_cbranch_execnz .LBB241_8
.LBB241_9:
	s_or_b64 exec, exec, s[6:7]
	s_waitcnt lgkmcnt(0)
	s_barrier
	s_load_dword s6, s[44:45], 0x0
	s_mov_b32 s7, 0
	s_waitcnt lgkmcnt(0)
	s_add_i32 s6, s6, s8
	s_lshl_b64 s[6:7], s[6:7], 2
	s_add_u32 s6, s46, s6
	s_addc_u32 s7, s47, s7
	s_load_dword s34, s[6:7], 0x0
	s_and_b64 vcc, exec, s[50:51]
	s_cbranch_vccz .LBB241_29
; %bb.10:
	s_waitcnt lgkmcnt(0)
	s_ashr_i32 s35, s34, 31
	s_lshl_b64 s[6:7], s[34:35], 3
	s_add_u32 s6, s20, s6
	s_addc_u32 s7, s21, s7
	s_load_dwordx4 s[8:11], s[6:7], 0x0
	v_lshrrev_b32_e32 v10, 4, v0
	v_subrev_co_u32_e32 v10, vcc, s28, v10
	s_waitcnt lgkmcnt(0)
	s_sub_u32 s6, s10, s28
	s_subb_u32 s7, s11, 0
	v_subb_co_u32_e64 v11, s[10:11], 0, 0, vcc
	v_mov_b32_e32 v12, s9
	v_add_co_u32_e32 v10, vcc, s8, v10
	v_addc_co_u32_e32 v11, vcc, v12, v11, vcc
	v_cmp_gt_i64_e32 vcc, s[6:7], v[10:11]
	s_and_saveexec_b64 s[8:9], vcc
	s_cbranch_execz .LBB241_28
; %bb.11:
	v_and_b32_e32 v12, 15, v0
	v_subrev_co_u32_e32 v26, vcc, s29, v12
	s_mov_b32 s20, 0
	v_subb_co_u32_e64 v27, s[10:11], 0, 0, vcc
	s_mov_b32 s35, s29
	s_mov_b64 s[10:11], 0
	v_mov_b32_e32 v28, s23
	v_mov_b32_e32 v29, s27
	;; [unrolled: 1-line block ×3, first 2 shown]
	s_movk_i32 s23, 0x89
	s_branch .LBB241_13
.LBB241_12:                             ;   in Loop: Header=BB241_13 Depth=1
	s_or_b64 exec, exec, s[20:21]
	v_add_co_u32_e32 v10, vcc, 8, v10
	v_addc_co_u32_e32 v11, vcc, 0, v11, vcc
	v_cmp_le_i64_e32 vcc, s[6:7], v[10:11]
	s_or_b64 s[10:11], vcc, s[10:11]
	s_andn2_b64 exec, exec, s[10:11]
	s_cbranch_execz .LBB241_28
.LBB241_13:                             ; =>This Loop Header: Depth=1
                                        ;     Child Loop BB241_16 Depth 2
                                        ;       Child Loop BB241_18 Depth 3
	v_lshlrev_b64 v[12:13], 2, v[10:11]
	v_add_co_u32_e32 v12, vcc, s22, v12
	v_addc_co_u32_e32 v13, vcc, v28, v13, vcc
	global_load_dword v12, v[12:13], off
	s_waitcnt vmcnt(0)
	v_subrev_u32_e32 v12, s28, v12
	v_ashrrev_i32_e32 v13, 31, v12
	v_lshlrev_b64 v[12:13], 3, v[12:13]
	v_add_co_u32_e32 v12, vcc, s26, v12
	v_addc_co_u32_e32 v13, vcc, v29, v13, vcc
	global_load_dwordx4 v[14:17], v[12:13], off
	s_waitcnt vmcnt(0)
	v_subrev_co_u32_e32 v12, vcc, s35, v16
	v_subb_co_u32_e32 v13, vcc, v17, v30, vcc
	v_add_co_u32_e32 v14, vcc, v14, v26
	v_addc_co_u32_e32 v15, vcc, v15, v27, vcc
	v_cmp_lt_i64_e32 vcc, v[14:15], v[12:13]
	s_and_saveexec_b64 s[20:21], vcc
	s_cbranch_execz .LBB241_12
; %bb.14:                               ;   in Loop: Header=BB241_13 Depth=1
	v_lshlrev_b64 v[16:17], 4, v[10:11]
	v_mov_b32_e32 v18, s25
	v_add_co_u32_e32 v16, vcc, s24, v16
	v_addc_co_u32_e32 v17, vcc, v18, v17, vcc
	global_load_dwordx4 v[20:23], v[16:17], off
	s_mov_b64 s[44:45], 0
	s_waitcnt vmcnt(0)
	v_mul_f64 v[16:17], v[22:23], -v[8:9]
	v_mul_f64 v[18:19], v[6:7], v[22:23]
	v_fmac_f64_e32 v[16:17], v[6:7], v[20:21]
	v_fmac_f64_e32 v[18:19], v[8:9], v[20:21]
	s_branch .LBB241_16
.LBB241_15:                             ;   in Loop: Header=BB241_16 Depth=2
	s_or_b64 exec, exec, s[46:47]
	v_add_co_u32_e32 v14, vcc, 16, v14
	v_addc_co_u32_e32 v15, vcc, 0, v15, vcc
	v_cmp_ge_i64_e32 vcc, v[14:15], v[12:13]
	s_or_b64 s[44:45], vcc, s[44:45]
	s_andn2_b64 exec, exec, s[44:45]
	s_cbranch_execz .LBB241_12
.LBB241_16:                             ;   Parent Loop BB241_13 Depth=1
                                        ; =>  This Loop Header: Depth=2
                                        ;       Child Loop BB241_18 Depth 3
	v_lshlrev_b64 v[20:21], 2, v[14:15]
	v_mov_b32_e32 v22, s41
	v_add_co_u32_e32 v20, vcc, s40, v20
	v_addc_co_u32_e32 v21, vcc, v22, v21, vcc
	global_load_dword v22, v[20:21], off
	v_lshlrev_b64 v[20:21], 4, v[14:15]
	v_mov_b32_e32 v23, s43
	v_add_co_u32_e32 v20, vcc, s42, v20
	v_addc_co_u32_e32 v21, vcc, v23, v21, vcc
	global_load_dwordx4 v[32:35], v[20:21], off
	s_mov_b64 s[46:47], 0
	s_waitcnt vmcnt(1)
	v_subrev_u32_e32 v31, s29, v22
	v_mul_lo_u32 v24, v31, s23
	s_waitcnt vmcnt(0)
	v_mul_f64 v[20:21], v[34:35], -v[18:19]
	v_mul_f64 v[22:23], v[16:17], v[34:35]
	v_fmac_f64_e32 v[20:21], v[16:17], v[32:33]
	v_fmac_f64_e32 v[22:23], v[18:19], v[32:33]
	v_and_b32_e32 v32, 0xff, v24
	s_branch .LBB241_18
.LBB241_17:                             ;   in Loop: Header=BB241_18 Depth=3
	s_or_b64 exec, exec, s[50:51]
	s_xor_b64 s[50:51], s[52:53], -1
	s_and_b64 s[50:51], exec, s[50:51]
	s_or_b64 s[46:47], s[50:51], s[46:47]
	s_andn2_b64 exec, exec, s[46:47]
	s_cbranch_execz .LBB241_15
.LBB241_18:                             ;   Parent Loop BB241_13 Depth=1
                                        ;     Parent Loop BB241_16 Depth=2
                                        ; =>    This Inner Loop Header: Depth=3
	v_lshl_add_u32 v24, v32, 2, 0
	ds_read_b32 v33, v24
                                        ; implicit-def: $sgpr52_sgpr53
	s_waitcnt lgkmcnt(0)
	v_cmp_ne_u32_e32 vcc, v33, v31
	s_and_saveexec_b64 s[50:51], vcc
	s_xor_b64 s[50:51], exec, s[50:51]
	s_cbranch_execz .LBB241_26
; %bb.19:                               ;   in Loop: Header=BB241_18 Depth=3
	v_cmp_ne_u32_e32 vcc, s33, v33
                                        ; implicit-def: $sgpr52_sgpr53
	s_and_saveexec_b64 s[54:55], vcc
	s_xor_b64 s[54:55], exec, s[54:55]
; %bb.20:                               ;   in Loop: Header=BB241_18 Depth=3
	v_add_u32_e32 v24, 1, v32
	v_and_b32_e32 v32, 0xff, v24
	s_mov_b64 s[52:53], -1
                                        ; implicit-def: $vgpr24
; %bb.21:                               ;   in Loop: Header=BB241_18 Depth=3
	s_andn2_saveexec_b64 s[54:55], s[54:55]
	s_cbranch_execz .LBB241_25
; %bb.22:                               ;   in Loop: Header=BB241_18 Depth=3
	v_mov_b32_e32 v33, s33
	ds_cmpst_rtn_b32 v33, v24, v33, v31
	s_mov_b64 s[58:59], -1
	s_waitcnt lgkmcnt(0)
	v_cmp_eq_u32_e32 vcc, s33, v33
	s_and_saveexec_b64 s[56:57], vcc
	s_cbranch_execz .LBB241_24
; %bb.23:                               ;   in Loop: Header=BB241_18 Depth=3
	v_mad_u64_u32 v[34:35], s[58:59], v32, 12, v[24:25]
	ds_add_f64 v34, v[20:21] offset:1024
	ds_add_f64 v34, v[22:23] offset:1032
	s_xor_b64 s[58:59], exec, -1
.LBB241_24:                             ;   in Loop: Header=BB241_18 Depth=3
	s_or_b64 exec, exec, s[56:57]
	s_andn2_b64 s[52:53], s[52:53], exec
	s_and_b64 s[56:57], s[58:59], exec
	s_or_b64 s[52:53], s[52:53], s[56:57]
.LBB241_25:                             ;   in Loop: Header=BB241_18 Depth=3
	s_or_b64 exec, exec, s[54:55]
	s_and_b64 s[52:53], s[52:53], exec
                                        ; implicit-def: $vgpr24
.LBB241_26:                             ;   in Loop: Header=BB241_18 Depth=3
	s_andn2_saveexec_b64 s[50:51], s[50:51]
	s_cbranch_execz .LBB241_17
; %bb.27:                               ;   in Loop: Header=BB241_18 Depth=3
	v_mad_u64_u32 v[34:35], s[54:55], v32, 12, v[24:25]
	ds_add_f64 v34, v[20:21] offset:1024
	ds_add_f64 v34, v[22:23] offset:1032
	s_andn2_b64 s[52:53], s[52:53], exec
	s_branch .LBB241_17
.LBB241_28:
	s_or_b64 exec, exec, s[8:9]
.LBB241_29:
	s_andn2_b64 vcc, exec, s[48:49]
	s_cbranch_vccnz .LBB241_46
; %bb.30:
	s_waitcnt lgkmcnt(0)
	s_ashr_i32 s35, s34, 31
	s_lshl_b64 s[6:7], s[34:35], 3
	s_add_u32 s6, s12, s6
	s_addc_u32 s7, s13, s7
	s_load_dwordx4 s[8:11], s[6:7], 0x0
	s_waitcnt vmcnt(0)
	v_subrev_co_u32_e32 v6, vcc, s31, v0
	v_subb_co_u32_e64 v7, s[6:7], 0, 0, vcc
	s_waitcnt lgkmcnt(0)
	s_sub_u32 s6, s10, s31
	v_mov_b32_e32 v8, s9
	v_add_co_u32_e32 v6, vcc, s8, v6
	s_subb_u32 s7, s11, 0
	v_addc_co_u32_e32 v7, vcc, v8, v7, vcc
	v_cmp_gt_i64_e32 vcc, s[6:7], v[6:7]
	s_and_saveexec_b64 s[8:9], vcc
	s_cbranch_execz .LBB241_45
; %bb.31:
	s_mov_b64 s[10:11], 0
	v_mov_b32_e32 v13, s15
	v_mov_b32_e32 v14, s17
	s_movk_i32 s15, 0x89
	s_branch .LBB241_33
.LBB241_32:                             ;   in Loop: Header=BB241_33 Depth=1
	s_or_b64 exec, exec, s[12:13]
	v_add_co_u32_e32 v6, vcc, 0x80, v6
	v_addc_co_u32_e32 v7, vcc, 0, v7, vcc
	v_cmp_le_i64_e32 vcc, s[6:7], v[6:7]
	s_or_b64 s[10:11], vcc, s[10:11]
	s_andn2_b64 exec, exec, s[10:11]
	s_cbranch_execz .LBB241_45
.LBB241_33:                             ; =>This Loop Header: Depth=1
                                        ;     Child Loop BB241_35 Depth 2
	v_lshlrev_b64 v[8:9], 2, v[6:7]
	v_add_co_u32_e32 v8, vcc, s14, v8
	v_addc_co_u32_e32 v9, vcc, v13, v9, vcc
	global_load_dword v10, v[8:9], off
	v_lshlrev_b64 v[8:9], 4, v[6:7]
	v_add_co_u32_e32 v8, vcc, s16, v8
	v_addc_co_u32_e32 v9, vcc, v14, v9, vcc
	global_load_dwordx4 v[16:19], v[8:9], off
	s_mov_b64 s[12:13], 0
	s_waitcnt vmcnt(1)
	v_subrev_u32_e32 v15, s31, v10
	v_mul_lo_u32 v12, v15, s15
	s_waitcnt vmcnt(0)
	v_mul_f64 v[8:9], v[18:19], -v[2:3]
	v_mul_f64 v[10:11], v[4:5], v[18:19]
	v_fmac_f64_e32 v[8:9], v[4:5], v[16:17]
	v_fmac_f64_e32 v[10:11], v[2:3], v[16:17]
	v_and_b32_e32 v16, 0xff, v12
	s_branch .LBB241_35
.LBB241_34:                             ;   in Loop: Header=BB241_35 Depth=2
	s_or_b64 exec, exec, s[20:21]
	s_xor_b64 s[20:21], s[22:23], -1
	s_and_b64 s[20:21], exec, s[20:21]
	s_or_b64 s[12:13], s[20:21], s[12:13]
	s_andn2_b64 exec, exec, s[12:13]
	s_cbranch_execz .LBB241_32
.LBB241_35:                             ;   Parent Loop BB241_33 Depth=1
                                        ; =>  This Inner Loop Header: Depth=2
	v_lshl_add_u32 v12, v16, 2, 0
	ds_read_b32 v17, v12
                                        ; implicit-def: $sgpr22_sgpr23
	s_waitcnt lgkmcnt(0)
	v_cmp_ne_u32_e32 vcc, v17, v15
	s_and_saveexec_b64 s[20:21], vcc
	s_xor_b64 s[20:21], exec, s[20:21]
	s_cbranch_execz .LBB241_43
; %bb.36:                               ;   in Loop: Header=BB241_35 Depth=2
	v_cmp_ne_u32_e32 vcc, s33, v17
                                        ; implicit-def: $sgpr22_sgpr23
	s_and_saveexec_b64 s[24:25], vcc
	s_xor_b64 s[24:25], exec, s[24:25]
; %bb.37:                               ;   in Loop: Header=BB241_35 Depth=2
	v_add_u32_e32 v12, 1, v16
	v_and_b32_e32 v16, 0xff, v12
	s_mov_b64 s[22:23], -1
                                        ; implicit-def: $vgpr12
; %bb.38:                               ;   in Loop: Header=BB241_35 Depth=2
	s_andn2_saveexec_b64 s[24:25], s[24:25]
	s_cbranch_execz .LBB241_42
; %bb.39:                               ;   in Loop: Header=BB241_35 Depth=2
	v_mov_b32_e32 v17, s33
	ds_cmpst_rtn_b32 v17, v12, v17, v15
	s_mov_b64 s[28:29], -1
	s_waitcnt lgkmcnt(0)
	v_cmp_eq_u32_e32 vcc, s33, v17
	s_and_saveexec_b64 s[26:27], vcc
	s_cbranch_execz .LBB241_41
; %bb.40:                               ;   in Loop: Header=BB241_35 Depth=2
	v_mad_u64_u32 v[18:19], s[28:29], v16, 12, v[12:13]
	ds_add_f64 v18, v[8:9] offset:1024
	ds_add_f64 v18, v[10:11] offset:1032
	s_xor_b64 s[28:29], exec, -1
.LBB241_41:                             ;   in Loop: Header=BB241_35 Depth=2
	s_or_b64 exec, exec, s[26:27]
	s_andn2_b64 s[22:23], s[22:23], exec
	s_and_b64 s[26:27], s[28:29], exec
	s_or_b64 s[22:23], s[22:23], s[26:27]
.LBB241_42:                             ;   in Loop: Header=BB241_35 Depth=2
	s_or_b64 exec, exec, s[24:25]
	s_and_b64 s[22:23], s[22:23], exec
                                        ; implicit-def: $vgpr12
.LBB241_43:                             ;   in Loop: Header=BB241_35 Depth=2
	s_andn2_saveexec_b64 s[20:21], s[20:21]
	s_cbranch_execz .LBB241_34
; %bb.44:                               ;   in Loop: Header=BB241_35 Depth=2
	v_mad_u64_u32 v[18:19], s[24:25], v16, 12, v[12:13]
	ds_add_f64 v18, v[8:9] offset:1024
	ds_add_f64 v18, v[10:11] offset:1032
	s_andn2_b64 s[22:23], s[22:23], exec
	s_branch .LBB241_34
.LBB241_45:
	s_or_b64 exec, exec, s[8:9]
.LBB241_46:
	s_waitcnt lgkmcnt(0)
	s_barrier
	s_and_saveexec_b64 s[12:13], s[4:5]
	s_cbranch_execz .LBB241_59
; %bb.47:
	s_waitcnt vmcnt(0)
	v_mbcnt_lo_u32_b32 v2, -1, 0
	v_mbcnt_hi_u32_b32 v2, -1, v2
	v_lshrrev_b32_e32 v5, 3, v0
	v_sub_u32_e32 v2, 63, v2
	v_and_b32_e32 v5, 12, v5
	s_movk_i32 s4, 0x7f
	s_movk_i32 s10, 0x5f
	v_mov_b32_e32 v4, 0
	v_lshrrev_b64 v[2:3], v2, -1
	v_add_u32_e32 v5, 0, v5
	v_cmp_eq_u32_e64 s[4:5], s4, v0
	v_cmp_lt_u32_e64 s[6:7], 31, v0
	v_cmp_lt_u32_e64 s[8:9], 63, v0
	;; [unrolled: 1-line block ×3, first 2 shown]
	v_add_u32_e32 v6, 0x400, v25
	v_or_b32_e32 v7, 0xffffff80, v0
	s_mov_b64 s[14:15], 0
	v_mov_b32_e32 v8, 0
	s_branch .LBB241_49
.LBB241_48:                             ;   in Loop: Header=BB241_49 Depth=1
	s_or_b64 exec, exec, s[16:17]
	s_waitcnt lgkmcnt(0)
	s_barrier
	ds_read_b32 v9, v4 offset:5132
	v_add_co_u32_e32 v7, vcc, 0x80, v7
	s_xor_b64 s[16:17], vcc, -1
	s_and_b64 s[16:17], exec, s[16:17]
	v_add_u32_e32 v6, 0x800, v6
	s_waitcnt lgkmcnt(0)
	v_add_u32_e32 v8, v9, v8
	s_or_b64 s[14:15], s[16:17], s[14:15]
	v_add_u32_e32 v1, 0x200, v1
	s_andn2_b64 exec, exec, s[14:15]
	s_cbranch_execz .LBB241_59
.LBB241_49:                             ; =>This Inner Loop Header: Depth=1
	ds_read2_b64 v[12:15], v6 offset1:1
	ds_read_b32 v10, v1
	s_waitcnt lgkmcnt(1)
	buffer_store_dword v15, off, s[0:3], 0 offset:12
	buffer_store_dword v14, off, s[0:3], 0 offset:8
	;; [unrolled: 1-line block ×3, first 2 shown]
	buffer_store_dword v12, off, s[0:3], 0
	s_waitcnt lgkmcnt(0)
	v_cmp_gt_i32_e32 vcc, s33, v10
	v_and_b32_e32 v11, vcc_lo, v2
	s_bcnt1_i32_b64 s16, vcc
	v_and_b32_e32 v9, vcc_hi, v3
	v_bcnt_u32_b32 v11, v11, 0
	v_bcnt_u32_b32 v9, v9, v11
	v_mov_b32_e32 v11, s16
	s_barrier
	ds_write_b32 v5, v11 offset:5120
	s_waitcnt lgkmcnt(0)
	s_barrier
	s_and_saveexec_b64 s[16:17], s[6:7]
	s_cbranch_execnz .LBB241_54
; %bb.50:                               ;   in Loop: Header=BB241_49 Depth=1
	s_or_b64 exec, exec, s[16:17]
	s_and_saveexec_b64 s[16:17], s[8:9]
	s_cbranch_execnz .LBB241_55
.LBB241_51:                             ;   in Loop: Header=BB241_49 Depth=1
	s_or_b64 exec, exec, s[16:17]
	s_and_saveexec_b64 s[16:17], s[10:11]
	s_cbranch_execnz .LBB241_56
.LBB241_52:                             ;   in Loop: Header=BB241_49 Depth=1
	s_or_b64 exec, exec, s[16:17]
	s_and_saveexec_b64 s[16:17], vcc
	s_cbranch_execnz .LBB241_57
.LBB241_53:                             ;   in Loop: Header=BB241_49 Depth=1
	s_or_b64 exec, exec, s[16:17]
	s_and_saveexec_b64 s[16:17], s[4:5]
	s_cbranch_execz .LBB241_48
	s_branch .LBB241_58
.LBB241_54:                             ;   in Loop: Header=BB241_49 Depth=1
	ds_read_b32 v11, v4 offset:5120
	s_waitcnt lgkmcnt(0)
	v_add_u32_e32 v9, v11, v9
	s_or_b64 exec, exec, s[16:17]
	s_and_saveexec_b64 s[16:17], s[8:9]
	s_cbranch_execz .LBB241_51
.LBB241_55:                             ;   in Loop: Header=BB241_49 Depth=1
	ds_read_b32 v11, v4 offset:5124
	s_waitcnt lgkmcnt(0)
	v_add_u32_e32 v9, v11, v9
	s_or_b64 exec, exec, s[16:17]
	s_and_saveexec_b64 s[16:17], s[10:11]
	s_cbranch_execz .LBB241_52
.LBB241_56:                             ;   in Loop: Header=BB241_49 Depth=1
	ds_read_b32 v11, v4 offset:5128
	s_waitcnt lgkmcnt(0)
	v_add_u32_e32 v9, v11, v9
	s_or_b64 exec, exec, s[16:17]
	s_and_saveexec_b64 s[16:17], vcc
	s_cbranch_execz .LBB241_53
.LBB241_57:                             ;   in Loop: Header=BB241_49 Depth=1
	buffer_load_dword v12, off, s[0:3], 0
	buffer_load_dword v13, off, s[0:3], 0 offset:4
	buffer_load_dword v14, off, s[0:3], 0 offset:8
	;; [unrolled: 1-line block ×3, first 2 shown]
	v_add3_u32 v11, v8, -1, v9
	v_lshl_add_u32 v16, v11, 2, 0
	v_lshl_add_u32 v11, v11, 4, 0
	ds_write_b32 v16, v10
	s_waitcnt vmcnt(0)
	ds_write2_b64 v11, v[12:13], v[14:15] offset0:128 offset1:129
	s_or_b64 exec, exec, s[16:17]
	s_and_saveexec_b64 s[16:17], s[4:5]
	s_cbranch_execz .LBB241_48
.LBB241_58:                             ;   in Loop: Header=BB241_49 Depth=1
	ds_write_b32 v4, v9 offset:5132
	s_branch .LBB241_48
.LBB241_59:
	s_or_b64 exec, exec, s[12:13]
	s_ashr_i32 s35, s34, 31
	s_lshl_b64 s[4:5], s[34:35], 3
	s_add_u32 s4, s18, s4
	s_addc_u32 s5, s19, s5
	s_load_dwordx4 s[4:7], s[4:5], 0x0
	s_waitcnt lgkmcnt(0)
	s_sub_i32 s12, s6, s4
	v_cmp_gt_i32_e32 vcc, s12, v0
	s_and_saveexec_b64 s[8:9], vcc
	s_cbranch_execz .LBB241_69
; %bb.60:
	s_sub_u32 s8, s4, s30
	s_subb_u32 s9, s5, 0
	s_and_b32 s13, s12, 7
	s_sub_i32 s4, s4, s6
	s_cmp_lt_u32 s4, -7
	s_cselect_b64 s[4:5], -1, 0
	s_and_b32 s14, s12, -8
	s_cmp_lg_u32 s13, 0
	v_cndmask_b32_e64 v1, 0, 1, s[4:5]
	s_cselect_b64 s[6:7], -1, 0
	v_cmp_ne_u32_e64 s[4:5], 1, v1
	v_cndmask_b32_e64 v1, 0, 1, s[6:7]
	s_mov_b64 s[10:11], 0
	v_cmp_ne_u32_e64 s[6:7], 1, v1
	s_waitcnt vmcnt(0)
	s_branch .LBB241_62
.LBB241_61:                             ;   in Loop: Header=BB241_62 Depth=1
	v_mad_u64_u32 v[2:3], s[16:17], v0, 12, v[2:3]
	v_lshlrev_b64 v[6:7], 2, v[4:5]
	v_mov_b32_e32 v3, s37
	v_add_co_u32_e32 v6, vcc, s36, v6
	s_waitcnt lgkmcnt(0)
	v_add_u32_e32 v1, s30, v1
	v_addc_co_u32_e32 v7, vcc, v3, v7, vcc
	global_store_dword v[6:7], v1, off
	v_lshlrev_b64 v[6:7], 4, v[4:5]
	ds_read2_b64 v[2:5], v2 offset0:128 offset1:129
	v_mov_b32_e32 v1, s39
	v_add_co_u32_e32 v6, vcc, s38, v6
	v_addc_co_u32_e32 v7, vcc, v1, v7, vcc
	v_add_u32_e32 v0, 0x80, v0
	v_cmp_le_i32_e32 vcc, s12, v0
	s_or_b64 s[10:11], vcc, s[10:11]
	s_waitcnt lgkmcnt(0)
	global_store_dwordx4 v[6:7], v[2:5], off
	s_andn2_b64 exec, exec, s[10:11]
	s_cbranch_execz .LBB241_69
.LBB241_62:                             ; =>This Loop Header: Depth=1
                                        ;     Child Loop BB241_64 Depth 2
                                        ;     Child Loop BB241_68 Depth 2
	v_lshl_add_u32 v2, v0, 2, 0
	ds_read_b32 v1, v2
	s_and_b64 vcc, exec, s[4:5]
	v_pk_mov_b32 v[4:5], s[8:9], s[8:9] op_sel:[0,1]
	s_mov_b32 s15, 0
	s_cbranch_vccnz .LBB241_66
; %bb.63:                               ;   in Loop: Header=BB241_62 Depth=1
	s_mov_b32 s16, 0
	v_pk_mov_b32 v[4:5], s[8:9], s[8:9] op_sel:[0,1]
.LBB241_64:                             ;   Parent Loop BB241_62 Depth=1
                                        ; =>  This Inner Loop Header: Depth=2
	v_mov_b32_e32 v3, s16
	ds_read2_b32 v[6:7], v3 offset1:1
	ds_read2_b32 v[8:9], v3 offset0:2 offset1:3
	ds_read2_b32 v[10:11], v3 offset0:4 offset1:5
	ds_read2_b32 v[12:13], v3 offset0:6 offset1:7
	s_add_i32 s15, s15, 8
	s_waitcnt lgkmcnt(3)
	v_cmp_gt_i32_e32 vcc, v1, v6
	v_cndmask_b32_e64 v3, 0, 1, vcc
	v_cmp_gt_i32_e32 vcc, v1, v7
	v_cndmask_b32_e64 v6, 0, 1, vcc
	s_waitcnt lgkmcnt(2)
	v_cmp_gt_i32_e32 vcc, v1, v8
	v_cndmask_b32_e64 v7, 0, 1, vcc
	v_cmp_gt_i32_e32 vcc, v1, v9
	v_cndmask_b32_e64 v8, 0, 1, vcc
	;; [unrolled: 5-line block ×4, first 2 shown]
	v_add_co_u32_e32 v3, vcc, v4, v3
	v_addc_co_u32_e32 v4, vcc, 0, v5, vcc
	v_add_co_u32_e32 v3, vcc, v3, v6
	v_addc_co_u32_e32 v4, vcc, 0, v4, vcc
	;; [unrolled: 2-line block ×7, first 2 shown]
	s_add_i32 s16, s16, 32
	v_add_co_u32_e32 v4, vcc, v3, v12
	s_cmp_eq_u32 s14, s15
	v_addc_co_u32_e32 v5, vcc, 0, v5, vcc
	s_cbranch_scc0 .LBB241_64
; %bb.65:                               ;   in Loop: Header=BB241_62 Depth=1
	s_mov_b32 s15, s14
.LBB241_66:                             ;   in Loop: Header=BB241_62 Depth=1
	s_and_b64 vcc, exec, s[6:7]
	s_cbranch_vccnz .LBB241_61
; %bb.67:                               ;   in Loop: Header=BB241_62 Depth=1
	s_lshl_b32 s15, s15, 2
	s_add_i32 s15, s15, 0
	s_mov_b32 s16, s13
.LBB241_68:                             ;   Parent Loop BB241_62 Depth=1
                                        ; =>  This Inner Loop Header: Depth=2
	v_mov_b32_e32 v3, s15
	ds_read_b32 v3, v3
	s_add_i32 s15, s15, 4
	s_add_i32 s16, s16, -1
	s_cmp_lg_u32 s16, 0
	s_waitcnt lgkmcnt(0)
	v_cmp_gt_i32_e32 vcc, v1, v3
	v_cndmask_b32_e64 v3, 0, 1, vcc
	v_add_co_u32_e32 v4, vcc, v4, v3
	v_addc_co_u32_e32 v5, vcc, 0, v5, vcc
	s_cbranch_scc1 .LBB241_68
	s_branch .LBB241_61
.LBB241_69:
	s_endpgm
	.section	.rodata,"a",@progbits
	.p2align	6, 0x0
	.amdhsa_kernel _ZN9rocsparseL26csrgemm_fill_block_per_rowILj128ELj16ELj256ELj137ELj32Eli21rocsparse_complex_numIdEEEvT5_PKS3_S5_NS_24const_host_device_scalarIT6_EEPKT4_S5_PKS7_SB_S5_SD_S8_SB_S5_SD_SB_PS3_PS7_21rocsparse_index_base_SG_SG_SG_bbb
		.amdhsa_group_segment_fixed_size 0
		.amdhsa_private_segment_fixed_size 40
		.amdhsa_kernarg_size 172
		.amdhsa_user_sgpr_count 8
		.amdhsa_user_sgpr_private_segment_buffer 1
		.amdhsa_user_sgpr_dispatch_ptr 0
		.amdhsa_user_sgpr_queue_ptr 0
		.amdhsa_user_sgpr_kernarg_segment_ptr 1
		.amdhsa_user_sgpr_dispatch_id 0
		.amdhsa_user_sgpr_flat_scratch_init 1
		.amdhsa_user_sgpr_kernarg_preload_length 0
		.amdhsa_user_sgpr_kernarg_preload_offset 0
		.amdhsa_user_sgpr_private_segment_size 0
		.amdhsa_uses_dynamic_stack 0
		.amdhsa_system_sgpr_private_segment_wavefront_offset 1
		.amdhsa_system_sgpr_workgroup_id_x 1
		.amdhsa_system_sgpr_workgroup_id_y 0
		.amdhsa_system_sgpr_workgroup_id_z 0
		.amdhsa_system_sgpr_workgroup_info 0
		.amdhsa_system_vgpr_workitem_id 0
		.amdhsa_next_free_vgpr 36
		.amdhsa_next_free_sgpr 60
		.amdhsa_accum_offset 36
		.amdhsa_reserve_vcc 1
		.amdhsa_reserve_flat_scratch 1
		.amdhsa_float_round_mode_32 0
		.amdhsa_float_round_mode_16_64 0
		.amdhsa_float_denorm_mode_32 3
		.amdhsa_float_denorm_mode_16_64 3
		.amdhsa_dx10_clamp 1
		.amdhsa_ieee_mode 1
		.amdhsa_fp16_overflow 0
		.amdhsa_tg_split 0
		.amdhsa_exception_fp_ieee_invalid_op 0
		.amdhsa_exception_fp_denorm_src 0
		.amdhsa_exception_fp_ieee_div_zero 0
		.amdhsa_exception_fp_ieee_overflow 0
		.amdhsa_exception_fp_ieee_underflow 0
		.amdhsa_exception_fp_ieee_inexact 0
		.amdhsa_exception_int_div_zero 0
	.end_amdhsa_kernel
	.section	.text._ZN9rocsparseL26csrgemm_fill_block_per_rowILj128ELj16ELj256ELj137ELj32Eli21rocsparse_complex_numIdEEEvT5_PKS3_S5_NS_24const_host_device_scalarIT6_EEPKT4_S5_PKS7_SB_S5_SD_S8_SB_S5_SD_SB_PS3_PS7_21rocsparse_index_base_SG_SG_SG_bbb,"axG",@progbits,_ZN9rocsparseL26csrgemm_fill_block_per_rowILj128ELj16ELj256ELj137ELj32Eli21rocsparse_complex_numIdEEEvT5_PKS3_S5_NS_24const_host_device_scalarIT6_EEPKT4_S5_PKS7_SB_S5_SD_S8_SB_S5_SD_SB_PS3_PS7_21rocsparse_index_base_SG_SG_SG_bbb,comdat
.Lfunc_end241:
	.size	_ZN9rocsparseL26csrgemm_fill_block_per_rowILj128ELj16ELj256ELj137ELj32Eli21rocsparse_complex_numIdEEEvT5_PKS3_S5_NS_24const_host_device_scalarIT6_EEPKT4_S5_PKS7_SB_S5_SD_S8_SB_S5_SD_SB_PS3_PS7_21rocsparse_index_base_SG_SG_SG_bbb, .Lfunc_end241-_ZN9rocsparseL26csrgemm_fill_block_per_rowILj128ELj16ELj256ELj137ELj32Eli21rocsparse_complex_numIdEEEvT5_PKS3_S5_NS_24const_host_device_scalarIT6_EEPKT4_S5_PKS7_SB_S5_SD_S8_SB_S5_SD_SB_PS3_PS7_21rocsparse_index_base_SG_SG_SG_bbb
                                        ; -- End function
	.section	.AMDGPU.csdata,"",@progbits
; Kernel info:
; codeLenInByte = 2924
; NumSgprs: 66
; NumVgprs: 36
; NumAgprs: 0
; TotalNumVgprs: 36
; ScratchSize: 40
; MemoryBound: 0
; FloatMode: 240
; IeeeMode: 1
; LDSByteSize: 0 bytes/workgroup (compile time only)
; SGPRBlocks: 8
; VGPRBlocks: 4
; NumSGPRsForWavesPerEU: 66
; NumVGPRsForWavesPerEU: 36
; AccumOffset: 36
; Occupancy: 8
; WaveLimiterHint : 1
; COMPUTE_PGM_RSRC2:SCRATCH_EN: 1
; COMPUTE_PGM_RSRC2:USER_SGPR: 8
; COMPUTE_PGM_RSRC2:TRAP_HANDLER: 0
; COMPUTE_PGM_RSRC2:TGID_X_EN: 1
; COMPUTE_PGM_RSRC2:TGID_Y_EN: 0
; COMPUTE_PGM_RSRC2:TGID_Z_EN: 0
; COMPUTE_PGM_RSRC2:TIDIG_COMP_CNT: 0
; COMPUTE_PGM_RSRC3_GFX90A:ACCUM_OFFSET: 8
; COMPUTE_PGM_RSRC3_GFX90A:TG_SPLIT: 0
	.section	.text._ZN9rocsparseL26csrgemm_fill_block_per_rowILj128ELj16ELj256ELj137ELj64Eli21rocsparse_complex_numIdEEEvT5_PKS3_S5_NS_24const_host_device_scalarIT6_EEPKT4_S5_PKS7_SB_S5_SD_S8_SB_S5_SD_SB_PS3_PS7_21rocsparse_index_base_SG_SG_SG_bbb,"axG",@progbits,_ZN9rocsparseL26csrgemm_fill_block_per_rowILj128ELj16ELj256ELj137ELj64Eli21rocsparse_complex_numIdEEEvT5_PKS3_S5_NS_24const_host_device_scalarIT6_EEPKT4_S5_PKS7_SB_S5_SD_S8_SB_S5_SD_SB_PS3_PS7_21rocsparse_index_base_SG_SG_SG_bbb,comdat
	.globl	_ZN9rocsparseL26csrgemm_fill_block_per_rowILj128ELj16ELj256ELj137ELj64Eli21rocsparse_complex_numIdEEEvT5_PKS3_S5_NS_24const_host_device_scalarIT6_EEPKT4_S5_PKS7_SB_S5_SD_S8_SB_S5_SD_SB_PS3_PS7_21rocsparse_index_base_SG_SG_SG_bbb ; -- Begin function _ZN9rocsparseL26csrgemm_fill_block_per_rowILj128ELj16ELj256ELj137ELj64Eli21rocsparse_complex_numIdEEEvT5_PKS3_S5_NS_24const_host_device_scalarIT6_EEPKT4_S5_PKS7_SB_S5_SD_S8_SB_S5_SD_SB_PS3_PS7_21rocsparse_index_base_SG_SG_SG_bbb
	.p2align	8
	.type	_ZN9rocsparseL26csrgemm_fill_block_per_rowILj128ELj16ELj256ELj137ELj64Eli21rocsparse_complex_numIdEEEvT5_PKS3_S5_NS_24const_host_device_scalarIT6_EEPKT4_S5_PKS7_SB_S5_SD_S8_SB_S5_SD_SB_PS3_PS7_21rocsparse_index_base_SG_SG_SG_bbb,@function
_ZN9rocsparseL26csrgemm_fill_block_per_rowILj128ELj16ELj256ELj137ELj64Eli21rocsparse_complex_numIdEEEvT5_PKS3_S5_NS_24const_host_device_scalarIT6_EEPKT4_S5_PKS7_SB_S5_SD_S8_SB_S5_SD_SB_PS3_PS7_21rocsparse_index_base_SG_SG_SG_bbb: ; @_ZN9rocsparseL26csrgemm_fill_block_per_rowILj128ELj16ELj256ELj137ELj64Eli21rocsparse_complex_numIdEEEvT5_PKS3_S5_NS_24const_host_device_scalarIT6_EEPKT4_S5_PKS7_SB_S5_SD_S8_SB_S5_SD_SB_PS3_PS7_21rocsparse_index_base_SG_SG_SG_bbb
; %bb.0:
	s_add_u32 flat_scratch_lo, s6, s9
	s_addc_u32 flat_scratch_hi, s7, 0
	s_add_u32 s0, s0, s9
	s_load_dword s9, s[4:5], 0xa8
	s_load_dwordx4 s[16:19], s[4:5], 0x18
	s_load_dwordx4 s[12:15], s[4:5], 0x58
	s_addc_u32 s1, s1, 0
	v_pk_mov_b32 v[2:3], 0, 0
	s_waitcnt lgkmcnt(0)
	s_bitcmp1_b32 s9, 0
	v_mov_b32_e32 v1, s17
	s_cselect_b64 s[48:49], -1, 0
	s_bitcmp1_b32 s9, 16
	buffer_store_dword v1, off, s[0:3], 0 offset:20
	v_mov_b32_e32 v1, s16
	s_cselect_b64 s[6:7], -1, 0
	buffer_store_dword v1, off, s[0:3], 0 offset:16
	v_mov_b32_e32 v1, s13
	buffer_store_dword v1, off, s[0:3], 0 offset:28
	v_mov_b32_e32 v1, s12
	s_xor_b64 s[10:11], s[6:7], -1
	buffer_store_dword v1, off, s[0:3], 0 offset:24
	v_cndmask_b32_e64 v1, 0, 1, s[10:11]
	s_bitcmp0_b32 s9, 0
	v_cmp_ne_u32_e64 s[10:11], 1, v1
	v_pk_mov_b32 v[6:7], v[2:3], v[2:3] op_sel:[0,1]
	v_pk_mov_b32 v[8:9], v[2:3], v[2:3] op_sel:[0,1]
	s_cbranch_scc1 .LBB242_3
; %bb.1:
	s_mov_b64 s[20:21], src_private_base
	s_and_b64 s[22:23], s[6:7], exec
	s_cselect_b32 s20, s21, s17
	v_mov_b32_e32 v1, 16
	v_mov_b32_e32 v4, s16
	v_cndmask_b32_e64 v4, v4, v1, s[6:7]
	v_mov_b32_e32 v5, s20
	flat_load_dwordx2 v[6:7], v[4:5]
	s_and_b64 vcc, exec, s[10:11]
	v_pk_mov_b32 v[8:9], s[18:19], s[18:19] op_sel:[0,1]
	s_cbranch_vccnz .LBB242_3
; %bb.2:
	v_pk_mov_b32 v[4:5], s[16:17], s[16:17] op_sel:[0,1]
	flat_load_dwordx2 v[8:9], v[4:5] offset:8
.LBB242_3:
	s_load_dwordx4 s[28:31], s[4:5], 0x98
	s_bitcmp1_b32 s9, 8
	s_cselect_b64 s[34:35], -1, 0
	s_bfe_u32 s9, s9, 0x10008
	s_cmp_eq_u32 s9, 0
	v_pk_mov_b32 v[4:5], v[2:3], v[2:3] op_sel:[0,1]
	s_cbranch_scc1 .LBB242_6
; %bb.4:
	s_mov_b64 s[16:17], src_private_base
	s_and_b64 s[18:19], s[6:7], exec
	s_cselect_b32 s9, s17, s13
	v_mov_b32_e32 v1, 24
	v_mov_b32_e32 v2, s12
	v_cndmask_b32_e64 v2, v2, v1, s[6:7]
	v_mov_b32_e32 v3, s9
	flat_load_dwordx2 v[4:5], v[2:3]
	s_and_b64 vcc, exec, s[10:11]
	v_pk_mov_b32 v[2:3], s[14:15], s[14:15] op_sel:[0,1]
	s_cbranch_vccnz .LBB242_6
; %bb.5:
	v_pk_mov_b32 v[2:3], s[12:13], s[12:13] op_sel:[0,1]
	flat_load_dwordx2 v[2:3], v[2:3] offset:8
.LBB242_6:
	s_load_dwordx4 s[36:39], s[4:5], 0x88
	s_load_dwordx8 s[12:19], s[4:5], 0x68
	s_load_dwordx4 s[40:43], s[4:5], 0x48
	s_load_dwordx8 s[20:27], s[4:5], 0x28
	s_load_dwordx4 s[44:47], s[4:5], 0x8
	s_load_dword s33, s[4:5], 0x0
	s_movk_i32 s4, 0x100
	v_cmp_gt_u32_e64 s[4:5], s4, v0
	v_lshl_add_u32 v25, v0, 4, 0
	v_lshl_add_u32 v1, v0, 2, 0
	s_and_saveexec_b64 s[6:7], s[4:5]
	s_cbranch_execz .LBB242_9
; %bb.7:
	s_mov_b32 s50, 0
	s_mov_b32 s51, s50
	;; [unrolled: 1-line block ×4, first 2 shown]
	v_add_u32_e32 v14, 0x400, v25
	v_or_b32_e32 v15, 0xffffff80, v0
	v_lshl_add_u32 v16, v0, 2, 0
	s_mov_b64 s[10:11], 0
	s_waitcnt lgkmcnt(0)
	v_mov_b32_e32 v17, s33
	v_pk_mov_b32 v[10:11], s[50:51], s[50:51] op_sel:[0,1]
	v_pk_mov_b32 v[12:13], s[52:53], s[52:53] op_sel:[0,1]
.LBB242_8:                              ; =>This Inner Loop Header: Depth=1
	v_add_co_u32_e32 v15, vcc, 0x80, v15
	s_xor_b64 s[50:51], vcc, -1
	s_and_b64 s[50:51], exec, s[50:51]
	ds_write_b32 v16, v17
	ds_write2_b64 v14, v[10:11], v[12:13] offset1:1
	v_add_u32_e32 v14, 0x800, v14
	s_or_b64 s[10:11], s[50:51], s[10:11]
	v_add_u32_e32 v16, 0x200, v16
	s_andn2_b64 exec, exec, s[10:11]
	s_cbranch_execnz .LBB242_8
.LBB242_9:
	s_or_b64 exec, exec, s[6:7]
	s_waitcnt lgkmcnt(0)
	s_barrier
	s_load_dword s6, s[44:45], 0x0
	s_mov_b32 s7, 0
	v_lshrrev_b32_e32 v26, 4, v0
	s_waitcnt lgkmcnt(0)
	s_add_i32 s6, s6, s8
	s_lshl_b64 s[6:7], s[6:7], 2
	s_add_u32 s6, s46, s6
	s_addc_u32 s7, s47, s7
	s_load_dword s8, s[6:7], 0x0
	s_and_b64 vcc, exec, s[48:49]
	s_cbranch_vccz .LBB242_29
; %bb.10:
	s_waitcnt lgkmcnt(0)
	s_ashr_i32 s9, s8, 31
	s_lshl_b64 s[6:7], s[8:9], 3
	s_add_u32 s6, s20, s6
	s_addc_u32 s7, s21, s7
	s_load_dwordx4 s[44:47], s[6:7], 0x0
	v_subrev_co_u32_e32 v10, vcc, s28, v26
	v_subb_co_u32_e64 v11, s[6:7], 0, 0, vcc
	s_waitcnt lgkmcnt(0)
	s_sub_u32 s6, s46, s28
	v_mov_b32_e32 v12, s45
	v_add_co_u32_e32 v10, vcc, s44, v10
	s_subb_u32 s7, s47, 0
	v_addc_co_u32_e32 v11, vcc, v12, v11, vcc
	v_cmp_gt_i64_e32 vcc, s[6:7], v[10:11]
	s_and_saveexec_b64 s[10:11], vcc
	s_cbranch_execz .LBB242_28
; %bb.11:
	v_and_b32_e32 v12, 15, v0
	v_subrev_co_u32_e32 v27, vcc, s29, v12
	s_mov_b32 s44, 0
	v_subb_co_u32_e64 v28, s[20:21], 0, 0, vcc
	s_mov_b32 s9, s29
	s_mov_b64 s[20:21], 0
	v_mov_b32_e32 v29, s23
	v_mov_b32_e32 v30, s27
	;; [unrolled: 1-line block ×3, first 2 shown]
	s_movk_i32 s23, 0x89
	s_branch .LBB242_13
.LBB242_12:                             ;   in Loop: Header=BB242_13 Depth=1
	s_or_b64 exec, exec, s[44:45]
	v_add_co_u32_e32 v10, vcc, 8, v10
	v_addc_co_u32_e32 v11, vcc, 0, v11, vcc
	v_cmp_le_i64_e32 vcc, s[6:7], v[10:11]
	s_or_b64 s[20:21], vcc, s[20:21]
	s_andn2_b64 exec, exec, s[20:21]
	s_cbranch_execz .LBB242_28
.LBB242_13:                             ; =>This Loop Header: Depth=1
                                        ;     Child Loop BB242_16 Depth 2
                                        ;       Child Loop BB242_18 Depth 3
	v_lshlrev_b64 v[12:13], 2, v[10:11]
	v_add_co_u32_e32 v12, vcc, s22, v12
	v_addc_co_u32_e32 v13, vcc, v29, v13, vcc
	global_load_dword v12, v[12:13], off
	s_waitcnt vmcnt(0)
	v_subrev_u32_e32 v12, s28, v12
	v_ashrrev_i32_e32 v13, 31, v12
	v_lshlrev_b64 v[12:13], 3, v[12:13]
	v_add_co_u32_e32 v12, vcc, s26, v12
	v_addc_co_u32_e32 v13, vcc, v30, v13, vcc
	global_load_dwordx4 v[14:17], v[12:13], off
	s_waitcnt vmcnt(0)
	v_subrev_co_u32_e32 v12, vcc, s9, v16
	v_subb_co_u32_e32 v13, vcc, v17, v31, vcc
	v_add_co_u32_e32 v14, vcc, v14, v27
	v_addc_co_u32_e32 v15, vcc, v15, v28, vcc
	v_cmp_lt_i64_e32 vcc, v[14:15], v[12:13]
	s_and_saveexec_b64 s[44:45], vcc
	s_cbranch_execz .LBB242_12
; %bb.14:                               ;   in Loop: Header=BB242_13 Depth=1
	v_lshlrev_b64 v[16:17], 4, v[10:11]
	v_mov_b32_e32 v18, s25
	v_add_co_u32_e32 v16, vcc, s24, v16
	v_addc_co_u32_e32 v17, vcc, v18, v17, vcc
	global_load_dwordx4 v[20:23], v[16:17], off
	s_mov_b64 s[46:47], 0
	s_waitcnt vmcnt(0)
	v_mul_f64 v[16:17], v[22:23], -v[8:9]
	v_mul_f64 v[18:19], v[6:7], v[22:23]
	v_fmac_f64_e32 v[16:17], v[6:7], v[20:21]
	v_fmac_f64_e32 v[18:19], v[8:9], v[20:21]
	s_branch .LBB242_16
.LBB242_15:                             ;   in Loop: Header=BB242_16 Depth=2
	s_or_b64 exec, exec, s[48:49]
	v_add_co_u32_e32 v14, vcc, 16, v14
	v_addc_co_u32_e32 v15, vcc, 0, v15, vcc
	v_cmp_ge_i64_e32 vcc, v[14:15], v[12:13]
	s_or_b64 s[46:47], vcc, s[46:47]
	s_andn2_b64 exec, exec, s[46:47]
	s_cbranch_execz .LBB242_12
.LBB242_16:                             ;   Parent Loop BB242_13 Depth=1
                                        ; =>  This Loop Header: Depth=2
                                        ;       Child Loop BB242_18 Depth 3
	v_lshlrev_b64 v[20:21], 2, v[14:15]
	v_mov_b32_e32 v22, s41
	v_add_co_u32_e32 v20, vcc, s40, v20
	v_addc_co_u32_e32 v21, vcc, v22, v21, vcc
	global_load_dword v22, v[20:21], off
	v_lshlrev_b64 v[20:21], 4, v[14:15]
	v_mov_b32_e32 v23, s43
	v_add_co_u32_e32 v20, vcc, s42, v20
	v_addc_co_u32_e32 v21, vcc, v23, v21, vcc
	global_load_dwordx4 v[34:37], v[20:21], off
	s_mov_b64 s[48:49], 0
	s_waitcnt vmcnt(1)
	v_subrev_u32_e32 v32, s29, v22
	v_mul_lo_u32 v24, v32, s23
	v_and_b32_e32 v33, 0xff, v24
	s_waitcnt vmcnt(0)
	v_mul_f64 v[20:21], v[36:37], -v[18:19]
	v_mul_f64 v[22:23], v[16:17], v[36:37]
	v_fmac_f64_e32 v[20:21], v[16:17], v[34:35]
	v_fmac_f64_e32 v[22:23], v[18:19], v[34:35]
	s_branch .LBB242_18
.LBB242_17:                             ;   in Loop: Header=BB242_18 Depth=3
	s_or_b64 exec, exec, s[50:51]
	s_xor_b64 s[50:51], s[52:53], -1
	s_and_b64 s[50:51], exec, s[50:51]
	s_or_b64 s[48:49], s[50:51], s[48:49]
	s_andn2_b64 exec, exec, s[48:49]
	s_cbranch_execz .LBB242_15
.LBB242_18:                             ;   Parent Loop BB242_13 Depth=1
                                        ;     Parent Loop BB242_16 Depth=2
                                        ; =>    This Inner Loop Header: Depth=3
	v_lshl_add_u32 v24, v33, 2, 0
	ds_read_b32 v34, v24
                                        ; implicit-def: $sgpr52_sgpr53
	s_waitcnt lgkmcnt(0)
	v_cmp_ne_u32_e32 vcc, v34, v32
	s_and_saveexec_b64 s[50:51], vcc
	s_xor_b64 s[50:51], exec, s[50:51]
	s_cbranch_execz .LBB242_26
; %bb.19:                               ;   in Loop: Header=BB242_18 Depth=3
	v_cmp_ne_u32_e32 vcc, s33, v34
                                        ; implicit-def: $sgpr52_sgpr53
	s_and_saveexec_b64 s[54:55], vcc
	s_xor_b64 s[54:55], exec, s[54:55]
; %bb.20:                               ;   in Loop: Header=BB242_18 Depth=3
	v_add_u32_e32 v24, 1, v33
	v_and_b32_e32 v33, 0xff, v24
	s_mov_b64 s[52:53], -1
                                        ; implicit-def: $vgpr24
; %bb.21:                               ;   in Loop: Header=BB242_18 Depth=3
	s_andn2_saveexec_b64 s[54:55], s[54:55]
	s_cbranch_execz .LBB242_25
; %bb.22:                               ;   in Loop: Header=BB242_18 Depth=3
	v_mov_b32_e32 v34, s33
	ds_cmpst_rtn_b32 v34, v24, v34, v32
	s_mov_b64 s[58:59], -1
	s_waitcnt lgkmcnt(0)
	v_cmp_eq_u32_e32 vcc, s33, v34
	s_and_saveexec_b64 s[56:57], vcc
	s_cbranch_execz .LBB242_24
; %bb.23:                               ;   in Loop: Header=BB242_18 Depth=3
	v_mad_u64_u32 v[34:35], s[58:59], v33, 12, v[24:25]
	ds_add_f64 v34, v[20:21] offset:1024
	ds_add_f64 v34, v[22:23] offset:1032
	s_xor_b64 s[58:59], exec, -1
.LBB242_24:                             ;   in Loop: Header=BB242_18 Depth=3
	s_or_b64 exec, exec, s[56:57]
	s_andn2_b64 s[52:53], s[52:53], exec
	s_and_b64 s[56:57], s[58:59], exec
	s_or_b64 s[52:53], s[52:53], s[56:57]
.LBB242_25:                             ;   in Loop: Header=BB242_18 Depth=3
	s_or_b64 exec, exec, s[54:55]
	s_and_b64 s[52:53], s[52:53], exec
                                        ; implicit-def: $vgpr24
.LBB242_26:                             ;   in Loop: Header=BB242_18 Depth=3
	s_andn2_saveexec_b64 s[50:51], s[50:51]
	s_cbranch_execz .LBB242_17
; %bb.27:                               ;   in Loop: Header=BB242_18 Depth=3
	v_mad_u64_u32 v[34:35], s[54:55], v33, 12, v[24:25]
	ds_add_f64 v34, v[20:21] offset:1024
	ds_add_f64 v34, v[22:23] offset:1032
	s_andn2_b64 s[52:53], s[52:53], exec
	s_branch .LBB242_17
.LBB242_28:
	s_or_b64 exec, exec, s[10:11]
.LBB242_29:
	s_andn2_b64 vcc, exec, s[34:35]
	s_cbranch_vccnz .LBB242_46
; %bb.30:
	s_waitcnt lgkmcnt(0)
	s_ashr_i32 s9, s8, 31
	s_lshl_b64 s[6:7], s[8:9], 3
	s_add_u32 s6, s12, s6
	s_addc_u32 s7, s13, s7
	s_load_dwordx4 s[20:23], s[6:7], 0x0
	s_waitcnt vmcnt(0)
	v_subrev_co_u32_e32 v6, vcc, s31, v0
	v_subb_co_u32_e64 v7, s[6:7], 0, 0, vcc
	s_waitcnt lgkmcnt(0)
	s_sub_u32 s6, s22, s31
	v_mov_b32_e32 v8, s21
	v_add_co_u32_e32 v6, vcc, s20, v6
	s_subb_u32 s7, s23, 0
	v_addc_co_u32_e32 v7, vcc, v8, v7, vcc
	v_cmp_gt_i64_e32 vcc, s[6:7], v[6:7]
	s_and_saveexec_b64 s[10:11], vcc
	s_cbranch_execz .LBB242_45
; %bb.31:
	s_mov_b64 s[12:13], 0
	v_mov_b32_e32 v13, s15
	v_mov_b32_e32 v14, s17
	s_movk_i32 s9, 0x89
	s_branch .LBB242_33
.LBB242_32:                             ;   in Loop: Header=BB242_33 Depth=1
	s_or_b64 exec, exec, s[20:21]
	v_add_co_u32_e32 v6, vcc, 0x80, v6
	v_addc_co_u32_e32 v7, vcc, 0, v7, vcc
	v_cmp_le_i64_e32 vcc, s[6:7], v[6:7]
	s_or_b64 s[12:13], vcc, s[12:13]
	s_andn2_b64 exec, exec, s[12:13]
	s_cbranch_execz .LBB242_45
.LBB242_33:                             ; =>This Loop Header: Depth=1
                                        ;     Child Loop BB242_35 Depth 2
	v_lshlrev_b64 v[8:9], 2, v[6:7]
	v_add_co_u32_e32 v8, vcc, s14, v8
	v_addc_co_u32_e32 v9, vcc, v13, v9, vcc
	global_load_dword v10, v[8:9], off
	v_lshlrev_b64 v[8:9], 4, v[6:7]
	v_add_co_u32_e32 v8, vcc, s16, v8
	v_addc_co_u32_e32 v9, vcc, v14, v9, vcc
	global_load_dwordx4 v[16:19], v[8:9], off
	s_mov_b64 s[20:21], 0
	s_waitcnt vmcnt(1)
	v_subrev_u32_e32 v15, s31, v10
	v_mul_lo_u32 v12, v15, s9
	s_waitcnt vmcnt(0)
	v_mul_f64 v[8:9], v[18:19], -v[2:3]
	v_mul_f64 v[10:11], v[4:5], v[18:19]
	v_fmac_f64_e32 v[8:9], v[4:5], v[16:17]
	v_fmac_f64_e32 v[10:11], v[2:3], v[16:17]
	v_and_b32_e32 v16, 0xff, v12
	s_branch .LBB242_35
.LBB242_34:                             ;   in Loop: Header=BB242_35 Depth=2
	s_or_b64 exec, exec, s[22:23]
	s_xor_b64 s[22:23], s[24:25], -1
	s_and_b64 s[22:23], exec, s[22:23]
	s_or_b64 s[20:21], s[22:23], s[20:21]
	s_andn2_b64 exec, exec, s[20:21]
	s_cbranch_execz .LBB242_32
.LBB242_35:                             ;   Parent Loop BB242_33 Depth=1
                                        ; =>  This Inner Loop Header: Depth=2
	v_lshl_add_u32 v12, v16, 2, 0
	ds_read_b32 v17, v12
                                        ; implicit-def: $sgpr24_sgpr25
	s_waitcnt lgkmcnt(0)
	v_cmp_ne_u32_e32 vcc, v17, v15
	s_and_saveexec_b64 s[22:23], vcc
	s_xor_b64 s[22:23], exec, s[22:23]
	s_cbranch_execz .LBB242_43
; %bb.36:                               ;   in Loop: Header=BB242_35 Depth=2
	v_cmp_ne_u32_e32 vcc, s33, v17
                                        ; implicit-def: $sgpr24_sgpr25
	s_and_saveexec_b64 s[26:27], vcc
	s_xor_b64 s[26:27], exec, s[26:27]
; %bb.37:                               ;   in Loop: Header=BB242_35 Depth=2
	v_add_u32_e32 v12, 1, v16
	v_and_b32_e32 v16, 0xff, v12
	s_mov_b64 s[24:25], -1
                                        ; implicit-def: $vgpr12
; %bb.38:                               ;   in Loop: Header=BB242_35 Depth=2
	s_andn2_saveexec_b64 s[26:27], s[26:27]
	s_cbranch_execz .LBB242_42
; %bb.39:                               ;   in Loop: Header=BB242_35 Depth=2
	v_mov_b32_e32 v17, s33
	ds_cmpst_rtn_b32 v17, v12, v17, v15
	s_mov_b64 s[34:35], -1
	s_waitcnt lgkmcnt(0)
	v_cmp_eq_u32_e32 vcc, s33, v17
	s_and_saveexec_b64 s[28:29], vcc
	s_cbranch_execz .LBB242_41
; %bb.40:                               ;   in Loop: Header=BB242_35 Depth=2
	v_mad_u64_u32 v[18:19], s[34:35], v16, 12, v[12:13]
	ds_add_f64 v18, v[8:9] offset:1024
	ds_add_f64 v18, v[10:11] offset:1032
	s_xor_b64 s[34:35], exec, -1
.LBB242_41:                             ;   in Loop: Header=BB242_35 Depth=2
	s_or_b64 exec, exec, s[28:29]
	s_andn2_b64 s[24:25], s[24:25], exec
	s_and_b64 s[28:29], s[34:35], exec
	s_or_b64 s[24:25], s[24:25], s[28:29]
.LBB242_42:                             ;   in Loop: Header=BB242_35 Depth=2
	s_or_b64 exec, exec, s[26:27]
	s_and_b64 s[24:25], s[24:25], exec
                                        ; implicit-def: $vgpr12
.LBB242_43:                             ;   in Loop: Header=BB242_35 Depth=2
	s_andn2_saveexec_b64 s[22:23], s[22:23]
	s_cbranch_execz .LBB242_34
; %bb.44:                               ;   in Loop: Header=BB242_35 Depth=2
	v_mad_u64_u32 v[18:19], s[26:27], v16, 12, v[12:13]
	ds_add_f64 v18, v[8:9] offset:1024
	ds_add_f64 v18, v[10:11] offset:1032
	s_andn2_b64 s[24:25], s[24:25], exec
	s_branch .LBB242_34
.LBB242_45:
	s_or_b64 exec, exec, s[10:11]
.LBB242_46:
	s_waitcnt lgkmcnt(0)
	s_barrier
	s_and_saveexec_b64 s[10:11], s[4:5]
	s_cbranch_execz .LBB242_55
; %bb.47:
	s_waitcnt vmcnt(0)
	v_mbcnt_lo_u32_b32 v2, -1, 0
	v_mbcnt_hi_u32_b32 v2, -1, v2
	v_sub_u32_e32 v2, 63, v2
	v_and_b32_e32 v5, 4, v26
	s_movk_i32 s6, 0x7f
	v_mov_b32_e32 v4, 0
	v_lshrrev_b64 v[2:3], v2, -1
	v_add_u32_e32 v5, 0, v5
	v_cmp_lt_u32_e64 s[4:5], 63, v0
	v_cmp_eq_u32_e64 s[6:7], s6, v0
	v_add_u32_e32 v6, 0x400, v25
	v_or_b32_e32 v7, 0xffffff80, v0
	s_mov_b64 s[12:13], 0
	v_mov_b32_e32 v8, 0
	s_branch .LBB242_49
.LBB242_48:                             ;   in Loop: Header=BB242_49 Depth=1
	s_or_b64 exec, exec, s[14:15]
	s_waitcnt lgkmcnt(0)
	s_barrier
	ds_read_b32 v9, v4 offset:5124
	v_add_co_u32_e32 v7, vcc, 0x80, v7
	s_xor_b64 s[14:15], vcc, -1
	s_and_b64 s[14:15], exec, s[14:15]
	v_add_u32_e32 v6, 0x800, v6
	s_waitcnt lgkmcnt(0)
	v_add_u32_e32 v8, v9, v8
	s_or_b64 s[12:13], s[14:15], s[12:13]
	v_add_u32_e32 v1, 0x200, v1
	s_andn2_b64 exec, exec, s[12:13]
	s_cbranch_execz .LBB242_55
.LBB242_49:                             ; =>This Inner Loop Header: Depth=1
	ds_read2_b64 v[12:15], v6 offset1:1
	ds_read_b32 v10, v1
	s_waitcnt lgkmcnt(1)
	buffer_store_dword v15, off, s[0:3], 0 offset:12
	buffer_store_dword v14, off, s[0:3], 0 offset:8
	buffer_store_dword v13, off, s[0:3], 0 offset:4
	buffer_store_dword v12, off, s[0:3], 0
	s_waitcnt lgkmcnt(0)
	v_cmp_gt_i32_e32 vcc, s33, v10
	v_and_b32_e32 v11, vcc_lo, v2
	s_bcnt1_i32_b64 s9, vcc
	v_and_b32_e32 v9, vcc_hi, v3
	v_bcnt_u32_b32 v11, v11, 0
	v_bcnt_u32_b32 v9, v9, v11
	v_mov_b32_e32 v11, s9
	s_barrier
	ds_write_b32 v5, v11 offset:5120
	s_waitcnt lgkmcnt(0)
	s_barrier
	s_and_saveexec_b64 s[14:15], s[4:5]
	s_cbranch_execnz .LBB242_52
; %bb.50:                               ;   in Loop: Header=BB242_49 Depth=1
	s_or_b64 exec, exec, s[14:15]
	s_and_saveexec_b64 s[14:15], vcc
	s_cbranch_execnz .LBB242_53
.LBB242_51:                             ;   in Loop: Header=BB242_49 Depth=1
	s_or_b64 exec, exec, s[14:15]
	s_and_saveexec_b64 s[14:15], s[6:7]
	s_cbranch_execz .LBB242_48
	s_branch .LBB242_54
.LBB242_52:                             ;   in Loop: Header=BB242_49 Depth=1
	ds_read_b32 v11, v4 offset:5120
	s_waitcnt lgkmcnt(0)
	v_add_u32_e32 v9, v11, v9
	s_or_b64 exec, exec, s[14:15]
	s_and_saveexec_b64 s[14:15], vcc
	s_cbranch_execz .LBB242_51
.LBB242_53:                             ;   in Loop: Header=BB242_49 Depth=1
	buffer_load_dword v12, off, s[0:3], 0
	buffer_load_dword v13, off, s[0:3], 0 offset:4
	buffer_load_dword v14, off, s[0:3], 0 offset:8
	;; [unrolled: 1-line block ×3, first 2 shown]
	v_add3_u32 v11, v8, -1, v9
	v_lshl_add_u32 v16, v11, 2, 0
	v_lshl_add_u32 v11, v11, 4, 0
	ds_write_b32 v16, v10
	s_waitcnt vmcnt(0)
	ds_write2_b64 v11, v[12:13], v[14:15] offset0:128 offset1:129
	s_or_b64 exec, exec, s[14:15]
	s_and_saveexec_b64 s[14:15], s[6:7]
	s_cbranch_execz .LBB242_48
.LBB242_54:                             ;   in Loop: Header=BB242_49 Depth=1
	ds_write_b32 v4, v9 offset:5124
	s_branch .LBB242_48
.LBB242_55:
	s_or_b64 exec, exec, s[10:11]
	s_ashr_i32 s9, s8, 31
	s_lshl_b64 s[4:5], s[8:9], 3
	s_add_u32 s4, s18, s4
	s_addc_u32 s5, s19, s5
	s_load_dwordx4 s[4:7], s[4:5], 0x0
	s_waitcnt lgkmcnt(0)
	s_sub_i32 s12, s6, s4
	v_cmp_gt_i32_e32 vcc, s12, v0
	s_and_saveexec_b64 s[8:9], vcc
	s_cbranch_execz .LBB242_65
; %bb.56:
	s_sub_u32 s8, s4, s30
	s_subb_u32 s9, s5, 0
	s_and_b32 s13, s12, 7
	s_sub_i32 s4, s4, s6
	s_cmp_lt_u32 s4, -7
	s_cselect_b64 s[4:5], -1, 0
	s_and_b32 s14, s12, -8
	s_cmp_lg_u32 s13, 0
	v_cndmask_b32_e64 v1, 0, 1, s[4:5]
	s_cselect_b64 s[6:7], -1, 0
	v_cmp_ne_u32_e64 s[4:5], 1, v1
	v_cndmask_b32_e64 v1, 0, 1, s[6:7]
	s_mov_b64 s[10:11], 0
	v_cmp_ne_u32_e64 s[6:7], 1, v1
	s_waitcnt vmcnt(0)
	s_branch .LBB242_58
.LBB242_57:                             ;   in Loop: Header=BB242_58 Depth=1
	v_mad_u64_u32 v[2:3], s[16:17], v0, 12, v[2:3]
	v_lshlrev_b64 v[6:7], 2, v[4:5]
	v_mov_b32_e32 v3, s37
	v_add_co_u32_e32 v6, vcc, s36, v6
	s_waitcnt lgkmcnt(0)
	v_add_u32_e32 v1, s30, v1
	v_addc_co_u32_e32 v7, vcc, v3, v7, vcc
	global_store_dword v[6:7], v1, off
	v_lshlrev_b64 v[6:7], 4, v[4:5]
	ds_read2_b64 v[2:5], v2 offset0:128 offset1:129
	v_mov_b32_e32 v1, s39
	v_add_co_u32_e32 v6, vcc, s38, v6
	v_addc_co_u32_e32 v7, vcc, v1, v7, vcc
	v_add_u32_e32 v0, 0x80, v0
	v_cmp_le_i32_e32 vcc, s12, v0
	s_or_b64 s[10:11], vcc, s[10:11]
	s_waitcnt lgkmcnt(0)
	global_store_dwordx4 v[6:7], v[2:5], off
	s_andn2_b64 exec, exec, s[10:11]
	s_cbranch_execz .LBB242_65
.LBB242_58:                             ; =>This Loop Header: Depth=1
                                        ;     Child Loop BB242_60 Depth 2
                                        ;     Child Loop BB242_64 Depth 2
	v_lshl_add_u32 v2, v0, 2, 0
	ds_read_b32 v1, v2
	s_and_b64 vcc, exec, s[4:5]
	v_pk_mov_b32 v[4:5], s[8:9], s[8:9] op_sel:[0,1]
	s_mov_b32 s15, 0
	s_cbranch_vccnz .LBB242_62
; %bb.59:                               ;   in Loop: Header=BB242_58 Depth=1
	s_mov_b32 s16, 0
	v_pk_mov_b32 v[4:5], s[8:9], s[8:9] op_sel:[0,1]
.LBB242_60:                             ;   Parent Loop BB242_58 Depth=1
                                        ; =>  This Inner Loop Header: Depth=2
	v_mov_b32_e32 v3, s16
	ds_read2_b32 v[6:7], v3 offset1:1
	ds_read2_b32 v[8:9], v3 offset0:2 offset1:3
	ds_read2_b32 v[10:11], v3 offset0:4 offset1:5
	;; [unrolled: 1-line block ×3, first 2 shown]
	s_add_i32 s15, s15, 8
	s_waitcnt lgkmcnt(3)
	v_cmp_gt_i32_e32 vcc, v1, v6
	v_cndmask_b32_e64 v3, 0, 1, vcc
	v_cmp_gt_i32_e32 vcc, v1, v7
	v_cndmask_b32_e64 v6, 0, 1, vcc
	s_waitcnt lgkmcnt(2)
	v_cmp_gt_i32_e32 vcc, v1, v8
	v_cndmask_b32_e64 v7, 0, 1, vcc
	v_cmp_gt_i32_e32 vcc, v1, v9
	v_cndmask_b32_e64 v8, 0, 1, vcc
	s_waitcnt lgkmcnt(1)
	v_cmp_gt_i32_e32 vcc, v1, v10
	v_cndmask_b32_e64 v9, 0, 1, vcc
	v_cmp_gt_i32_e32 vcc, v1, v11
	v_cndmask_b32_e64 v10, 0, 1, vcc
	s_waitcnt lgkmcnt(0)
	v_cmp_gt_i32_e32 vcc, v1, v12
	v_cndmask_b32_e64 v11, 0, 1, vcc
	v_cmp_gt_i32_e32 vcc, v1, v13
	v_cndmask_b32_e64 v12, 0, 1, vcc
	v_add_co_u32_e32 v3, vcc, v4, v3
	v_addc_co_u32_e32 v4, vcc, 0, v5, vcc
	v_add_co_u32_e32 v3, vcc, v3, v6
	v_addc_co_u32_e32 v4, vcc, 0, v4, vcc
	;; [unrolled: 2-line block ×7, first 2 shown]
	s_add_i32 s16, s16, 32
	v_add_co_u32_e32 v4, vcc, v3, v12
	s_cmp_eq_u32 s14, s15
	v_addc_co_u32_e32 v5, vcc, 0, v5, vcc
	s_cbranch_scc0 .LBB242_60
; %bb.61:                               ;   in Loop: Header=BB242_58 Depth=1
	s_mov_b32 s15, s14
.LBB242_62:                             ;   in Loop: Header=BB242_58 Depth=1
	s_and_b64 vcc, exec, s[6:7]
	s_cbranch_vccnz .LBB242_57
; %bb.63:                               ;   in Loop: Header=BB242_58 Depth=1
	s_lshl_b32 s15, s15, 2
	s_add_i32 s15, s15, 0
	s_mov_b32 s16, s13
.LBB242_64:                             ;   Parent Loop BB242_58 Depth=1
                                        ; =>  This Inner Loop Header: Depth=2
	v_mov_b32_e32 v3, s15
	ds_read_b32 v3, v3
	s_add_i32 s15, s15, 4
	s_add_i32 s16, s16, -1
	s_cmp_lg_u32 s16, 0
	s_waitcnt lgkmcnt(0)
	v_cmp_gt_i32_e32 vcc, v1, v3
	v_cndmask_b32_e64 v3, 0, 1, vcc
	v_add_co_u32_e32 v4, vcc, v4, v3
	v_addc_co_u32_e32 v5, vcc, 0, v5, vcc
	s_cbranch_scc1 .LBB242_64
	s_branch .LBB242_57
.LBB242_65:
	s_endpgm
	.section	.rodata,"a",@progbits
	.p2align	6, 0x0
	.amdhsa_kernel _ZN9rocsparseL26csrgemm_fill_block_per_rowILj128ELj16ELj256ELj137ELj64Eli21rocsparse_complex_numIdEEEvT5_PKS3_S5_NS_24const_host_device_scalarIT6_EEPKT4_S5_PKS7_SB_S5_SD_S8_SB_S5_SD_SB_PS3_PS7_21rocsparse_index_base_SG_SG_SG_bbb
		.amdhsa_group_segment_fixed_size 0
		.amdhsa_private_segment_fixed_size 40
		.amdhsa_kernarg_size 172
		.amdhsa_user_sgpr_count 8
		.amdhsa_user_sgpr_private_segment_buffer 1
		.amdhsa_user_sgpr_dispatch_ptr 0
		.amdhsa_user_sgpr_queue_ptr 0
		.amdhsa_user_sgpr_kernarg_segment_ptr 1
		.amdhsa_user_sgpr_dispatch_id 0
		.amdhsa_user_sgpr_flat_scratch_init 1
		.amdhsa_user_sgpr_kernarg_preload_length 0
		.amdhsa_user_sgpr_kernarg_preload_offset 0
		.amdhsa_user_sgpr_private_segment_size 0
		.amdhsa_uses_dynamic_stack 0
		.amdhsa_system_sgpr_private_segment_wavefront_offset 1
		.amdhsa_system_sgpr_workgroup_id_x 1
		.amdhsa_system_sgpr_workgroup_id_y 0
		.amdhsa_system_sgpr_workgroup_id_z 0
		.amdhsa_system_sgpr_workgroup_info 0
		.amdhsa_system_vgpr_workitem_id 0
		.amdhsa_next_free_vgpr 38
		.amdhsa_next_free_sgpr 60
		.amdhsa_accum_offset 40
		.amdhsa_reserve_vcc 1
		.amdhsa_reserve_flat_scratch 1
		.amdhsa_float_round_mode_32 0
		.amdhsa_float_round_mode_16_64 0
		.amdhsa_float_denorm_mode_32 3
		.amdhsa_float_denorm_mode_16_64 3
		.amdhsa_dx10_clamp 1
		.amdhsa_ieee_mode 1
		.amdhsa_fp16_overflow 0
		.amdhsa_tg_split 0
		.amdhsa_exception_fp_ieee_invalid_op 0
		.amdhsa_exception_fp_denorm_src 0
		.amdhsa_exception_fp_ieee_div_zero 0
		.amdhsa_exception_fp_ieee_overflow 0
		.amdhsa_exception_fp_ieee_underflow 0
		.amdhsa_exception_fp_ieee_inexact 0
		.amdhsa_exception_int_div_zero 0
	.end_amdhsa_kernel
	.section	.text._ZN9rocsparseL26csrgemm_fill_block_per_rowILj128ELj16ELj256ELj137ELj64Eli21rocsparse_complex_numIdEEEvT5_PKS3_S5_NS_24const_host_device_scalarIT6_EEPKT4_S5_PKS7_SB_S5_SD_S8_SB_S5_SD_SB_PS3_PS7_21rocsparse_index_base_SG_SG_SG_bbb,"axG",@progbits,_ZN9rocsparseL26csrgemm_fill_block_per_rowILj128ELj16ELj256ELj137ELj64Eli21rocsparse_complex_numIdEEEvT5_PKS3_S5_NS_24const_host_device_scalarIT6_EEPKT4_S5_PKS7_SB_S5_SD_S8_SB_S5_SD_SB_PS3_PS7_21rocsparse_index_base_SG_SG_SG_bbb,comdat
.Lfunc_end242:
	.size	_ZN9rocsparseL26csrgemm_fill_block_per_rowILj128ELj16ELj256ELj137ELj64Eli21rocsparse_complex_numIdEEEvT5_PKS3_S5_NS_24const_host_device_scalarIT6_EEPKT4_S5_PKS7_SB_S5_SD_S8_SB_S5_SD_SB_PS3_PS7_21rocsparse_index_base_SG_SG_SG_bbb, .Lfunc_end242-_ZN9rocsparseL26csrgemm_fill_block_per_rowILj128ELj16ELj256ELj137ELj64Eli21rocsparse_complex_numIdEEEvT5_PKS3_S5_NS_24const_host_device_scalarIT6_EEPKT4_S5_PKS7_SB_S5_SD_S8_SB_S5_SD_SB_PS3_PS7_21rocsparse_index_base_SG_SG_SG_bbb
                                        ; -- End function
	.section	.AMDGPU.csdata,"",@progbits
; Kernel info:
; codeLenInByte = 2820
; NumSgprs: 66
; NumVgprs: 38
; NumAgprs: 0
; TotalNumVgprs: 38
; ScratchSize: 40
; MemoryBound: 0
; FloatMode: 240
; IeeeMode: 1
; LDSByteSize: 0 bytes/workgroup (compile time only)
; SGPRBlocks: 8
; VGPRBlocks: 4
; NumSGPRsForWavesPerEU: 66
; NumVGPRsForWavesPerEU: 38
; AccumOffset: 40
; Occupancy: 8
; WaveLimiterHint : 1
; COMPUTE_PGM_RSRC2:SCRATCH_EN: 1
; COMPUTE_PGM_RSRC2:USER_SGPR: 8
; COMPUTE_PGM_RSRC2:TRAP_HANDLER: 0
; COMPUTE_PGM_RSRC2:TGID_X_EN: 1
; COMPUTE_PGM_RSRC2:TGID_Y_EN: 0
; COMPUTE_PGM_RSRC2:TGID_Z_EN: 0
; COMPUTE_PGM_RSRC2:TIDIG_COMP_CNT: 0
; COMPUTE_PGM_RSRC3_GFX90A:ACCUM_OFFSET: 9
; COMPUTE_PGM_RSRC3_GFX90A:TG_SPLIT: 0
	.section	.text._ZN9rocsparseL26csrgemm_fill_block_per_rowILj256ELj32ELj512ELj137ELj32Eli21rocsparse_complex_numIdEEEvT5_PKS3_S5_NS_24const_host_device_scalarIT6_EEPKT4_S5_PKS7_SB_S5_SD_S8_SB_S5_SD_SB_PS3_PS7_21rocsparse_index_base_SG_SG_SG_bbb,"axG",@progbits,_ZN9rocsparseL26csrgemm_fill_block_per_rowILj256ELj32ELj512ELj137ELj32Eli21rocsparse_complex_numIdEEEvT5_PKS3_S5_NS_24const_host_device_scalarIT6_EEPKT4_S5_PKS7_SB_S5_SD_S8_SB_S5_SD_SB_PS3_PS7_21rocsparse_index_base_SG_SG_SG_bbb,comdat
	.globl	_ZN9rocsparseL26csrgemm_fill_block_per_rowILj256ELj32ELj512ELj137ELj32Eli21rocsparse_complex_numIdEEEvT5_PKS3_S5_NS_24const_host_device_scalarIT6_EEPKT4_S5_PKS7_SB_S5_SD_S8_SB_S5_SD_SB_PS3_PS7_21rocsparse_index_base_SG_SG_SG_bbb ; -- Begin function _ZN9rocsparseL26csrgemm_fill_block_per_rowILj256ELj32ELj512ELj137ELj32Eli21rocsparse_complex_numIdEEEvT5_PKS3_S5_NS_24const_host_device_scalarIT6_EEPKT4_S5_PKS7_SB_S5_SD_S8_SB_S5_SD_SB_PS3_PS7_21rocsparse_index_base_SG_SG_SG_bbb
	.p2align	8
	.type	_ZN9rocsparseL26csrgemm_fill_block_per_rowILj256ELj32ELj512ELj137ELj32Eli21rocsparse_complex_numIdEEEvT5_PKS3_S5_NS_24const_host_device_scalarIT6_EEPKT4_S5_PKS7_SB_S5_SD_S8_SB_S5_SD_SB_PS3_PS7_21rocsparse_index_base_SG_SG_SG_bbb,@function
_ZN9rocsparseL26csrgemm_fill_block_per_rowILj256ELj32ELj512ELj137ELj32Eli21rocsparse_complex_numIdEEEvT5_PKS3_S5_NS_24const_host_device_scalarIT6_EEPKT4_S5_PKS7_SB_S5_SD_S8_SB_S5_SD_SB_PS3_PS7_21rocsparse_index_base_SG_SG_SG_bbb: ; @_ZN9rocsparseL26csrgemm_fill_block_per_rowILj256ELj32ELj512ELj137ELj32Eli21rocsparse_complex_numIdEEEvT5_PKS3_S5_NS_24const_host_device_scalarIT6_EEPKT4_S5_PKS7_SB_S5_SD_S8_SB_S5_SD_SB_PS3_PS7_21rocsparse_index_base_SG_SG_SG_bbb
; %bb.0:
	s_add_u32 flat_scratch_lo, s6, s9
	s_addc_u32 flat_scratch_hi, s7, 0
	s_add_u32 s0, s0, s9
	s_load_dword s9, s[4:5], 0xa8
	s_load_dwordx4 s[16:19], s[4:5], 0x18
	s_load_dwordx4 s[12:15], s[4:5], 0x58
	s_addc_u32 s1, s1, 0
	v_pk_mov_b32 v[2:3], 0, 0
	s_waitcnt lgkmcnt(0)
	s_bitcmp1_b32 s9, 0
	v_mov_b32_e32 v1, s17
	s_cselect_b64 s[50:51], -1, 0
	s_bitcmp1_b32 s9, 16
	buffer_store_dword v1, off, s[0:3], 0 offset:20
	v_mov_b32_e32 v1, s16
	s_cselect_b64 s[6:7], -1, 0
	buffer_store_dword v1, off, s[0:3], 0 offset:16
	v_mov_b32_e32 v1, s13
	buffer_store_dword v1, off, s[0:3], 0 offset:28
	v_mov_b32_e32 v1, s12
	s_xor_b64 s[10:11], s[6:7], -1
	buffer_store_dword v1, off, s[0:3], 0 offset:24
	v_cndmask_b32_e64 v1, 0, 1, s[10:11]
	s_bitcmp0_b32 s9, 0
	v_cmp_ne_u32_e64 s[10:11], 1, v1
	v_pk_mov_b32 v[6:7], v[2:3], v[2:3] op_sel:[0,1]
	v_pk_mov_b32 v[8:9], v[2:3], v[2:3] op_sel:[0,1]
	s_cbranch_scc1 .LBB243_3
; %bb.1:
	s_mov_b64 s[20:21], src_private_base
	s_and_b64 s[22:23], s[6:7], exec
	s_cselect_b32 s20, s21, s17
	v_mov_b32_e32 v1, 16
	v_mov_b32_e32 v4, s16
	v_cndmask_b32_e64 v4, v4, v1, s[6:7]
	v_mov_b32_e32 v5, s20
	flat_load_dwordx2 v[6:7], v[4:5]
	s_and_b64 vcc, exec, s[10:11]
	v_pk_mov_b32 v[8:9], s[18:19], s[18:19] op_sel:[0,1]
	s_cbranch_vccnz .LBB243_3
; %bb.2:
	v_pk_mov_b32 v[4:5], s[16:17], s[16:17] op_sel:[0,1]
	flat_load_dwordx2 v[8:9], v[4:5] offset:8
.LBB243_3:
	s_load_dwordx4 s[36:39], s[4:5], 0x98
	s_bitcmp1_b32 s9, 8
	s_cselect_b64 s[48:49], -1, 0
	s_bfe_u32 s9, s9, 0x10008
	s_cmp_eq_u32 s9, 0
	v_pk_mov_b32 v[4:5], v[2:3], v[2:3] op_sel:[0,1]
	s_cbranch_scc1 .LBB243_6
; %bb.4:
	s_mov_b64 s[16:17], src_private_base
	s_and_b64 s[18:19], s[6:7], exec
	s_cselect_b32 s9, s17, s13
	v_mov_b32_e32 v1, 24
	v_mov_b32_e32 v2, s12
	v_cndmask_b32_e64 v2, v2, v1, s[6:7]
	v_mov_b32_e32 v3, s9
	flat_load_dwordx2 v[4:5], v[2:3]
	s_and_b64 vcc, exec, s[10:11]
	v_pk_mov_b32 v[2:3], s[14:15], s[14:15] op_sel:[0,1]
	s_cbranch_vccnz .LBB243_6
; %bb.5:
	v_pk_mov_b32 v[2:3], s[12:13], s[12:13] op_sel:[0,1]
	flat_load_dwordx2 v[2:3], v[2:3] offset:8
.LBB243_6:
	s_load_dwordx4 s[40:43], s[4:5], 0x88
	s_load_dwordx8 s[16:23], s[4:5], 0x68
	s_load_dwordx4 s[12:15], s[4:5], 0x48
	s_load_dwordx8 s[24:31], s[4:5], 0x28
	s_load_dwordx4 s[44:47], s[4:5], 0x8
	s_load_dword s33, s[4:5], 0x0
	s_movk_i32 s4, 0x200
	v_cmp_gt_u32_e64 s[4:5], s4, v0
	v_lshl_add_u32 v25, v0, 4, 0
	v_lshl_add_u32 v1, v0, 2, 0
	s_and_saveexec_b64 s[6:7], s[4:5]
	s_cbranch_execz .LBB243_9
; %bb.7:
	s_mov_b32 s34, 0
	s_mov_b32 s35, s34
	;; [unrolled: 1-line block ×4, first 2 shown]
	v_add_u32_e32 v14, 0x800, v25
	v_or_b32_e32 v15, 0xffffff00, v0
	v_lshl_add_u32 v16, v0, 2, 0
	s_mov_b64 s[10:11], 0
	s_waitcnt lgkmcnt(0)
	v_mov_b32_e32 v17, s33
	v_pk_mov_b32 v[10:11], s[34:35], s[34:35] op_sel:[0,1]
	v_pk_mov_b32 v[12:13], s[52:53], s[52:53] op_sel:[0,1]
.LBB243_8:                              ; =>This Inner Loop Header: Depth=1
	v_add_co_u32_e32 v15, vcc, 0x100, v15
	s_xor_b64 s[34:35], vcc, -1
	s_and_b64 s[34:35], exec, s[34:35]
	ds_write_b32 v16, v17
	ds_write2_b64 v14, v[10:11], v[12:13] offset1:1
	v_add_u32_e32 v14, 0x1000, v14
	s_or_b64 s[10:11], s[34:35], s[10:11]
	v_add_u32_e32 v16, 0x400, v16
	s_andn2_b64 exec, exec, s[10:11]
	s_cbranch_execnz .LBB243_8
.LBB243_9:
	s_or_b64 exec, exec, s[6:7]
	s_waitcnt lgkmcnt(0)
	s_barrier
	s_load_dword s6, s[44:45], 0x0
	s_mov_b32 s7, 0
	v_lshrrev_b32_e32 v26, 5, v0
	s_waitcnt lgkmcnt(0)
	s_add_i32 s6, s6, s8
	s_lshl_b64 s[6:7], s[6:7], 2
	s_add_u32 s6, s46, s6
	s_addc_u32 s7, s47, s7
	s_load_dword s34, s[6:7], 0x0
	s_and_b64 vcc, exec, s[50:51]
	s_cbranch_vccz .LBB243_29
; %bb.10:
	s_waitcnt lgkmcnt(0)
	s_ashr_i32 s35, s34, 31
	s_lshl_b64 s[6:7], s[34:35], 3
	s_add_u32 s6, s24, s6
	s_addc_u32 s7, s25, s7
	s_load_dwordx4 s[8:11], s[6:7], 0x0
	v_subrev_co_u32_e32 v10, vcc, s36, v26
	v_subb_co_u32_e64 v11, s[6:7], 0, 0, vcc
	s_waitcnt lgkmcnt(0)
	s_sub_u32 s6, s10, s36
	v_mov_b32_e32 v12, s9
	v_add_co_u32_e32 v10, vcc, s8, v10
	s_subb_u32 s7, s11, 0
	v_addc_co_u32_e32 v11, vcc, v12, v11, vcc
	v_cmp_gt_i64_e32 vcc, s[6:7], v[10:11]
	s_and_saveexec_b64 s[8:9], vcc
	s_cbranch_execz .LBB243_28
; %bb.11:
	v_and_b32_e32 v12, 31, v0
	v_subrev_co_u32_e32 v27, vcc, s37, v12
	s_mov_b32 s24, 0
	v_subb_co_u32_e64 v28, s[10:11], 0, 0, vcc
	s_mov_b32 s35, s37
	s_mov_b64 s[10:11], 0
	v_mov_b32_e32 v29, s27
	v_mov_b32_e32 v30, s31
	;; [unrolled: 1-line block ×3, first 2 shown]
	s_movk_i32 s27, 0x89
	s_branch .LBB243_13
.LBB243_12:                             ;   in Loop: Header=BB243_13 Depth=1
	s_or_b64 exec, exec, s[24:25]
	v_add_co_u32_e32 v10, vcc, 8, v10
	v_addc_co_u32_e32 v11, vcc, 0, v11, vcc
	v_cmp_le_i64_e32 vcc, s[6:7], v[10:11]
	s_or_b64 s[10:11], vcc, s[10:11]
	s_andn2_b64 exec, exec, s[10:11]
	s_cbranch_execz .LBB243_28
.LBB243_13:                             ; =>This Loop Header: Depth=1
                                        ;     Child Loop BB243_16 Depth 2
                                        ;       Child Loop BB243_18 Depth 3
	v_lshlrev_b64 v[12:13], 2, v[10:11]
	v_add_co_u32_e32 v12, vcc, s26, v12
	v_addc_co_u32_e32 v13, vcc, v29, v13, vcc
	global_load_dword v12, v[12:13], off
	s_waitcnt vmcnt(0)
	v_subrev_u32_e32 v12, s36, v12
	v_ashrrev_i32_e32 v13, 31, v12
	v_lshlrev_b64 v[12:13], 3, v[12:13]
	v_add_co_u32_e32 v12, vcc, s30, v12
	v_addc_co_u32_e32 v13, vcc, v30, v13, vcc
	global_load_dwordx4 v[14:17], v[12:13], off
	s_waitcnt vmcnt(0)
	v_subrev_co_u32_e32 v12, vcc, s35, v16
	v_subb_co_u32_e32 v13, vcc, v17, v31, vcc
	v_add_co_u32_e32 v14, vcc, v14, v27
	v_addc_co_u32_e32 v15, vcc, v15, v28, vcc
	v_cmp_lt_i64_e32 vcc, v[14:15], v[12:13]
	s_and_saveexec_b64 s[24:25], vcc
	s_cbranch_execz .LBB243_12
; %bb.14:                               ;   in Loop: Header=BB243_13 Depth=1
	v_lshlrev_b64 v[16:17], 4, v[10:11]
	v_mov_b32_e32 v18, s29
	v_add_co_u32_e32 v16, vcc, s28, v16
	v_addc_co_u32_e32 v17, vcc, v18, v17, vcc
	global_load_dwordx4 v[20:23], v[16:17], off
	s_mov_b64 s[44:45], 0
	s_waitcnt vmcnt(0)
	v_mul_f64 v[16:17], v[22:23], -v[8:9]
	v_mul_f64 v[18:19], v[6:7], v[22:23]
	v_fmac_f64_e32 v[16:17], v[6:7], v[20:21]
	v_fmac_f64_e32 v[18:19], v[8:9], v[20:21]
	s_branch .LBB243_16
.LBB243_15:                             ;   in Loop: Header=BB243_16 Depth=2
	s_or_b64 exec, exec, s[46:47]
	v_add_co_u32_e32 v14, vcc, 32, v14
	v_addc_co_u32_e32 v15, vcc, 0, v15, vcc
	v_cmp_ge_i64_e32 vcc, v[14:15], v[12:13]
	s_or_b64 s[44:45], vcc, s[44:45]
	s_andn2_b64 exec, exec, s[44:45]
	s_cbranch_execz .LBB243_12
.LBB243_16:                             ;   Parent Loop BB243_13 Depth=1
                                        ; =>  This Loop Header: Depth=2
                                        ;       Child Loop BB243_18 Depth 3
	v_lshlrev_b64 v[20:21], 2, v[14:15]
	v_mov_b32_e32 v22, s13
	v_add_co_u32_e32 v20, vcc, s12, v20
	v_addc_co_u32_e32 v21, vcc, v22, v21, vcc
	global_load_dword v22, v[20:21], off
	v_lshlrev_b64 v[20:21], 4, v[14:15]
	v_mov_b32_e32 v23, s15
	v_add_co_u32_e32 v20, vcc, s14, v20
	v_addc_co_u32_e32 v21, vcc, v23, v21, vcc
	global_load_dwordx4 v[34:37], v[20:21], off
	s_mov_b64 s[46:47], 0
	s_waitcnt vmcnt(1)
	v_subrev_u32_e32 v32, s37, v22
	v_mul_lo_u32 v24, v32, s27
	v_and_b32_e32 v33, 0x1ff, v24
	s_waitcnt vmcnt(0)
	v_mul_f64 v[20:21], v[36:37], -v[18:19]
	v_mul_f64 v[22:23], v[16:17], v[36:37]
	v_fmac_f64_e32 v[20:21], v[16:17], v[34:35]
	v_fmac_f64_e32 v[22:23], v[18:19], v[34:35]
	s_branch .LBB243_18
.LBB243_17:                             ;   in Loop: Header=BB243_18 Depth=3
	s_or_b64 exec, exec, s[50:51]
	s_xor_b64 s[50:51], s[52:53], -1
	s_and_b64 s[50:51], exec, s[50:51]
	s_or_b64 s[46:47], s[50:51], s[46:47]
	s_andn2_b64 exec, exec, s[46:47]
	s_cbranch_execz .LBB243_15
.LBB243_18:                             ;   Parent Loop BB243_13 Depth=1
                                        ;     Parent Loop BB243_16 Depth=2
                                        ; =>    This Inner Loop Header: Depth=3
	v_lshl_add_u32 v24, v33, 2, 0
	ds_read_b32 v34, v24
                                        ; implicit-def: $sgpr52_sgpr53
	s_waitcnt lgkmcnt(0)
	v_cmp_ne_u32_e32 vcc, v34, v32
	s_and_saveexec_b64 s[50:51], vcc
	s_xor_b64 s[50:51], exec, s[50:51]
	s_cbranch_execz .LBB243_26
; %bb.19:                               ;   in Loop: Header=BB243_18 Depth=3
	v_cmp_ne_u32_e32 vcc, s33, v34
                                        ; implicit-def: $sgpr52_sgpr53
	s_and_saveexec_b64 s[54:55], vcc
	s_xor_b64 s[54:55], exec, s[54:55]
; %bb.20:                               ;   in Loop: Header=BB243_18 Depth=3
	v_add_u32_e32 v24, 1, v33
	v_and_b32_e32 v33, 0x1ff, v24
	s_mov_b64 s[52:53], -1
                                        ; implicit-def: $vgpr24
; %bb.21:                               ;   in Loop: Header=BB243_18 Depth=3
	s_andn2_saveexec_b64 s[54:55], s[54:55]
	s_cbranch_execz .LBB243_25
; %bb.22:                               ;   in Loop: Header=BB243_18 Depth=3
	v_mov_b32_e32 v34, s33
	ds_cmpst_rtn_b32 v34, v24, v34, v32
	s_mov_b64 s[58:59], -1
	s_waitcnt lgkmcnt(0)
	v_cmp_eq_u32_e32 vcc, s33, v34
	s_and_saveexec_b64 s[56:57], vcc
	s_cbranch_execz .LBB243_24
; %bb.23:                               ;   in Loop: Header=BB243_18 Depth=3
	v_mad_u64_u32 v[34:35], s[58:59], v33, 12, v[24:25]
	ds_add_f64 v34, v[20:21] offset:2048
	ds_add_f64 v34, v[22:23] offset:2056
	s_xor_b64 s[58:59], exec, -1
.LBB243_24:                             ;   in Loop: Header=BB243_18 Depth=3
	s_or_b64 exec, exec, s[56:57]
	s_andn2_b64 s[52:53], s[52:53], exec
	s_and_b64 s[56:57], s[58:59], exec
	s_or_b64 s[52:53], s[52:53], s[56:57]
.LBB243_25:                             ;   in Loop: Header=BB243_18 Depth=3
	s_or_b64 exec, exec, s[54:55]
	s_and_b64 s[52:53], s[52:53], exec
                                        ; implicit-def: $vgpr24
.LBB243_26:                             ;   in Loop: Header=BB243_18 Depth=3
	s_andn2_saveexec_b64 s[50:51], s[50:51]
	s_cbranch_execz .LBB243_17
; %bb.27:                               ;   in Loop: Header=BB243_18 Depth=3
	v_mad_u64_u32 v[34:35], s[54:55], v33, 12, v[24:25]
	ds_add_f64 v34, v[20:21] offset:2048
	ds_add_f64 v34, v[22:23] offset:2056
	s_andn2_b64 s[52:53], s[52:53], exec
	s_branch .LBB243_17
.LBB243_28:
	s_or_b64 exec, exec, s[8:9]
.LBB243_29:
	s_andn2_b64 vcc, exec, s[48:49]
	s_cbranch_vccnz .LBB243_46
; %bb.30:
	s_waitcnt lgkmcnt(0)
	s_ashr_i32 s35, s34, 31
	s_lshl_b64 s[6:7], s[34:35], 3
	s_add_u32 s6, s16, s6
	s_addc_u32 s7, s17, s7
	s_load_dwordx4 s[8:11], s[6:7], 0x0
	s_waitcnt vmcnt(0)
	v_subrev_co_u32_e32 v6, vcc, s39, v0
	v_subb_co_u32_e64 v7, s[6:7], 0, 0, vcc
	s_waitcnt lgkmcnt(0)
	s_sub_u32 s6, s10, s39
	v_mov_b32_e32 v8, s9
	v_add_co_u32_e32 v6, vcc, s8, v6
	s_subb_u32 s7, s11, 0
	v_addc_co_u32_e32 v7, vcc, v8, v7, vcc
	v_cmp_gt_i64_e32 vcc, s[6:7], v[6:7]
	s_and_saveexec_b64 s[8:9], vcc
	s_cbranch_execz .LBB243_45
; %bb.31:
	s_mov_b64 s[10:11], 0
	v_mov_b32_e32 v13, s19
	v_mov_b32_e32 v14, s21
	s_movk_i32 s19, 0x89
	s_branch .LBB243_33
.LBB243_32:                             ;   in Loop: Header=BB243_33 Depth=1
	s_or_b64 exec, exec, s[12:13]
	v_add_co_u32_e32 v6, vcc, 0x100, v6
	v_addc_co_u32_e32 v7, vcc, 0, v7, vcc
	v_cmp_le_i64_e32 vcc, s[6:7], v[6:7]
	s_or_b64 s[10:11], vcc, s[10:11]
	s_andn2_b64 exec, exec, s[10:11]
	s_cbranch_execz .LBB243_45
.LBB243_33:                             ; =>This Loop Header: Depth=1
                                        ;     Child Loop BB243_35 Depth 2
	v_lshlrev_b64 v[8:9], 2, v[6:7]
	v_add_co_u32_e32 v8, vcc, s18, v8
	v_addc_co_u32_e32 v9, vcc, v13, v9, vcc
	global_load_dword v10, v[8:9], off
	v_lshlrev_b64 v[8:9], 4, v[6:7]
	v_add_co_u32_e32 v8, vcc, s20, v8
	v_addc_co_u32_e32 v9, vcc, v14, v9, vcc
	global_load_dwordx4 v[16:19], v[8:9], off
	s_mov_b64 s[12:13], 0
	s_waitcnt vmcnt(1)
	v_subrev_u32_e32 v15, s39, v10
	v_mul_lo_u32 v12, v15, s19
	s_waitcnt vmcnt(0)
	v_mul_f64 v[8:9], v[18:19], -v[2:3]
	v_mul_f64 v[10:11], v[4:5], v[18:19]
	v_fmac_f64_e32 v[8:9], v[4:5], v[16:17]
	v_fmac_f64_e32 v[10:11], v[2:3], v[16:17]
	v_and_b32_e32 v16, 0x1ff, v12
	s_branch .LBB243_35
.LBB243_34:                             ;   in Loop: Header=BB243_35 Depth=2
	s_or_b64 exec, exec, s[14:15]
	s_xor_b64 s[14:15], s[16:17], -1
	s_and_b64 s[14:15], exec, s[14:15]
	s_or_b64 s[12:13], s[14:15], s[12:13]
	s_andn2_b64 exec, exec, s[12:13]
	s_cbranch_execz .LBB243_32
.LBB243_35:                             ;   Parent Loop BB243_33 Depth=1
                                        ; =>  This Inner Loop Header: Depth=2
	v_lshl_add_u32 v12, v16, 2, 0
	ds_read_b32 v17, v12
                                        ; implicit-def: $sgpr16_sgpr17
	s_waitcnt lgkmcnt(0)
	v_cmp_ne_u32_e32 vcc, v17, v15
	s_and_saveexec_b64 s[14:15], vcc
	s_xor_b64 s[14:15], exec, s[14:15]
	s_cbranch_execz .LBB243_43
; %bb.36:                               ;   in Loop: Header=BB243_35 Depth=2
	v_cmp_ne_u32_e32 vcc, s33, v17
                                        ; implicit-def: $sgpr16_sgpr17
	s_and_saveexec_b64 s[24:25], vcc
	s_xor_b64 s[24:25], exec, s[24:25]
; %bb.37:                               ;   in Loop: Header=BB243_35 Depth=2
	v_add_u32_e32 v12, 1, v16
	v_and_b32_e32 v16, 0x1ff, v12
	s_mov_b64 s[16:17], -1
                                        ; implicit-def: $vgpr12
; %bb.38:                               ;   in Loop: Header=BB243_35 Depth=2
	s_andn2_saveexec_b64 s[24:25], s[24:25]
	s_cbranch_execz .LBB243_42
; %bb.39:                               ;   in Loop: Header=BB243_35 Depth=2
	v_mov_b32_e32 v17, s33
	ds_cmpst_rtn_b32 v17, v12, v17, v15
	s_mov_b64 s[28:29], -1
	s_waitcnt lgkmcnt(0)
	v_cmp_eq_u32_e32 vcc, s33, v17
	s_and_saveexec_b64 s[26:27], vcc
	s_cbranch_execz .LBB243_41
; %bb.40:                               ;   in Loop: Header=BB243_35 Depth=2
	v_mad_u64_u32 v[18:19], s[28:29], v16, 12, v[12:13]
	ds_add_f64 v18, v[8:9] offset:2048
	ds_add_f64 v18, v[10:11] offset:2056
	s_xor_b64 s[28:29], exec, -1
.LBB243_41:                             ;   in Loop: Header=BB243_35 Depth=2
	s_or_b64 exec, exec, s[26:27]
	s_andn2_b64 s[16:17], s[16:17], exec
	s_and_b64 s[26:27], s[28:29], exec
	s_or_b64 s[16:17], s[16:17], s[26:27]
.LBB243_42:                             ;   in Loop: Header=BB243_35 Depth=2
	s_or_b64 exec, exec, s[24:25]
	s_and_b64 s[16:17], s[16:17], exec
                                        ; implicit-def: $vgpr12
.LBB243_43:                             ;   in Loop: Header=BB243_35 Depth=2
	s_andn2_saveexec_b64 s[14:15], s[14:15]
	s_cbranch_execz .LBB243_34
; %bb.44:                               ;   in Loop: Header=BB243_35 Depth=2
	v_mad_u64_u32 v[18:19], s[24:25], v16, 12, v[12:13]
	ds_add_f64 v18, v[8:9] offset:2048
	ds_add_f64 v18, v[10:11] offset:2056
	s_andn2_b64 s[16:17], s[16:17], exec
	s_branch .LBB243_34
.LBB243_45:
	s_or_b64 exec, exec, s[8:9]
.LBB243_46:
	s_waitcnt lgkmcnt(0)
	s_barrier
	s_and_saveexec_b64 s[20:21], s[4:5]
	s_cbranch_execz .LBB243_67
; %bb.47:
	s_waitcnt vmcnt(0)
	v_mbcnt_lo_u32_b32 v2, -1, 0
	v_mbcnt_hi_u32_b32 v2, -1, v2
	v_sub_u32_e32 v2, 63, v2
	s_movk_i32 s4, 0xff
	s_movk_i32 s10, 0x5f
	;; [unrolled: 1-line block ×6, first 2 shown]
	v_mov_b32_e32 v4, 0
	v_lshrrev_b64 v[2:3], v2, -1
	v_lshl_add_u32 v5, v26, 2, 0
	v_cmp_eq_u32_e64 s[4:5], s4, v0
	v_cmp_lt_u32_e64 s[6:7], 31, v0
	v_cmp_lt_u32_e64 s[8:9], 63, v0
	;; [unrolled: 1-line block ×7, first 2 shown]
	v_add_u32_e32 v6, 0x800, v25
	v_or_b32_e32 v7, 0xffffff00, v0
	s_mov_b64 s[24:25], 0
	v_mov_b32_e32 v8, 0
	s_branch .LBB243_49
.LBB243_48:                             ;   in Loop: Header=BB243_49 Depth=1
	s_or_b64 exec, exec, s[26:27]
	s_waitcnt lgkmcnt(0)
	s_barrier
	ds_read_b32 v9, v4 offset:10268
	v_add_co_u32_e32 v7, vcc, 0x100, v7
	s_xor_b64 s[26:27], vcc, -1
	s_and_b64 s[26:27], exec, s[26:27]
	v_add_u32_e32 v6, 0x1000, v6
	s_waitcnt lgkmcnt(0)
	v_add_u32_e32 v8, v9, v8
	s_or_b64 s[24:25], s[26:27], s[24:25]
	v_add_u32_e32 v1, 0x400, v1
	s_andn2_b64 exec, exec, s[24:25]
	s_cbranch_execz .LBB243_67
.LBB243_49:                             ; =>This Inner Loop Header: Depth=1
	ds_read2_b64 v[12:15], v6 offset1:1
	ds_read_b32 v10, v1
	s_waitcnt lgkmcnt(1)
	buffer_store_dword v15, off, s[0:3], 0 offset:12
	buffer_store_dword v14, off, s[0:3], 0 offset:8
	;; [unrolled: 1-line block ×3, first 2 shown]
	buffer_store_dword v12, off, s[0:3], 0
	s_waitcnt lgkmcnt(0)
	v_cmp_gt_i32_e32 vcc, s33, v10
	v_and_b32_e32 v11, vcc_lo, v2
	s_bcnt1_i32_b64 s26, vcc
	v_and_b32_e32 v9, vcc_hi, v3
	v_bcnt_u32_b32 v11, v11, 0
	v_bcnt_u32_b32 v9, v9, v11
	v_mov_b32_e32 v11, s26
	s_barrier
	ds_write_b32 v5, v11 offset:10240
	s_waitcnt lgkmcnt(0)
	s_barrier
	s_and_saveexec_b64 s[26:27], s[6:7]
	s_cbranch_execnz .LBB243_58
; %bb.50:                               ;   in Loop: Header=BB243_49 Depth=1
	s_or_b64 exec, exec, s[26:27]
	s_and_saveexec_b64 s[26:27], s[8:9]
	s_cbranch_execnz .LBB243_59
.LBB243_51:                             ;   in Loop: Header=BB243_49 Depth=1
	s_or_b64 exec, exec, s[26:27]
	s_and_saveexec_b64 s[26:27], s[10:11]
	s_cbranch_execnz .LBB243_60
.LBB243_52:                             ;   in Loop: Header=BB243_49 Depth=1
	s_or_b64 exec, exec, s[26:27]
	s_and_saveexec_b64 s[26:27], s[12:13]
	s_cbranch_execnz .LBB243_61
.LBB243_53:                             ;   in Loop: Header=BB243_49 Depth=1
	s_or_b64 exec, exec, s[26:27]
	s_and_saveexec_b64 s[26:27], s[14:15]
	s_cbranch_execnz .LBB243_62
.LBB243_54:                             ;   in Loop: Header=BB243_49 Depth=1
	s_or_b64 exec, exec, s[26:27]
	s_and_saveexec_b64 s[26:27], s[16:17]
	s_cbranch_execnz .LBB243_63
.LBB243_55:                             ;   in Loop: Header=BB243_49 Depth=1
	s_or_b64 exec, exec, s[26:27]
	s_and_saveexec_b64 s[26:27], s[18:19]
	s_cbranch_execnz .LBB243_64
.LBB243_56:                             ;   in Loop: Header=BB243_49 Depth=1
	s_or_b64 exec, exec, s[26:27]
	s_and_saveexec_b64 s[26:27], vcc
	s_cbranch_execnz .LBB243_65
.LBB243_57:                             ;   in Loop: Header=BB243_49 Depth=1
	s_or_b64 exec, exec, s[26:27]
	s_and_saveexec_b64 s[26:27], s[4:5]
	s_cbranch_execz .LBB243_48
	s_branch .LBB243_66
.LBB243_58:                             ;   in Loop: Header=BB243_49 Depth=1
	ds_read_b32 v11, v4 offset:10240
	s_waitcnt lgkmcnt(0)
	v_add_u32_e32 v9, v11, v9
	s_or_b64 exec, exec, s[26:27]
	s_and_saveexec_b64 s[26:27], s[8:9]
	s_cbranch_execz .LBB243_51
.LBB243_59:                             ;   in Loop: Header=BB243_49 Depth=1
	ds_read_b32 v11, v4 offset:10244
	s_waitcnt lgkmcnt(0)
	v_add_u32_e32 v9, v11, v9
	s_or_b64 exec, exec, s[26:27]
	s_and_saveexec_b64 s[26:27], s[10:11]
	s_cbranch_execz .LBB243_52
.LBB243_60:                             ;   in Loop: Header=BB243_49 Depth=1
	ds_read_b32 v11, v4 offset:10248
	s_waitcnt lgkmcnt(0)
	v_add_u32_e32 v9, v11, v9
	s_or_b64 exec, exec, s[26:27]
	s_and_saveexec_b64 s[26:27], s[12:13]
	s_cbranch_execz .LBB243_53
.LBB243_61:                             ;   in Loop: Header=BB243_49 Depth=1
	ds_read_b32 v11, v4 offset:10252
	s_waitcnt lgkmcnt(0)
	v_add_u32_e32 v9, v11, v9
	s_or_b64 exec, exec, s[26:27]
	s_and_saveexec_b64 s[26:27], s[14:15]
	s_cbranch_execz .LBB243_54
.LBB243_62:                             ;   in Loop: Header=BB243_49 Depth=1
	ds_read_b32 v11, v4 offset:10256
	s_waitcnt lgkmcnt(0)
	v_add_u32_e32 v9, v11, v9
	s_or_b64 exec, exec, s[26:27]
	s_and_saveexec_b64 s[26:27], s[16:17]
	s_cbranch_execz .LBB243_55
.LBB243_63:                             ;   in Loop: Header=BB243_49 Depth=1
	ds_read_b32 v11, v4 offset:10260
	s_waitcnt lgkmcnt(0)
	v_add_u32_e32 v9, v11, v9
	s_or_b64 exec, exec, s[26:27]
	s_and_saveexec_b64 s[26:27], s[18:19]
	s_cbranch_execz .LBB243_56
.LBB243_64:                             ;   in Loop: Header=BB243_49 Depth=1
	ds_read_b32 v11, v4 offset:10264
	s_waitcnt lgkmcnt(0)
	v_add_u32_e32 v9, v11, v9
	s_or_b64 exec, exec, s[26:27]
	s_and_saveexec_b64 s[26:27], vcc
	s_cbranch_execz .LBB243_57
.LBB243_65:                             ;   in Loop: Header=BB243_49 Depth=1
	buffer_load_dword v12, off, s[0:3], 0
	buffer_load_dword v13, off, s[0:3], 0 offset:4
	buffer_load_dword v14, off, s[0:3], 0 offset:8
	;; [unrolled: 1-line block ×3, first 2 shown]
	v_add3_u32 v11, v8, -1, v9
	v_lshl_add_u32 v16, v11, 2, 0
	v_lshl_add_u32 v11, v11, 4, 0
	v_add_u32_e32 v11, 0x800, v11
	ds_write_b32 v16, v10
	s_waitcnt vmcnt(0)
	ds_write2_b64 v11, v[12:13], v[14:15] offset1:1
	s_or_b64 exec, exec, s[26:27]
	s_and_saveexec_b64 s[26:27], s[4:5]
	s_cbranch_execz .LBB243_48
.LBB243_66:                             ;   in Loop: Header=BB243_49 Depth=1
	ds_write_b32 v4, v9 offset:10268
	s_branch .LBB243_48
.LBB243_67:
	s_or_b64 exec, exec, s[20:21]
	s_ashr_i32 s35, s34, 31
	s_lshl_b64 s[4:5], s[34:35], 3
	s_add_u32 s4, s22, s4
	s_addc_u32 s5, s23, s5
	s_load_dwordx4 s[4:7], s[4:5], 0x0
	s_waitcnt lgkmcnt(0)
	s_sub_i32 s12, s6, s4
	v_cmp_gt_i32_e32 vcc, s12, v0
	s_and_saveexec_b64 s[8:9], vcc
	s_cbranch_execz .LBB243_77
; %bb.68:
	s_sub_u32 s8, s4, s38
	s_subb_u32 s9, s5, 0
	s_and_b32 s13, s12, 7
	s_sub_i32 s4, s4, s6
	s_cmp_lt_u32 s4, -7
	s_cselect_b64 s[4:5], -1, 0
	s_and_b32 s14, s12, -8
	s_cmp_lg_u32 s13, 0
	v_cndmask_b32_e64 v1, 0, 1, s[4:5]
	s_cselect_b64 s[6:7], -1, 0
	v_cmp_ne_u32_e64 s[4:5], 1, v1
	v_cndmask_b32_e64 v1, 0, 1, s[6:7]
	s_mov_b64 s[10:11], 0
	s_movk_i32 s15, 0x800
	v_cmp_ne_u32_e64 s[6:7], 1, v1
	v_mov_b32_e32 v1, s41
	s_waitcnt vmcnt(0)
	s_branch .LBB243_70
.LBB243_69:                             ;   in Loop: Header=BB243_70 Depth=1
	v_mul_lo_u32 v6, v0, 12
	v_add3_u32 v8, v4, v6, s15
	s_waitcnt lgkmcnt(0)
	v_add_u32_e32 v6, s38, v5
	v_lshlrev_b64 v[4:5], 2, v[2:3]
	v_add_co_u32_e32 v4, vcc, s40, v4
	v_addc_co_u32_e32 v5, vcc, v1, v5, vcc
	global_store_dword v[4:5], v6, off
	v_lshlrev_b64 v[6:7], 4, v[2:3]
	ds_read2_b64 v[2:5], v8 offset1:1
	v_mov_b32_e32 v9, s43
	v_add_co_u32_e32 v6, vcc, s42, v6
	v_addc_co_u32_e32 v7, vcc, v9, v7, vcc
	v_add_u32_e32 v0, 0x100, v0
	v_cmp_le_i32_e32 vcc, s12, v0
	s_or_b64 s[10:11], vcc, s[10:11]
	s_waitcnt lgkmcnt(0)
	global_store_dwordx4 v[6:7], v[2:5], off
	s_andn2_b64 exec, exec, s[10:11]
	s_cbranch_execz .LBB243_77
.LBB243_70:                             ; =>This Loop Header: Depth=1
                                        ;     Child Loop BB243_72 Depth 2
                                        ;     Child Loop BB243_76 Depth 2
	v_lshl_add_u32 v4, v0, 2, 0
	ds_read_b32 v5, v4
	s_and_b64 vcc, exec, s[4:5]
	v_pk_mov_b32 v[2:3], s[8:9], s[8:9] op_sel:[0,1]
	s_mov_b32 s16, 0
	s_cbranch_vccnz .LBB243_74
; %bb.71:                               ;   in Loop: Header=BB243_70 Depth=1
	s_mov_b32 s17, 0
	v_pk_mov_b32 v[2:3], s[8:9], s[8:9] op_sel:[0,1]
.LBB243_72:                             ;   Parent Loop BB243_70 Depth=1
                                        ; =>  This Inner Loop Header: Depth=2
	v_mov_b32_e32 v12, s17
	ds_read2_b32 v[6:7], v12 offset1:1
	ds_read2_b32 v[8:9], v12 offset0:2 offset1:3
	ds_read2_b32 v[10:11], v12 offset0:4 offset1:5
	;; [unrolled: 1-line block ×3, first 2 shown]
	s_add_i32 s16, s16, 8
	s_waitcnt lgkmcnt(3)
	v_cmp_gt_i32_e32 vcc, v5, v6
	v_cndmask_b32_e64 v6, 0, 1, vcc
	v_cmp_gt_i32_e32 vcc, v5, v7
	v_cndmask_b32_e64 v7, 0, 1, vcc
	s_waitcnt lgkmcnt(2)
	v_cmp_gt_i32_e32 vcc, v5, v8
	v_cndmask_b32_e64 v8, 0, 1, vcc
	v_cmp_gt_i32_e32 vcc, v5, v9
	v_cndmask_b32_e64 v9, 0, 1, vcc
	s_waitcnt lgkmcnt(1)
	v_cmp_gt_i32_e32 vcc, v5, v10
	v_cndmask_b32_e64 v10, 0, 1, vcc
	v_cmp_gt_i32_e32 vcc, v5, v11
	v_cndmask_b32_e64 v11, 0, 1, vcc
	s_waitcnt lgkmcnt(0)
	v_cmp_gt_i32_e32 vcc, v5, v12
	v_cndmask_b32_e64 v12, 0, 1, vcc
	v_cmp_gt_i32_e32 vcc, v5, v13
	v_cndmask_b32_e64 v13, 0, 1, vcc
	v_add_co_u32_e32 v2, vcc, v2, v6
	v_addc_co_u32_e32 v3, vcc, 0, v3, vcc
	v_add_co_u32_e32 v2, vcc, v2, v7
	v_addc_co_u32_e32 v3, vcc, 0, v3, vcc
	;; [unrolled: 2-line block ×7, first 2 shown]
	s_add_i32 s17, s17, 32
	v_add_co_u32_e32 v2, vcc, v2, v13
	s_cmp_eq_u32 s14, s16
	v_addc_co_u32_e32 v3, vcc, 0, v3, vcc
	s_cbranch_scc0 .LBB243_72
; %bb.73:                               ;   in Loop: Header=BB243_70 Depth=1
	s_mov_b32 s16, s14
.LBB243_74:                             ;   in Loop: Header=BB243_70 Depth=1
	s_and_b64 vcc, exec, s[6:7]
	s_cbranch_vccnz .LBB243_69
; %bb.75:                               ;   in Loop: Header=BB243_70 Depth=1
	s_lshl_b32 s16, s16, 2
	s_add_i32 s16, s16, 0
	s_mov_b32 s17, s13
.LBB243_76:                             ;   Parent Loop BB243_70 Depth=1
                                        ; =>  This Inner Loop Header: Depth=2
	v_mov_b32_e32 v6, s16
	ds_read_b32 v6, v6
	s_add_i32 s16, s16, 4
	s_add_i32 s17, s17, -1
	s_cmp_lg_u32 s17, 0
	s_waitcnt lgkmcnt(0)
	v_cmp_gt_i32_e32 vcc, v5, v6
	v_cndmask_b32_e64 v6, 0, 1, vcc
	v_add_co_u32_e32 v2, vcc, v2, v6
	v_addc_co_u32_e32 v3, vcc, 0, v3, vcc
	s_cbranch_scc1 .LBB243_76
	s_branch .LBB243_69
.LBB243_77:
	s_endpgm
	.section	.rodata,"a",@progbits
	.p2align	6, 0x0
	.amdhsa_kernel _ZN9rocsparseL26csrgemm_fill_block_per_rowILj256ELj32ELj512ELj137ELj32Eli21rocsparse_complex_numIdEEEvT5_PKS3_S5_NS_24const_host_device_scalarIT6_EEPKT4_S5_PKS7_SB_S5_SD_S8_SB_S5_SD_SB_PS3_PS7_21rocsparse_index_base_SG_SG_SG_bbb
		.amdhsa_group_segment_fixed_size 0
		.amdhsa_private_segment_fixed_size 40
		.amdhsa_kernarg_size 172
		.amdhsa_user_sgpr_count 8
		.amdhsa_user_sgpr_private_segment_buffer 1
		.amdhsa_user_sgpr_dispatch_ptr 0
		.amdhsa_user_sgpr_queue_ptr 0
		.amdhsa_user_sgpr_kernarg_segment_ptr 1
		.amdhsa_user_sgpr_dispatch_id 0
		.amdhsa_user_sgpr_flat_scratch_init 1
		.amdhsa_user_sgpr_kernarg_preload_length 0
		.amdhsa_user_sgpr_kernarg_preload_offset 0
		.amdhsa_user_sgpr_private_segment_size 0
		.amdhsa_uses_dynamic_stack 0
		.amdhsa_system_sgpr_private_segment_wavefront_offset 1
		.amdhsa_system_sgpr_workgroup_id_x 1
		.amdhsa_system_sgpr_workgroup_id_y 0
		.amdhsa_system_sgpr_workgroup_id_z 0
		.amdhsa_system_sgpr_workgroup_info 0
		.amdhsa_system_vgpr_workitem_id 0
		.amdhsa_next_free_vgpr 38
		.amdhsa_next_free_sgpr 60
		.amdhsa_accum_offset 40
		.amdhsa_reserve_vcc 1
		.amdhsa_reserve_flat_scratch 1
		.amdhsa_float_round_mode_32 0
		.amdhsa_float_round_mode_16_64 0
		.amdhsa_float_denorm_mode_32 3
		.amdhsa_float_denorm_mode_16_64 3
		.amdhsa_dx10_clamp 1
		.amdhsa_ieee_mode 1
		.amdhsa_fp16_overflow 0
		.amdhsa_tg_split 0
		.amdhsa_exception_fp_ieee_invalid_op 0
		.amdhsa_exception_fp_denorm_src 0
		.amdhsa_exception_fp_ieee_div_zero 0
		.amdhsa_exception_fp_ieee_overflow 0
		.amdhsa_exception_fp_ieee_underflow 0
		.amdhsa_exception_fp_ieee_inexact 0
		.amdhsa_exception_int_div_zero 0
	.end_amdhsa_kernel
	.section	.text._ZN9rocsparseL26csrgemm_fill_block_per_rowILj256ELj32ELj512ELj137ELj32Eli21rocsparse_complex_numIdEEEvT5_PKS3_S5_NS_24const_host_device_scalarIT6_EEPKT4_S5_PKS7_SB_S5_SD_S8_SB_S5_SD_SB_PS3_PS7_21rocsparse_index_base_SG_SG_SG_bbb,"axG",@progbits,_ZN9rocsparseL26csrgemm_fill_block_per_rowILj256ELj32ELj512ELj137ELj32Eli21rocsparse_complex_numIdEEEvT5_PKS3_S5_NS_24const_host_device_scalarIT6_EEPKT4_S5_PKS7_SB_S5_SD_S8_SB_S5_SD_SB_PS3_PS7_21rocsparse_index_base_SG_SG_SG_bbb,comdat
.Lfunc_end243:
	.size	_ZN9rocsparseL26csrgemm_fill_block_per_rowILj256ELj32ELj512ELj137ELj32Eli21rocsparse_complex_numIdEEEvT5_PKS3_S5_NS_24const_host_device_scalarIT6_EEPKT4_S5_PKS7_SB_S5_SD_S8_SB_S5_SD_SB_PS3_PS7_21rocsparse_index_base_SG_SG_SG_bbb, .Lfunc_end243-_ZN9rocsparseL26csrgemm_fill_block_per_rowILj256ELj32ELj512ELj137ELj32Eli21rocsparse_complex_numIdEEEvT5_PKS3_S5_NS_24const_host_device_scalarIT6_EEPKT4_S5_PKS7_SB_S5_SD_S8_SB_S5_SD_SB_PS3_PS7_21rocsparse_index_base_SG_SG_SG_bbb
                                        ; -- End function
	.section	.AMDGPU.csdata,"",@progbits
; Kernel info:
; codeLenInByte = 3148
; NumSgprs: 66
; NumVgprs: 38
; NumAgprs: 0
; TotalNumVgprs: 38
; ScratchSize: 40
; MemoryBound: 0
; FloatMode: 240
; IeeeMode: 1
; LDSByteSize: 0 bytes/workgroup (compile time only)
; SGPRBlocks: 8
; VGPRBlocks: 4
; NumSGPRsForWavesPerEU: 66
; NumVGPRsForWavesPerEU: 38
; AccumOffset: 40
; Occupancy: 8
; WaveLimiterHint : 1
; COMPUTE_PGM_RSRC2:SCRATCH_EN: 1
; COMPUTE_PGM_RSRC2:USER_SGPR: 8
; COMPUTE_PGM_RSRC2:TRAP_HANDLER: 0
; COMPUTE_PGM_RSRC2:TGID_X_EN: 1
; COMPUTE_PGM_RSRC2:TGID_Y_EN: 0
; COMPUTE_PGM_RSRC2:TGID_Z_EN: 0
; COMPUTE_PGM_RSRC2:TIDIG_COMP_CNT: 0
; COMPUTE_PGM_RSRC3_GFX90A:ACCUM_OFFSET: 9
; COMPUTE_PGM_RSRC3_GFX90A:TG_SPLIT: 0
	.section	.text._ZN9rocsparseL26csrgemm_fill_block_per_rowILj256ELj32ELj512ELj137ELj64Eli21rocsparse_complex_numIdEEEvT5_PKS3_S5_NS_24const_host_device_scalarIT6_EEPKT4_S5_PKS7_SB_S5_SD_S8_SB_S5_SD_SB_PS3_PS7_21rocsparse_index_base_SG_SG_SG_bbb,"axG",@progbits,_ZN9rocsparseL26csrgemm_fill_block_per_rowILj256ELj32ELj512ELj137ELj64Eli21rocsparse_complex_numIdEEEvT5_PKS3_S5_NS_24const_host_device_scalarIT6_EEPKT4_S5_PKS7_SB_S5_SD_S8_SB_S5_SD_SB_PS3_PS7_21rocsparse_index_base_SG_SG_SG_bbb,comdat
	.globl	_ZN9rocsparseL26csrgemm_fill_block_per_rowILj256ELj32ELj512ELj137ELj64Eli21rocsparse_complex_numIdEEEvT5_PKS3_S5_NS_24const_host_device_scalarIT6_EEPKT4_S5_PKS7_SB_S5_SD_S8_SB_S5_SD_SB_PS3_PS7_21rocsparse_index_base_SG_SG_SG_bbb ; -- Begin function _ZN9rocsparseL26csrgemm_fill_block_per_rowILj256ELj32ELj512ELj137ELj64Eli21rocsparse_complex_numIdEEEvT5_PKS3_S5_NS_24const_host_device_scalarIT6_EEPKT4_S5_PKS7_SB_S5_SD_S8_SB_S5_SD_SB_PS3_PS7_21rocsparse_index_base_SG_SG_SG_bbb
	.p2align	8
	.type	_ZN9rocsparseL26csrgemm_fill_block_per_rowILj256ELj32ELj512ELj137ELj64Eli21rocsparse_complex_numIdEEEvT5_PKS3_S5_NS_24const_host_device_scalarIT6_EEPKT4_S5_PKS7_SB_S5_SD_S8_SB_S5_SD_SB_PS3_PS7_21rocsparse_index_base_SG_SG_SG_bbb,@function
_ZN9rocsparseL26csrgemm_fill_block_per_rowILj256ELj32ELj512ELj137ELj64Eli21rocsparse_complex_numIdEEEvT5_PKS3_S5_NS_24const_host_device_scalarIT6_EEPKT4_S5_PKS7_SB_S5_SD_S8_SB_S5_SD_SB_PS3_PS7_21rocsparse_index_base_SG_SG_SG_bbb: ; @_ZN9rocsparseL26csrgemm_fill_block_per_rowILj256ELj32ELj512ELj137ELj64Eli21rocsparse_complex_numIdEEEvT5_PKS3_S5_NS_24const_host_device_scalarIT6_EEPKT4_S5_PKS7_SB_S5_SD_S8_SB_S5_SD_SB_PS3_PS7_21rocsparse_index_base_SG_SG_SG_bbb
; %bb.0:
	s_add_u32 flat_scratch_lo, s6, s9
	s_addc_u32 flat_scratch_hi, s7, 0
	s_add_u32 s0, s0, s9
	s_load_dword s9, s[4:5], 0xa8
	s_load_dwordx4 s[16:19], s[4:5], 0x18
	s_load_dwordx4 s[12:15], s[4:5], 0x58
	s_addc_u32 s1, s1, 0
	v_pk_mov_b32 v[2:3], 0, 0
	s_waitcnt lgkmcnt(0)
	s_bitcmp1_b32 s9, 0
	v_mov_b32_e32 v1, s17
	s_cselect_b64 s[50:51], -1, 0
	s_bitcmp1_b32 s9, 16
	buffer_store_dword v1, off, s[0:3], 0 offset:20
	v_mov_b32_e32 v1, s16
	s_cselect_b64 s[6:7], -1, 0
	buffer_store_dword v1, off, s[0:3], 0 offset:16
	v_mov_b32_e32 v1, s13
	buffer_store_dword v1, off, s[0:3], 0 offset:28
	v_mov_b32_e32 v1, s12
	s_xor_b64 s[10:11], s[6:7], -1
	buffer_store_dword v1, off, s[0:3], 0 offset:24
	v_cndmask_b32_e64 v1, 0, 1, s[10:11]
	s_bitcmp0_b32 s9, 0
	v_cmp_ne_u32_e64 s[10:11], 1, v1
	v_pk_mov_b32 v[6:7], v[2:3], v[2:3] op_sel:[0,1]
	v_pk_mov_b32 v[8:9], v[2:3], v[2:3] op_sel:[0,1]
	s_cbranch_scc1 .LBB244_3
; %bb.1:
	s_mov_b64 s[20:21], src_private_base
	s_and_b64 s[22:23], s[6:7], exec
	s_cselect_b32 s20, s21, s17
	v_mov_b32_e32 v1, 16
	v_mov_b32_e32 v4, s16
	v_cndmask_b32_e64 v4, v4, v1, s[6:7]
	v_mov_b32_e32 v5, s20
	flat_load_dwordx2 v[6:7], v[4:5]
	s_and_b64 vcc, exec, s[10:11]
	v_pk_mov_b32 v[8:9], s[18:19], s[18:19] op_sel:[0,1]
	s_cbranch_vccnz .LBB244_3
; %bb.2:
	v_pk_mov_b32 v[4:5], s[16:17], s[16:17] op_sel:[0,1]
	flat_load_dwordx2 v[8:9], v[4:5] offset:8
.LBB244_3:
	s_load_dwordx4 s[28:31], s[4:5], 0x98
	s_bitcmp1_b32 s9, 8
	s_cselect_b64 s[48:49], -1, 0
	s_bfe_u32 s9, s9, 0x10008
	s_cmp_eq_u32 s9, 0
	v_pk_mov_b32 v[4:5], v[2:3], v[2:3] op_sel:[0,1]
	s_cbranch_scc1 .LBB244_6
; %bb.4:
	s_mov_b64 s[16:17], src_private_base
	s_and_b64 s[18:19], s[6:7], exec
	s_cselect_b32 s9, s17, s13
	v_mov_b32_e32 v1, 24
	v_mov_b32_e32 v2, s12
	v_cndmask_b32_e64 v2, v2, v1, s[6:7]
	v_mov_b32_e32 v3, s9
	flat_load_dwordx2 v[4:5], v[2:3]
	s_and_b64 vcc, exec, s[10:11]
	v_pk_mov_b32 v[2:3], s[14:15], s[14:15] op_sel:[0,1]
	s_cbranch_vccnz .LBB244_6
; %bb.5:
	v_pk_mov_b32 v[2:3], s[12:13], s[12:13] op_sel:[0,1]
	flat_load_dwordx2 v[2:3], v[2:3] offset:8
.LBB244_6:
	s_load_dwordx4 s[36:39], s[4:5], 0x88
	s_load_dwordx8 s[12:19], s[4:5], 0x68
	s_load_dwordx4 s[40:43], s[4:5], 0x48
	s_load_dwordx8 s[20:27], s[4:5], 0x28
	s_load_dwordx4 s[44:47], s[4:5], 0x8
	s_load_dword s33, s[4:5], 0x0
	s_movk_i32 s4, 0x200
	v_cmp_gt_u32_e64 s[4:5], s4, v0
	v_lshl_add_u32 v25, v0, 4, 0
	v_lshl_add_u32 v1, v0, 2, 0
	s_and_saveexec_b64 s[6:7], s[4:5]
	s_cbranch_execz .LBB244_9
; %bb.7:
	s_mov_b32 s34, 0
	s_mov_b32 s35, s34
	;; [unrolled: 1-line block ×4, first 2 shown]
	v_add_u32_e32 v14, 0x800, v25
	v_or_b32_e32 v15, 0xffffff00, v0
	v_lshl_add_u32 v16, v0, 2, 0
	s_mov_b64 s[10:11], 0
	s_waitcnt lgkmcnt(0)
	v_mov_b32_e32 v17, s33
	v_pk_mov_b32 v[10:11], s[34:35], s[34:35] op_sel:[0,1]
	v_pk_mov_b32 v[12:13], s[52:53], s[52:53] op_sel:[0,1]
.LBB244_8:                              ; =>This Inner Loop Header: Depth=1
	v_add_co_u32_e32 v15, vcc, 0x100, v15
	s_xor_b64 s[34:35], vcc, -1
	s_and_b64 s[34:35], exec, s[34:35]
	ds_write_b32 v16, v17
	ds_write2_b64 v14, v[10:11], v[12:13] offset1:1
	v_add_u32_e32 v14, 0x1000, v14
	s_or_b64 s[10:11], s[34:35], s[10:11]
	v_add_u32_e32 v16, 0x400, v16
	s_andn2_b64 exec, exec, s[10:11]
	s_cbranch_execnz .LBB244_8
.LBB244_9:
	s_or_b64 exec, exec, s[6:7]
	s_waitcnt lgkmcnt(0)
	s_barrier
	s_load_dword s6, s[44:45], 0x0
	s_mov_b32 s7, 0
	s_waitcnt lgkmcnt(0)
	s_add_i32 s6, s6, s8
	s_lshl_b64 s[6:7], s[6:7], 2
	s_add_u32 s6, s46, s6
	s_addc_u32 s7, s47, s7
	s_load_dword s34, s[6:7], 0x0
	s_and_b64 vcc, exec, s[50:51]
	s_cbranch_vccz .LBB244_29
; %bb.10:
	s_waitcnt lgkmcnt(0)
	s_ashr_i32 s35, s34, 31
	s_lshl_b64 s[6:7], s[34:35], 3
	s_add_u32 s6, s20, s6
	s_addc_u32 s7, s21, s7
	s_load_dwordx4 s[8:11], s[6:7], 0x0
	v_lshrrev_b32_e32 v10, 5, v0
	v_subrev_co_u32_e32 v10, vcc, s28, v10
	s_waitcnt lgkmcnt(0)
	s_sub_u32 s6, s10, s28
	s_subb_u32 s7, s11, 0
	v_subb_co_u32_e64 v11, s[10:11], 0, 0, vcc
	v_mov_b32_e32 v12, s9
	v_add_co_u32_e32 v10, vcc, s8, v10
	v_addc_co_u32_e32 v11, vcc, v12, v11, vcc
	v_cmp_gt_i64_e32 vcc, s[6:7], v[10:11]
	s_and_saveexec_b64 s[8:9], vcc
	s_cbranch_execz .LBB244_28
; %bb.11:
	v_and_b32_e32 v12, 31, v0
	v_subrev_co_u32_e32 v26, vcc, s29, v12
	s_mov_b32 s20, 0
	v_subb_co_u32_e64 v27, s[10:11], 0, 0, vcc
	s_mov_b32 s35, s29
	s_mov_b64 s[10:11], 0
	v_mov_b32_e32 v28, s23
	v_mov_b32_e32 v29, s27
	;; [unrolled: 1-line block ×3, first 2 shown]
	s_movk_i32 s23, 0x89
	s_branch .LBB244_13
.LBB244_12:                             ;   in Loop: Header=BB244_13 Depth=1
	s_or_b64 exec, exec, s[20:21]
	v_add_co_u32_e32 v10, vcc, 8, v10
	v_addc_co_u32_e32 v11, vcc, 0, v11, vcc
	v_cmp_le_i64_e32 vcc, s[6:7], v[10:11]
	s_or_b64 s[10:11], vcc, s[10:11]
	s_andn2_b64 exec, exec, s[10:11]
	s_cbranch_execz .LBB244_28
.LBB244_13:                             ; =>This Loop Header: Depth=1
                                        ;     Child Loop BB244_16 Depth 2
                                        ;       Child Loop BB244_18 Depth 3
	v_lshlrev_b64 v[12:13], 2, v[10:11]
	v_add_co_u32_e32 v12, vcc, s22, v12
	v_addc_co_u32_e32 v13, vcc, v28, v13, vcc
	global_load_dword v12, v[12:13], off
	s_waitcnt vmcnt(0)
	v_subrev_u32_e32 v12, s28, v12
	v_ashrrev_i32_e32 v13, 31, v12
	v_lshlrev_b64 v[12:13], 3, v[12:13]
	v_add_co_u32_e32 v12, vcc, s26, v12
	v_addc_co_u32_e32 v13, vcc, v29, v13, vcc
	global_load_dwordx4 v[14:17], v[12:13], off
	s_waitcnt vmcnt(0)
	v_subrev_co_u32_e32 v12, vcc, s35, v16
	v_subb_co_u32_e32 v13, vcc, v17, v30, vcc
	v_add_co_u32_e32 v14, vcc, v14, v26
	v_addc_co_u32_e32 v15, vcc, v15, v27, vcc
	v_cmp_lt_i64_e32 vcc, v[14:15], v[12:13]
	s_and_saveexec_b64 s[20:21], vcc
	s_cbranch_execz .LBB244_12
; %bb.14:                               ;   in Loop: Header=BB244_13 Depth=1
	v_lshlrev_b64 v[16:17], 4, v[10:11]
	v_mov_b32_e32 v18, s25
	v_add_co_u32_e32 v16, vcc, s24, v16
	v_addc_co_u32_e32 v17, vcc, v18, v17, vcc
	global_load_dwordx4 v[20:23], v[16:17], off
	s_mov_b64 s[44:45], 0
	s_waitcnt vmcnt(0)
	v_mul_f64 v[16:17], v[22:23], -v[8:9]
	v_mul_f64 v[18:19], v[6:7], v[22:23]
	v_fmac_f64_e32 v[16:17], v[6:7], v[20:21]
	v_fmac_f64_e32 v[18:19], v[8:9], v[20:21]
	s_branch .LBB244_16
.LBB244_15:                             ;   in Loop: Header=BB244_16 Depth=2
	s_or_b64 exec, exec, s[46:47]
	v_add_co_u32_e32 v14, vcc, 32, v14
	v_addc_co_u32_e32 v15, vcc, 0, v15, vcc
	v_cmp_ge_i64_e32 vcc, v[14:15], v[12:13]
	s_or_b64 s[44:45], vcc, s[44:45]
	s_andn2_b64 exec, exec, s[44:45]
	s_cbranch_execz .LBB244_12
.LBB244_16:                             ;   Parent Loop BB244_13 Depth=1
                                        ; =>  This Loop Header: Depth=2
                                        ;       Child Loop BB244_18 Depth 3
	v_lshlrev_b64 v[20:21], 2, v[14:15]
	v_mov_b32_e32 v22, s41
	v_add_co_u32_e32 v20, vcc, s40, v20
	v_addc_co_u32_e32 v21, vcc, v22, v21, vcc
	global_load_dword v22, v[20:21], off
	v_lshlrev_b64 v[20:21], 4, v[14:15]
	v_mov_b32_e32 v23, s43
	v_add_co_u32_e32 v20, vcc, s42, v20
	v_addc_co_u32_e32 v21, vcc, v23, v21, vcc
	global_load_dwordx4 v[32:35], v[20:21], off
	s_mov_b64 s[46:47], 0
	s_waitcnt vmcnt(1)
	v_subrev_u32_e32 v31, s29, v22
	v_mul_lo_u32 v24, v31, s23
	s_waitcnt vmcnt(0)
	v_mul_f64 v[20:21], v[34:35], -v[18:19]
	v_mul_f64 v[22:23], v[16:17], v[34:35]
	v_fmac_f64_e32 v[20:21], v[16:17], v[32:33]
	v_fmac_f64_e32 v[22:23], v[18:19], v[32:33]
	v_and_b32_e32 v32, 0x1ff, v24
	s_branch .LBB244_18
.LBB244_17:                             ;   in Loop: Header=BB244_18 Depth=3
	s_or_b64 exec, exec, s[50:51]
	s_xor_b64 s[50:51], s[52:53], -1
	s_and_b64 s[50:51], exec, s[50:51]
	s_or_b64 s[46:47], s[50:51], s[46:47]
	s_andn2_b64 exec, exec, s[46:47]
	s_cbranch_execz .LBB244_15
.LBB244_18:                             ;   Parent Loop BB244_13 Depth=1
                                        ;     Parent Loop BB244_16 Depth=2
                                        ; =>    This Inner Loop Header: Depth=3
	v_lshl_add_u32 v24, v32, 2, 0
	ds_read_b32 v33, v24
                                        ; implicit-def: $sgpr52_sgpr53
	s_waitcnt lgkmcnt(0)
	v_cmp_ne_u32_e32 vcc, v33, v31
	s_and_saveexec_b64 s[50:51], vcc
	s_xor_b64 s[50:51], exec, s[50:51]
	s_cbranch_execz .LBB244_26
; %bb.19:                               ;   in Loop: Header=BB244_18 Depth=3
	v_cmp_ne_u32_e32 vcc, s33, v33
                                        ; implicit-def: $sgpr52_sgpr53
	s_and_saveexec_b64 s[54:55], vcc
	s_xor_b64 s[54:55], exec, s[54:55]
; %bb.20:                               ;   in Loop: Header=BB244_18 Depth=3
	v_add_u32_e32 v24, 1, v32
	v_and_b32_e32 v32, 0x1ff, v24
	s_mov_b64 s[52:53], -1
                                        ; implicit-def: $vgpr24
; %bb.21:                               ;   in Loop: Header=BB244_18 Depth=3
	s_andn2_saveexec_b64 s[54:55], s[54:55]
	s_cbranch_execz .LBB244_25
; %bb.22:                               ;   in Loop: Header=BB244_18 Depth=3
	v_mov_b32_e32 v33, s33
	ds_cmpst_rtn_b32 v33, v24, v33, v31
	s_mov_b64 s[58:59], -1
	s_waitcnt lgkmcnt(0)
	v_cmp_eq_u32_e32 vcc, s33, v33
	s_and_saveexec_b64 s[56:57], vcc
	s_cbranch_execz .LBB244_24
; %bb.23:                               ;   in Loop: Header=BB244_18 Depth=3
	v_mad_u64_u32 v[34:35], s[58:59], v32, 12, v[24:25]
	ds_add_f64 v34, v[20:21] offset:2048
	ds_add_f64 v34, v[22:23] offset:2056
	s_xor_b64 s[58:59], exec, -1
.LBB244_24:                             ;   in Loop: Header=BB244_18 Depth=3
	s_or_b64 exec, exec, s[56:57]
	s_andn2_b64 s[52:53], s[52:53], exec
	s_and_b64 s[56:57], s[58:59], exec
	s_or_b64 s[52:53], s[52:53], s[56:57]
.LBB244_25:                             ;   in Loop: Header=BB244_18 Depth=3
	s_or_b64 exec, exec, s[54:55]
	s_and_b64 s[52:53], s[52:53], exec
                                        ; implicit-def: $vgpr24
.LBB244_26:                             ;   in Loop: Header=BB244_18 Depth=3
	s_andn2_saveexec_b64 s[50:51], s[50:51]
	s_cbranch_execz .LBB244_17
; %bb.27:                               ;   in Loop: Header=BB244_18 Depth=3
	v_mad_u64_u32 v[34:35], s[54:55], v32, 12, v[24:25]
	ds_add_f64 v34, v[20:21] offset:2048
	ds_add_f64 v34, v[22:23] offset:2056
	s_andn2_b64 s[52:53], s[52:53], exec
	s_branch .LBB244_17
.LBB244_28:
	s_or_b64 exec, exec, s[8:9]
.LBB244_29:
	s_andn2_b64 vcc, exec, s[48:49]
	s_cbranch_vccnz .LBB244_46
; %bb.30:
	s_waitcnt lgkmcnt(0)
	s_ashr_i32 s35, s34, 31
	s_lshl_b64 s[6:7], s[34:35], 3
	s_add_u32 s6, s12, s6
	s_addc_u32 s7, s13, s7
	s_load_dwordx4 s[8:11], s[6:7], 0x0
	s_waitcnt vmcnt(0)
	v_subrev_co_u32_e32 v6, vcc, s31, v0
	v_subb_co_u32_e64 v7, s[6:7], 0, 0, vcc
	s_waitcnt lgkmcnt(0)
	s_sub_u32 s6, s10, s31
	v_mov_b32_e32 v8, s9
	v_add_co_u32_e32 v6, vcc, s8, v6
	s_subb_u32 s7, s11, 0
	v_addc_co_u32_e32 v7, vcc, v8, v7, vcc
	v_cmp_gt_i64_e32 vcc, s[6:7], v[6:7]
	s_and_saveexec_b64 s[8:9], vcc
	s_cbranch_execz .LBB244_45
; %bb.31:
	s_mov_b64 s[10:11], 0
	v_mov_b32_e32 v13, s15
	v_mov_b32_e32 v14, s17
	s_movk_i32 s15, 0x89
	s_branch .LBB244_33
.LBB244_32:                             ;   in Loop: Header=BB244_33 Depth=1
	s_or_b64 exec, exec, s[12:13]
	v_add_co_u32_e32 v6, vcc, 0x100, v6
	v_addc_co_u32_e32 v7, vcc, 0, v7, vcc
	v_cmp_le_i64_e32 vcc, s[6:7], v[6:7]
	s_or_b64 s[10:11], vcc, s[10:11]
	s_andn2_b64 exec, exec, s[10:11]
	s_cbranch_execz .LBB244_45
.LBB244_33:                             ; =>This Loop Header: Depth=1
                                        ;     Child Loop BB244_35 Depth 2
	v_lshlrev_b64 v[8:9], 2, v[6:7]
	v_add_co_u32_e32 v8, vcc, s14, v8
	v_addc_co_u32_e32 v9, vcc, v13, v9, vcc
	global_load_dword v10, v[8:9], off
	v_lshlrev_b64 v[8:9], 4, v[6:7]
	v_add_co_u32_e32 v8, vcc, s16, v8
	v_addc_co_u32_e32 v9, vcc, v14, v9, vcc
	global_load_dwordx4 v[16:19], v[8:9], off
	s_mov_b64 s[12:13], 0
	s_waitcnt vmcnt(1)
	v_subrev_u32_e32 v15, s31, v10
	v_mul_lo_u32 v12, v15, s15
	s_waitcnt vmcnt(0)
	v_mul_f64 v[8:9], v[18:19], -v[2:3]
	v_mul_f64 v[10:11], v[4:5], v[18:19]
	v_fmac_f64_e32 v[8:9], v[4:5], v[16:17]
	v_fmac_f64_e32 v[10:11], v[2:3], v[16:17]
	v_and_b32_e32 v16, 0x1ff, v12
	s_branch .LBB244_35
.LBB244_34:                             ;   in Loop: Header=BB244_35 Depth=2
	s_or_b64 exec, exec, s[20:21]
	s_xor_b64 s[20:21], s[22:23], -1
	s_and_b64 s[20:21], exec, s[20:21]
	s_or_b64 s[12:13], s[20:21], s[12:13]
	s_andn2_b64 exec, exec, s[12:13]
	s_cbranch_execz .LBB244_32
.LBB244_35:                             ;   Parent Loop BB244_33 Depth=1
                                        ; =>  This Inner Loop Header: Depth=2
	v_lshl_add_u32 v12, v16, 2, 0
	ds_read_b32 v17, v12
                                        ; implicit-def: $sgpr22_sgpr23
	s_waitcnt lgkmcnt(0)
	v_cmp_ne_u32_e32 vcc, v17, v15
	s_and_saveexec_b64 s[20:21], vcc
	s_xor_b64 s[20:21], exec, s[20:21]
	s_cbranch_execz .LBB244_43
; %bb.36:                               ;   in Loop: Header=BB244_35 Depth=2
	v_cmp_ne_u32_e32 vcc, s33, v17
                                        ; implicit-def: $sgpr22_sgpr23
	s_and_saveexec_b64 s[24:25], vcc
	s_xor_b64 s[24:25], exec, s[24:25]
; %bb.37:                               ;   in Loop: Header=BB244_35 Depth=2
	v_add_u32_e32 v12, 1, v16
	v_and_b32_e32 v16, 0x1ff, v12
	s_mov_b64 s[22:23], -1
                                        ; implicit-def: $vgpr12
; %bb.38:                               ;   in Loop: Header=BB244_35 Depth=2
	s_andn2_saveexec_b64 s[24:25], s[24:25]
	s_cbranch_execz .LBB244_42
; %bb.39:                               ;   in Loop: Header=BB244_35 Depth=2
	v_mov_b32_e32 v17, s33
	ds_cmpst_rtn_b32 v17, v12, v17, v15
	s_mov_b64 s[28:29], -1
	s_waitcnt lgkmcnt(0)
	v_cmp_eq_u32_e32 vcc, s33, v17
	s_and_saveexec_b64 s[26:27], vcc
	s_cbranch_execz .LBB244_41
; %bb.40:                               ;   in Loop: Header=BB244_35 Depth=2
	v_mad_u64_u32 v[18:19], s[28:29], v16, 12, v[12:13]
	ds_add_f64 v18, v[8:9] offset:2048
	ds_add_f64 v18, v[10:11] offset:2056
	s_xor_b64 s[28:29], exec, -1
.LBB244_41:                             ;   in Loop: Header=BB244_35 Depth=2
	s_or_b64 exec, exec, s[26:27]
	s_andn2_b64 s[22:23], s[22:23], exec
	s_and_b64 s[26:27], s[28:29], exec
	s_or_b64 s[22:23], s[22:23], s[26:27]
.LBB244_42:                             ;   in Loop: Header=BB244_35 Depth=2
	s_or_b64 exec, exec, s[24:25]
	s_and_b64 s[22:23], s[22:23], exec
                                        ; implicit-def: $vgpr12
.LBB244_43:                             ;   in Loop: Header=BB244_35 Depth=2
	s_andn2_saveexec_b64 s[20:21], s[20:21]
	s_cbranch_execz .LBB244_34
; %bb.44:                               ;   in Loop: Header=BB244_35 Depth=2
	v_mad_u64_u32 v[18:19], s[24:25], v16, 12, v[12:13]
	ds_add_f64 v18, v[8:9] offset:2048
	ds_add_f64 v18, v[10:11] offset:2056
	s_andn2_b64 s[22:23], s[22:23], exec
	s_branch .LBB244_34
.LBB244_45:
	s_or_b64 exec, exec, s[8:9]
.LBB244_46:
	s_waitcnt lgkmcnt(0)
	s_barrier
	s_and_saveexec_b64 s[12:13], s[4:5]
	s_cbranch_execz .LBB244_59
; %bb.47:
	s_waitcnt vmcnt(0)
	v_mbcnt_lo_u32_b32 v2, -1, 0
	v_mbcnt_hi_u32_b32 v2, -1, v2
	v_lshrrev_b32_e32 v5, 4, v0
	v_sub_u32_e32 v2, 63, v2
	v_and_b32_e32 v5, 12, v5
	s_movk_i32 s4, 0xff
	s_movk_i32 s8, 0x7f
	;; [unrolled: 1-line block ×3, first 2 shown]
	v_mov_b32_e32 v4, 0
	v_lshrrev_b64 v[2:3], v2, -1
	v_add_u32_e32 v5, 0, v5
	v_cmp_eq_u32_e64 s[4:5], s4, v0
	v_cmp_lt_u32_e64 s[6:7], 63, v0
	v_cmp_lt_u32_e64 s[8:9], s8, v0
	;; [unrolled: 1-line block ×3, first 2 shown]
	v_add_u32_e32 v6, 0x800, v25
	v_or_b32_e32 v7, 0xffffff00, v0
	s_mov_b64 s[14:15], 0
	v_mov_b32_e32 v8, 0
	s_branch .LBB244_49
.LBB244_48:                             ;   in Loop: Header=BB244_49 Depth=1
	s_or_b64 exec, exec, s[16:17]
	s_waitcnt lgkmcnt(0)
	s_barrier
	ds_read_b32 v9, v4 offset:10252
	v_add_co_u32_e32 v7, vcc, 0x100, v7
	s_xor_b64 s[16:17], vcc, -1
	s_and_b64 s[16:17], exec, s[16:17]
	v_add_u32_e32 v6, 0x1000, v6
	s_waitcnt lgkmcnt(0)
	v_add_u32_e32 v8, v9, v8
	s_or_b64 s[14:15], s[16:17], s[14:15]
	v_add_u32_e32 v1, 0x400, v1
	s_andn2_b64 exec, exec, s[14:15]
	s_cbranch_execz .LBB244_59
.LBB244_49:                             ; =>This Inner Loop Header: Depth=1
	ds_read2_b64 v[12:15], v6 offset1:1
	ds_read_b32 v10, v1
	s_waitcnt lgkmcnt(1)
	buffer_store_dword v15, off, s[0:3], 0 offset:12
	buffer_store_dword v14, off, s[0:3], 0 offset:8
	;; [unrolled: 1-line block ×3, first 2 shown]
	buffer_store_dword v12, off, s[0:3], 0
	s_waitcnt lgkmcnt(0)
	v_cmp_gt_i32_e32 vcc, s33, v10
	v_and_b32_e32 v11, vcc_lo, v2
	s_bcnt1_i32_b64 s16, vcc
	v_and_b32_e32 v9, vcc_hi, v3
	v_bcnt_u32_b32 v11, v11, 0
	v_bcnt_u32_b32 v9, v9, v11
	v_mov_b32_e32 v11, s16
	s_barrier
	ds_write_b32 v5, v11 offset:10240
	s_waitcnt lgkmcnt(0)
	s_barrier
	s_and_saveexec_b64 s[16:17], s[6:7]
	s_cbranch_execnz .LBB244_54
; %bb.50:                               ;   in Loop: Header=BB244_49 Depth=1
	s_or_b64 exec, exec, s[16:17]
	s_and_saveexec_b64 s[16:17], s[8:9]
	s_cbranch_execnz .LBB244_55
.LBB244_51:                             ;   in Loop: Header=BB244_49 Depth=1
	s_or_b64 exec, exec, s[16:17]
	s_and_saveexec_b64 s[16:17], s[10:11]
	s_cbranch_execnz .LBB244_56
.LBB244_52:                             ;   in Loop: Header=BB244_49 Depth=1
	s_or_b64 exec, exec, s[16:17]
	s_and_saveexec_b64 s[16:17], vcc
	s_cbranch_execnz .LBB244_57
.LBB244_53:                             ;   in Loop: Header=BB244_49 Depth=1
	s_or_b64 exec, exec, s[16:17]
	s_and_saveexec_b64 s[16:17], s[4:5]
	s_cbranch_execz .LBB244_48
	s_branch .LBB244_58
.LBB244_54:                             ;   in Loop: Header=BB244_49 Depth=1
	ds_read_b32 v11, v4 offset:10240
	s_waitcnt lgkmcnt(0)
	v_add_u32_e32 v9, v11, v9
	s_or_b64 exec, exec, s[16:17]
	s_and_saveexec_b64 s[16:17], s[8:9]
	s_cbranch_execz .LBB244_51
.LBB244_55:                             ;   in Loop: Header=BB244_49 Depth=1
	ds_read_b32 v11, v4 offset:10244
	s_waitcnt lgkmcnt(0)
	v_add_u32_e32 v9, v11, v9
	s_or_b64 exec, exec, s[16:17]
	s_and_saveexec_b64 s[16:17], s[10:11]
	s_cbranch_execz .LBB244_52
.LBB244_56:                             ;   in Loop: Header=BB244_49 Depth=1
	ds_read_b32 v11, v4 offset:10248
	s_waitcnt lgkmcnt(0)
	v_add_u32_e32 v9, v11, v9
	s_or_b64 exec, exec, s[16:17]
	s_and_saveexec_b64 s[16:17], vcc
	s_cbranch_execz .LBB244_53
.LBB244_57:                             ;   in Loop: Header=BB244_49 Depth=1
	buffer_load_dword v12, off, s[0:3], 0
	buffer_load_dword v13, off, s[0:3], 0 offset:4
	buffer_load_dword v14, off, s[0:3], 0 offset:8
	;; [unrolled: 1-line block ×3, first 2 shown]
	v_add3_u32 v11, v8, -1, v9
	v_lshl_add_u32 v16, v11, 2, 0
	v_lshl_add_u32 v11, v11, 4, 0
	v_add_u32_e32 v11, 0x800, v11
	ds_write_b32 v16, v10
	s_waitcnt vmcnt(0)
	ds_write2_b64 v11, v[12:13], v[14:15] offset1:1
	s_or_b64 exec, exec, s[16:17]
	s_and_saveexec_b64 s[16:17], s[4:5]
	s_cbranch_execz .LBB244_48
.LBB244_58:                             ;   in Loop: Header=BB244_49 Depth=1
	ds_write_b32 v4, v9 offset:10252
	s_branch .LBB244_48
.LBB244_59:
	s_or_b64 exec, exec, s[12:13]
	s_ashr_i32 s35, s34, 31
	s_lshl_b64 s[4:5], s[34:35], 3
	s_add_u32 s4, s18, s4
	s_addc_u32 s5, s19, s5
	s_load_dwordx4 s[4:7], s[4:5], 0x0
	s_waitcnt lgkmcnt(0)
	s_sub_i32 s12, s6, s4
	v_cmp_gt_i32_e32 vcc, s12, v0
	s_and_saveexec_b64 s[8:9], vcc
	s_cbranch_execz .LBB244_69
; %bb.60:
	s_sub_u32 s8, s4, s30
	s_subb_u32 s9, s5, 0
	s_and_b32 s13, s12, 7
	s_sub_i32 s4, s4, s6
	s_cmp_lt_u32 s4, -7
	s_cselect_b64 s[4:5], -1, 0
	s_and_b32 s14, s12, -8
	s_cmp_lg_u32 s13, 0
	v_cndmask_b32_e64 v1, 0, 1, s[4:5]
	s_cselect_b64 s[6:7], -1, 0
	v_cmp_ne_u32_e64 s[4:5], 1, v1
	v_cndmask_b32_e64 v1, 0, 1, s[6:7]
	s_mov_b64 s[10:11], 0
	s_movk_i32 s15, 0x800
	v_cmp_ne_u32_e64 s[6:7], 1, v1
	v_mov_b32_e32 v1, s37
	s_waitcnt vmcnt(0)
	s_branch .LBB244_62
.LBB244_61:                             ;   in Loop: Header=BB244_62 Depth=1
	v_mul_lo_u32 v6, v0, 12
	v_add3_u32 v8, v4, v6, s15
	s_waitcnt lgkmcnt(0)
	v_add_u32_e32 v6, s30, v5
	v_lshlrev_b64 v[4:5], 2, v[2:3]
	v_add_co_u32_e32 v4, vcc, s36, v4
	v_addc_co_u32_e32 v5, vcc, v1, v5, vcc
	global_store_dword v[4:5], v6, off
	v_lshlrev_b64 v[6:7], 4, v[2:3]
	ds_read2_b64 v[2:5], v8 offset1:1
	v_mov_b32_e32 v9, s39
	v_add_co_u32_e32 v6, vcc, s38, v6
	v_addc_co_u32_e32 v7, vcc, v9, v7, vcc
	v_add_u32_e32 v0, 0x100, v0
	v_cmp_le_i32_e32 vcc, s12, v0
	s_or_b64 s[10:11], vcc, s[10:11]
	s_waitcnt lgkmcnt(0)
	global_store_dwordx4 v[6:7], v[2:5], off
	s_andn2_b64 exec, exec, s[10:11]
	s_cbranch_execz .LBB244_69
.LBB244_62:                             ; =>This Loop Header: Depth=1
                                        ;     Child Loop BB244_64 Depth 2
                                        ;     Child Loop BB244_68 Depth 2
	v_lshl_add_u32 v4, v0, 2, 0
	ds_read_b32 v5, v4
	s_and_b64 vcc, exec, s[4:5]
	v_pk_mov_b32 v[2:3], s[8:9], s[8:9] op_sel:[0,1]
	s_mov_b32 s16, 0
	s_cbranch_vccnz .LBB244_66
; %bb.63:                               ;   in Loop: Header=BB244_62 Depth=1
	s_mov_b32 s17, 0
	v_pk_mov_b32 v[2:3], s[8:9], s[8:9] op_sel:[0,1]
.LBB244_64:                             ;   Parent Loop BB244_62 Depth=1
                                        ; =>  This Inner Loop Header: Depth=2
	v_mov_b32_e32 v12, s17
	ds_read2_b32 v[6:7], v12 offset1:1
	ds_read2_b32 v[8:9], v12 offset0:2 offset1:3
	ds_read2_b32 v[10:11], v12 offset0:4 offset1:5
	;; [unrolled: 1-line block ×3, first 2 shown]
	s_add_i32 s16, s16, 8
	s_waitcnt lgkmcnt(3)
	v_cmp_gt_i32_e32 vcc, v5, v6
	v_cndmask_b32_e64 v6, 0, 1, vcc
	v_cmp_gt_i32_e32 vcc, v5, v7
	v_cndmask_b32_e64 v7, 0, 1, vcc
	s_waitcnt lgkmcnt(2)
	v_cmp_gt_i32_e32 vcc, v5, v8
	v_cndmask_b32_e64 v8, 0, 1, vcc
	v_cmp_gt_i32_e32 vcc, v5, v9
	v_cndmask_b32_e64 v9, 0, 1, vcc
	;; [unrolled: 5-line block ×4, first 2 shown]
	v_add_co_u32_e32 v2, vcc, v2, v6
	v_addc_co_u32_e32 v3, vcc, 0, v3, vcc
	v_add_co_u32_e32 v2, vcc, v2, v7
	v_addc_co_u32_e32 v3, vcc, 0, v3, vcc
	;; [unrolled: 2-line block ×7, first 2 shown]
	s_add_i32 s17, s17, 32
	v_add_co_u32_e32 v2, vcc, v2, v13
	s_cmp_eq_u32 s14, s16
	v_addc_co_u32_e32 v3, vcc, 0, v3, vcc
	s_cbranch_scc0 .LBB244_64
; %bb.65:                               ;   in Loop: Header=BB244_62 Depth=1
	s_mov_b32 s16, s14
.LBB244_66:                             ;   in Loop: Header=BB244_62 Depth=1
	s_and_b64 vcc, exec, s[6:7]
	s_cbranch_vccnz .LBB244_61
; %bb.67:                               ;   in Loop: Header=BB244_62 Depth=1
	s_lshl_b32 s16, s16, 2
	s_add_i32 s16, s16, 0
	s_mov_b32 s17, s13
.LBB244_68:                             ;   Parent Loop BB244_62 Depth=1
                                        ; =>  This Inner Loop Header: Depth=2
	v_mov_b32_e32 v6, s16
	ds_read_b32 v6, v6
	s_add_i32 s16, s16, 4
	s_add_i32 s17, s17, -1
	s_cmp_lg_u32 s17, 0
	s_waitcnt lgkmcnt(0)
	v_cmp_gt_i32_e32 vcc, v5, v6
	v_cndmask_b32_e64 v6, 0, 1, vcc
	v_add_co_u32_e32 v2, vcc, v2, v6
	v_addc_co_u32_e32 v3, vcc, 0, v3, vcc
	s_cbranch_scc1 .LBB244_68
	s_branch .LBB244_61
.LBB244_69:
	s_endpgm
	.section	.rodata,"a",@progbits
	.p2align	6, 0x0
	.amdhsa_kernel _ZN9rocsparseL26csrgemm_fill_block_per_rowILj256ELj32ELj512ELj137ELj64Eli21rocsparse_complex_numIdEEEvT5_PKS3_S5_NS_24const_host_device_scalarIT6_EEPKT4_S5_PKS7_SB_S5_SD_S8_SB_S5_SD_SB_PS3_PS7_21rocsparse_index_base_SG_SG_SG_bbb
		.amdhsa_group_segment_fixed_size 0
		.amdhsa_private_segment_fixed_size 40
		.amdhsa_kernarg_size 172
		.amdhsa_user_sgpr_count 8
		.amdhsa_user_sgpr_private_segment_buffer 1
		.amdhsa_user_sgpr_dispatch_ptr 0
		.amdhsa_user_sgpr_queue_ptr 0
		.amdhsa_user_sgpr_kernarg_segment_ptr 1
		.amdhsa_user_sgpr_dispatch_id 0
		.amdhsa_user_sgpr_flat_scratch_init 1
		.amdhsa_user_sgpr_kernarg_preload_length 0
		.amdhsa_user_sgpr_kernarg_preload_offset 0
		.amdhsa_user_sgpr_private_segment_size 0
		.amdhsa_uses_dynamic_stack 0
		.amdhsa_system_sgpr_private_segment_wavefront_offset 1
		.amdhsa_system_sgpr_workgroup_id_x 1
		.amdhsa_system_sgpr_workgroup_id_y 0
		.amdhsa_system_sgpr_workgroup_id_z 0
		.amdhsa_system_sgpr_workgroup_info 0
		.amdhsa_system_vgpr_workitem_id 0
		.amdhsa_next_free_vgpr 36
		.amdhsa_next_free_sgpr 60
		.amdhsa_accum_offset 36
		.amdhsa_reserve_vcc 1
		.amdhsa_reserve_flat_scratch 1
		.amdhsa_float_round_mode_32 0
		.amdhsa_float_round_mode_16_64 0
		.amdhsa_float_denorm_mode_32 3
		.amdhsa_float_denorm_mode_16_64 3
		.amdhsa_dx10_clamp 1
		.amdhsa_ieee_mode 1
		.amdhsa_fp16_overflow 0
		.amdhsa_tg_split 0
		.amdhsa_exception_fp_ieee_invalid_op 0
		.amdhsa_exception_fp_denorm_src 0
		.amdhsa_exception_fp_ieee_div_zero 0
		.amdhsa_exception_fp_ieee_overflow 0
		.amdhsa_exception_fp_ieee_underflow 0
		.amdhsa_exception_fp_ieee_inexact 0
		.amdhsa_exception_int_div_zero 0
	.end_amdhsa_kernel
	.section	.text._ZN9rocsparseL26csrgemm_fill_block_per_rowILj256ELj32ELj512ELj137ELj64Eli21rocsparse_complex_numIdEEEvT5_PKS3_S5_NS_24const_host_device_scalarIT6_EEPKT4_S5_PKS7_SB_S5_SD_S8_SB_S5_SD_SB_PS3_PS7_21rocsparse_index_base_SG_SG_SG_bbb,"axG",@progbits,_ZN9rocsparseL26csrgemm_fill_block_per_rowILj256ELj32ELj512ELj137ELj64Eli21rocsparse_complex_numIdEEEvT5_PKS3_S5_NS_24const_host_device_scalarIT6_EEPKT4_S5_PKS7_SB_S5_SD_S8_SB_S5_SD_SB_PS3_PS7_21rocsparse_index_base_SG_SG_SG_bbb,comdat
.Lfunc_end244:
	.size	_ZN9rocsparseL26csrgemm_fill_block_per_rowILj256ELj32ELj512ELj137ELj64Eli21rocsparse_complex_numIdEEEvT5_PKS3_S5_NS_24const_host_device_scalarIT6_EEPKT4_S5_PKS7_SB_S5_SD_S8_SB_S5_SD_SB_PS3_PS7_21rocsparse_index_base_SG_SG_SG_bbb, .Lfunc_end244-_ZN9rocsparseL26csrgemm_fill_block_per_rowILj256ELj32ELj512ELj137ELj64Eli21rocsparse_complex_numIdEEEvT5_PKS3_S5_NS_24const_host_device_scalarIT6_EEPKT4_S5_PKS7_SB_S5_SD_S8_SB_S5_SD_SB_PS3_PS7_21rocsparse_index_base_SG_SG_SG_bbb
                                        ; -- End function
	.section	.AMDGPU.csdata,"",@progbits
; Kernel info:
; codeLenInByte = 2948
; NumSgprs: 66
; NumVgprs: 36
; NumAgprs: 0
; TotalNumVgprs: 36
; ScratchSize: 40
; MemoryBound: 0
; FloatMode: 240
; IeeeMode: 1
; LDSByteSize: 0 bytes/workgroup (compile time only)
; SGPRBlocks: 8
; VGPRBlocks: 4
; NumSGPRsForWavesPerEU: 66
; NumVGPRsForWavesPerEU: 36
; AccumOffset: 36
; Occupancy: 8
; WaveLimiterHint : 1
; COMPUTE_PGM_RSRC2:SCRATCH_EN: 1
; COMPUTE_PGM_RSRC2:USER_SGPR: 8
; COMPUTE_PGM_RSRC2:TRAP_HANDLER: 0
; COMPUTE_PGM_RSRC2:TGID_X_EN: 1
; COMPUTE_PGM_RSRC2:TGID_Y_EN: 0
; COMPUTE_PGM_RSRC2:TGID_Z_EN: 0
; COMPUTE_PGM_RSRC2:TIDIG_COMP_CNT: 0
; COMPUTE_PGM_RSRC3_GFX90A:ACCUM_OFFSET: 8
; COMPUTE_PGM_RSRC3_GFX90A:TG_SPLIT: 0
	.section	.text._ZN9rocsparseL26csrgemm_fill_block_per_rowILj512ELj32ELj1024ELj137ELj32Eli21rocsparse_complex_numIdEEEvT5_PKS3_S5_NS_24const_host_device_scalarIT6_EEPKT4_S5_PKS7_SB_S5_SD_S8_SB_S5_SD_SB_PS3_PS7_21rocsparse_index_base_SG_SG_SG_bbb,"axG",@progbits,_ZN9rocsparseL26csrgemm_fill_block_per_rowILj512ELj32ELj1024ELj137ELj32Eli21rocsparse_complex_numIdEEEvT5_PKS3_S5_NS_24const_host_device_scalarIT6_EEPKT4_S5_PKS7_SB_S5_SD_S8_SB_S5_SD_SB_PS3_PS7_21rocsparse_index_base_SG_SG_SG_bbb,comdat
	.globl	_ZN9rocsparseL26csrgemm_fill_block_per_rowILj512ELj32ELj1024ELj137ELj32Eli21rocsparse_complex_numIdEEEvT5_PKS3_S5_NS_24const_host_device_scalarIT6_EEPKT4_S5_PKS7_SB_S5_SD_S8_SB_S5_SD_SB_PS3_PS7_21rocsparse_index_base_SG_SG_SG_bbb ; -- Begin function _ZN9rocsparseL26csrgemm_fill_block_per_rowILj512ELj32ELj1024ELj137ELj32Eli21rocsparse_complex_numIdEEEvT5_PKS3_S5_NS_24const_host_device_scalarIT6_EEPKT4_S5_PKS7_SB_S5_SD_S8_SB_S5_SD_SB_PS3_PS7_21rocsparse_index_base_SG_SG_SG_bbb
	.p2align	8
	.type	_ZN9rocsparseL26csrgemm_fill_block_per_rowILj512ELj32ELj1024ELj137ELj32Eli21rocsparse_complex_numIdEEEvT5_PKS3_S5_NS_24const_host_device_scalarIT6_EEPKT4_S5_PKS7_SB_S5_SD_S8_SB_S5_SD_SB_PS3_PS7_21rocsparse_index_base_SG_SG_SG_bbb,@function
_ZN9rocsparseL26csrgemm_fill_block_per_rowILj512ELj32ELj1024ELj137ELj32Eli21rocsparse_complex_numIdEEEvT5_PKS3_S5_NS_24const_host_device_scalarIT6_EEPKT4_S5_PKS7_SB_S5_SD_S8_SB_S5_SD_SB_PS3_PS7_21rocsparse_index_base_SG_SG_SG_bbb: ; @_ZN9rocsparseL26csrgemm_fill_block_per_rowILj512ELj32ELj1024ELj137ELj32Eli21rocsparse_complex_numIdEEEvT5_PKS3_S5_NS_24const_host_device_scalarIT6_EEPKT4_S5_PKS7_SB_S5_SD_S8_SB_S5_SD_SB_PS3_PS7_21rocsparse_index_base_SG_SG_SG_bbb
; %bb.0:
	s_add_u32 flat_scratch_lo, s6, s9
	s_addc_u32 flat_scratch_hi, s7, 0
	s_load_dwordx4 s[12:15], s[4:5], 0x18
	s_load_dwordx4 s[28:31], s[4:5], 0x58
	s_add_u32 s0, s0, s9
	s_load_dword s9, s[4:5], 0xa8
	s_load_dwordx4 s[44:47], s[4:5], 0x98
	s_addc_u32 s1, s1, 0
	s_waitcnt lgkmcnt(0)
	v_mov_b32_e32 v1, s13
	buffer_store_dword v1, off, s[0:3], 0 offset:20
	s_bitcmp1_b32 s9, 0
	s_cselect_b64 s[54:55], -1, 0
	s_bitcmp1_b32 s9, 16
	v_mov_b32_e32 v1, s12
	s_cselect_b64 s[6:7], -1, 0
	buffer_store_dword v1, off, s[0:3], 0 offset:16
	v_mov_b32_e32 v1, s29
	buffer_store_dword v1, off, s[0:3], 0 offset:28
	v_mov_b32_e32 v1, s28
	s_xor_b64 s[10:11], s[6:7], -1
	buffer_store_dword v1, off, s[0:3], 0 offset:24
	v_pk_mov_b32 v[2:3], 0, 0
	v_cndmask_b32_e64 v1, 0, 1, s[10:11]
	s_bitcmp0_b32 s9, 0
	v_cmp_ne_u32_e64 s[10:11], 1, v1
	v_pk_mov_b32 v[6:7], v[2:3], v[2:3] op_sel:[0,1]
	v_pk_mov_b32 v[8:9], v[2:3], v[2:3] op_sel:[0,1]
	s_cbranch_scc1 .LBB245_3
; %bb.1:
	s_mov_b64 s[16:17], src_private_base
	s_and_b64 s[18:19], s[6:7], exec
	s_cselect_b32 s16, s17, s13
	v_mov_b32_e32 v1, 16
	v_mov_b32_e32 v4, s12
	v_cndmask_b32_e64 v4, v4, v1, s[6:7]
	v_mov_b32_e32 v5, s16
	flat_load_dwordx2 v[6:7], v[4:5]
	s_and_b64 vcc, exec, s[10:11]
	v_pk_mov_b32 v[8:9], s[14:15], s[14:15] op_sel:[0,1]
	s_cbranch_vccnz .LBB245_3
; %bb.2:
	v_pk_mov_b32 v[4:5], s[12:13], s[12:13] op_sel:[0,1]
	flat_load_dwordx2 v[8:9], v[4:5] offset:8
.LBB245_3:
	s_load_dwordx4 s[48:51], s[4:5], 0x88
	s_load_dwordx8 s[36:43], s[4:5], 0x68
	s_load_dwordx4 s[20:23], s[4:5], 0x48
	s_load_dwordx4 s[24:27], s[4:5], 0x8
	s_load_dwordx8 s[12:19], s[4:5], 0x28
	s_bitcmp1_b32 s9, 8
	s_cselect_b64 s[34:35], -1, 0
	s_bfe_u32 s9, s9, 0x10008
	s_mov_b64 s[52:53], 0
	s_cmp_eq_u32 s9, 0
	v_pk_mov_b32 v[4:5], v[2:3], v[2:3] op_sel:[0,1]
	s_cbranch_scc1 .LBB245_6
; %bb.4:
	s_mov_b64 s[56:57], src_private_base
	s_and_b64 s[58:59], s[6:7], exec
	s_cselect_b32 s9, s57, s29
	v_mov_b32_e32 v1, 24
	v_mov_b32_e32 v2, s28
	v_cndmask_b32_e64 v2, v2, v1, s[6:7]
	v_mov_b32_e32 v3, s9
	flat_load_dwordx2 v[4:5], v[2:3]
	s_and_b64 vcc, exec, s[10:11]
	v_pk_mov_b32 v[2:3], s[30:31], s[30:31] op_sel:[0,1]
	s_cbranch_vccnz .LBB245_6
; %bb.5:
	v_pk_mov_b32 v[2:3], s[28:29], s[28:29] op_sel:[0,1]
	flat_load_dwordx2 v[2:3], v[2:3] offset:8
.LBB245_6:
	s_load_dword s33, s[4:5], 0x0
	s_mov_b32 s4, 0
	v_lshl_add_u32 v1, v0, 4, 0
	v_add_u32_e32 v1, 0x1000, v1
	v_or_b32_e32 v25, 0xfffffe00, v0
	v_lshl_add_u32 v26, v0, 2, 0
	s_mov_b32 s5, s4
	s_mov_b32 s6, s4
	;; [unrolled: 1-line block ×3, first 2 shown]
	s_waitcnt lgkmcnt(0)
	v_mov_b32_e32 v14, s33
	v_pk_mov_b32 v[10:11], s[4:5], s[4:5] op_sel:[0,1]
	v_pk_mov_b32 v[12:13], s[6:7], s[6:7] op_sel:[0,1]
	v_mov_b32_e32 v15, v26
	v_mov_b32_e32 v16, v25
	;; [unrolled: 1-line block ×3, first 2 shown]
.LBB245_7:                              ; =>This Inner Loop Header: Depth=1
	v_add_co_u32_e32 v16, vcc, 0x200, v16
	s_xor_b64 s[4:5], vcc, -1
	s_and_b64 s[4:5], exec, s[4:5]
	ds_write_b32 v15, v14
	ds_write2_b64 v17, v[10:11], v[12:13] offset1:1
	v_add_u32_e32 v17, 0x2000, v17
	s_or_b64 s[52:53], s[4:5], s[52:53]
	v_add_u32_e32 v15, 0x800, v15
	s_andn2_b64 exec, exec, s[52:53]
	s_cbranch_execnz .LBB245_7
; %bb.8:
	s_or_b64 exec, exec, s[52:53]
	s_waitcnt lgkmcnt(0)
	s_barrier
	s_load_dword s4, s[24:25], 0x0
	s_mov_b32 s5, 0
	v_lshrrev_b32_e32 v27, 5, v0
	s_waitcnt lgkmcnt(0)
	s_add_i32 s4, s4, s8
	s_lshl_b64 s[4:5], s[4:5], 2
	s_add_u32 s4, s26, s4
	s_addc_u32 s5, s27, s5
	s_load_dword s52, s[4:5], 0x0
	s_and_b64 vcc, exec, s[54:55]
	s_cbranch_vccz .LBB245_28
; %bb.9:
	s_waitcnt lgkmcnt(0)
	s_ashr_i32 s53, s52, 31
	s_lshl_b64 s[4:5], s[52:53], 3
	s_add_u32 s4, s12, s4
	s_addc_u32 s5, s13, s5
	s_load_dwordx4 s[8:11], s[4:5], 0x0
	v_subrev_co_u32_e32 v10, vcc, s44, v27
	v_subb_co_u32_e64 v11, s[4:5], 0, 0, vcc
	s_waitcnt lgkmcnt(0)
	s_sub_u32 s4, s10, s44
	v_mov_b32_e32 v12, s9
	v_add_co_u32_e32 v10, vcc, s8, v10
	s_subb_u32 s5, s11, 0
	v_addc_co_u32_e32 v11, vcc, v12, v11, vcc
	v_cmp_gt_i64_e32 vcc, s[4:5], v[10:11]
	s_and_saveexec_b64 s[6:7], vcc
	s_cbranch_execz .LBB245_27
; %bb.10:
	v_and_b32_e32 v12, 31, v0
	v_subrev_co_u32_e32 v28, vcc, s45, v12
	s_mov_b32 s10, 0
	v_subb_co_u32_e64 v29, s[8:9], 0, 0, vcc
	s_mov_b32 s53, s45
	s_mov_b64 s[8:9], 0
	v_mov_b32_e32 v30, s15
	v_mov_b32_e32 v31, s19
	v_mov_b32_e32 v32, s10
	s_movk_i32 s15, 0x89
	s_branch .LBB245_12
.LBB245_11:                             ;   in Loop: Header=BB245_12 Depth=1
	s_or_b64 exec, exec, s[10:11]
	v_add_co_u32_e32 v10, vcc, 16, v10
	v_addc_co_u32_e32 v11, vcc, 0, v11, vcc
	v_cmp_le_i64_e32 vcc, s[4:5], v[10:11]
	s_or_b64 s[8:9], vcc, s[8:9]
	s_andn2_b64 exec, exec, s[8:9]
	s_cbranch_execz .LBB245_27
.LBB245_12:                             ; =>This Loop Header: Depth=1
                                        ;     Child Loop BB245_15 Depth 2
                                        ;       Child Loop BB245_17 Depth 3
	v_lshlrev_b64 v[12:13], 2, v[10:11]
	v_add_co_u32_e32 v12, vcc, s14, v12
	v_addc_co_u32_e32 v13, vcc, v30, v13, vcc
	global_load_dword v12, v[12:13], off
	s_waitcnt vmcnt(0)
	v_subrev_u32_e32 v12, s44, v12
	v_ashrrev_i32_e32 v13, 31, v12
	v_lshlrev_b64 v[12:13], 3, v[12:13]
	v_add_co_u32_e32 v12, vcc, s18, v12
	v_addc_co_u32_e32 v13, vcc, v31, v13, vcc
	global_load_dwordx4 v[14:17], v[12:13], off
	s_waitcnt vmcnt(0)
	v_subrev_co_u32_e32 v12, vcc, s53, v16
	v_subb_co_u32_e32 v13, vcc, v17, v32, vcc
	v_add_co_u32_e32 v14, vcc, v14, v28
	v_addc_co_u32_e32 v15, vcc, v15, v29, vcc
	v_cmp_lt_i64_e32 vcc, v[14:15], v[12:13]
	s_and_saveexec_b64 s[10:11], vcc
	s_cbranch_execz .LBB245_11
; %bb.13:                               ;   in Loop: Header=BB245_12 Depth=1
	v_lshlrev_b64 v[16:17], 4, v[10:11]
	v_mov_b32_e32 v18, s17
	v_add_co_u32_e32 v16, vcc, s16, v16
	v_addc_co_u32_e32 v17, vcc, v18, v17, vcc
	global_load_dwordx4 v[20:23], v[16:17], off
	s_mov_b64 s[12:13], 0
	s_waitcnt vmcnt(0)
	v_mul_f64 v[16:17], v[22:23], -v[8:9]
	v_mul_f64 v[18:19], v[6:7], v[22:23]
	v_fmac_f64_e32 v[16:17], v[6:7], v[20:21]
	v_fmac_f64_e32 v[18:19], v[8:9], v[20:21]
	s_branch .LBB245_15
.LBB245_14:                             ;   in Loop: Header=BB245_15 Depth=2
	s_or_b64 exec, exec, s[24:25]
	v_add_co_u32_e32 v14, vcc, 32, v14
	v_addc_co_u32_e32 v15, vcc, 0, v15, vcc
	v_cmp_ge_i64_e32 vcc, v[14:15], v[12:13]
	s_or_b64 s[12:13], vcc, s[12:13]
	s_andn2_b64 exec, exec, s[12:13]
	s_cbranch_execz .LBB245_11
.LBB245_15:                             ;   Parent Loop BB245_12 Depth=1
                                        ; =>  This Loop Header: Depth=2
                                        ;       Child Loop BB245_17 Depth 3
	v_lshlrev_b64 v[20:21], 2, v[14:15]
	v_mov_b32_e32 v22, s21
	v_add_co_u32_e32 v20, vcc, s20, v20
	v_addc_co_u32_e32 v21, vcc, v22, v21, vcc
	global_load_dword v22, v[20:21], off
	v_lshlrev_b64 v[20:21], 4, v[14:15]
	v_mov_b32_e32 v23, s23
	v_add_co_u32_e32 v20, vcc, s22, v20
	v_addc_co_u32_e32 v21, vcc, v23, v21, vcc
	global_load_dwordx4 v[34:37], v[20:21], off
	s_mov_b64 s[24:25], 0
	s_waitcnt vmcnt(1)
	v_subrev_u32_e32 v33, s45, v22
	v_mul_lo_u32 v24, v33, s15
	s_waitcnt vmcnt(0)
	v_mul_f64 v[20:21], v[36:37], -v[18:19]
	v_mul_f64 v[22:23], v[16:17], v[36:37]
	v_fmac_f64_e32 v[20:21], v[16:17], v[34:35]
	v_fmac_f64_e32 v[22:23], v[18:19], v[34:35]
	v_and_b32_e32 v34, 0x3ff, v24
	s_branch .LBB245_17
.LBB245_16:                             ;   in Loop: Header=BB245_17 Depth=3
	s_or_b64 exec, exec, s[26:27]
	s_xor_b64 s[26:27], s[28:29], -1
	s_and_b64 s[26:27], exec, s[26:27]
	s_or_b64 s[24:25], s[26:27], s[24:25]
	s_andn2_b64 exec, exec, s[24:25]
	s_cbranch_execz .LBB245_14
.LBB245_17:                             ;   Parent Loop BB245_12 Depth=1
                                        ;     Parent Loop BB245_15 Depth=2
                                        ; =>    This Inner Loop Header: Depth=3
	v_lshl_add_u32 v24, v34, 2, 0
	ds_read_b32 v35, v24
                                        ; implicit-def: $sgpr28_sgpr29
	s_waitcnt lgkmcnt(0)
	v_cmp_ne_u32_e32 vcc, v35, v33
	s_and_saveexec_b64 s[26:27], vcc
	s_xor_b64 s[26:27], exec, s[26:27]
	s_cbranch_execz .LBB245_25
; %bb.18:                               ;   in Loop: Header=BB245_17 Depth=3
	v_cmp_ne_u32_e32 vcc, s33, v35
                                        ; implicit-def: $sgpr28_sgpr29
	s_and_saveexec_b64 s[30:31], vcc
	s_xor_b64 s[30:31], exec, s[30:31]
; %bb.19:                               ;   in Loop: Header=BB245_17 Depth=3
	v_add_u32_e32 v24, 1, v34
	v_and_b32_e32 v34, 0x3ff, v24
	s_mov_b64 s[28:29], -1
                                        ; implicit-def: $vgpr24
; %bb.20:                               ;   in Loop: Header=BB245_17 Depth=3
	s_andn2_saveexec_b64 s[30:31], s[30:31]
	s_cbranch_execz .LBB245_24
; %bb.21:                               ;   in Loop: Header=BB245_17 Depth=3
	v_mov_b32_e32 v35, s33
	ds_cmpst_rtn_b32 v35, v24, v35, v33
	s_mov_b64 s[56:57], -1
	s_waitcnt lgkmcnt(0)
	v_cmp_eq_u32_e32 vcc, s33, v35
	s_and_saveexec_b64 s[54:55], vcc
	s_cbranch_execz .LBB245_23
; %bb.22:                               ;   in Loop: Header=BB245_17 Depth=3
	v_mad_u64_u32 v[36:37], s[56:57], v34, 12, v[24:25]
	ds_add_f64 v36, v[20:21] offset:4096
	ds_add_f64 v36, v[22:23] offset:4104
	s_xor_b64 s[56:57], exec, -1
.LBB245_23:                             ;   in Loop: Header=BB245_17 Depth=3
	s_or_b64 exec, exec, s[54:55]
	s_andn2_b64 s[28:29], s[28:29], exec
	s_and_b64 s[54:55], s[56:57], exec
	s_or_b64 s[28:29], s[28:29], s[54:55]
.LBB245_24:                             ;   in Loop: Header=BB245_17 Depth=3
	s_or_b64 exec, exec, s[30:31]
	s_and_b64 s[28:29], s[28:29], exec
                                        ; implicit-def: $vgpr24
.LBB245_25:                             ;   in Loop: Header=BB245_17 Depth=3
	s_andn2_saveexec_b64 s[26:27], s[26:27]
	s_cbranch_execz .LBB245_16
; %bb.26:                               ;   in Loop: Header=BB245_17 Depth=3
	v_mad_u64_u32 v[36:37], s[30:31], v34, 12, v[24:25]
	ds_add_f64 v36, v[20:21] offset:4096
	ds_add_f64 v36, v[22:23] offset:4104
	s_andn2_b64 s[28:29], s[28:29], exec
	s_branch .LBB245_16
.LBB245_27:
	s_or_b64 exec, exec, s[6:7]
.LBB245_28:
	s_andn2_b64 vcc, exec, s[34:35]
	s_cbranch_vccnz .LBB245_45
; %bb.29:
	s_waitcnt lgkmcnt(0)
	s_ashr_i32 s53, s52, 31
	s_lshl_b64 s[4:5], s[52:53], 3
	s_add_u32 s4, s36, s4
	s_addc_u32 s5, s37, s5
	s_load_dwordx4 s[8:11], s[4:5], 0x0
	s_waitcnt vmcnt(0)
	v_subrev_co_u32_e32 v6, vcc, s47, v0
	v_subb_co_u32_e64 v7, s[4:5], 0, 0, vcc
	s_waitcnt lgkmcnt(0)
	s_sub_u32 s4, s10, s47
	v_mov_b32_e32 v8, s9
	v_add_co_u32_e32 v6, vcc, s8, v6
	s_subb_u32 s5, s11, 0
	v_addc_co_u32_e32 v7, vcc, v8, v7, vcc
	v_cmp_gt_i64_e32 vcc, s[4:5], v[6:7]
	s_and_saveexec_b64 s[6:7], vcc
	s_cbranch_execz .LBB245_44
; %bb.30:
	s_mov_b64 s[8:9], 0
	v_mov_b32_e32 v13, s39
	v_mov_b32_e32 v14, s41
	s_movk_i32 s22, 0x89
	s_branch .LBB245_32
.LBB245_31:                             ;   in Loop: Header=BB245_32 Depth=1
	s_or_b64 exec, exec, s[10:11]
	v_add_co_u32_e32 v6, vcc, 0x200, v6
	v_addc_co_u32_e32 v7, vcc, 0, v7, vcc
	v_cmp_le_i64_e32 vcc, s[4:5], v[6:7]
	s_or_b64 s[8:9], vcc, s[8:9]
	s_andn2_b64 exec, exec, s[8:9]
	s_cbranch_execz .LBB245_44
.LBB245_32:                             ; =>This Loop Header: Depth=1
                                        ;     Child Loop BB245_34 Depth 2
	v_lshlrev_b64 v[8:9], 2, v[6:7]
	v_add_co_u32_e32 v8, vcc, s38, v8
	v_addc_co_u32_e32 v9, vcc, v13, v9, vcc
	global_load_dword v10, v[8:9], off
	v_lshlrev_b64 v[8:9], 4, v[6:7]
	v_add_co_u32_e32 v8, vcc, s40, v8
	v_addc_co_u32_e32 v9, vcc, v14, v9, vcc
	global_load_dwordx4 v[16:19], v[8:9], off
	s_mov_b64 s[10:11], 0
	s_waitcnt vmcnt(1)
	v_subrev_u32_e32 v15, s47, v10
	v_mul_lo_u32 v12, v15, s22
	s_waitcnt vmcnt(0)
	v_mul_f64 v[8:9], v[18:19], -v[2:3]
	v_mul_f64 v[10:11], v[4:5], v[18:19]
	v_fmac_f64_e32 v[8:9], v[4:5], v[16:17]
	v_fmac_f64_e32 v[10:11], v[2:3], v[16:17]
	v_and_b32_e32 v16, 0x3ff, v12
	s_branch .LBB245_34
.LBB245_33:                             ;   in Loop: Header=BB245_34 Depth=2
	s_or_b64 exec, exec, s[12:13]
	s_xor_b64 s[12:13], s[14:15], -1
	s_and_b64 s[12:13], exec, s[12:13]
	s_or_b64 s[10:11], s[12:13], s[10:11]
	s_andn2_b64 exec, exec, s[10:11]
	s_cbranch_execz .LBB245_31
.LBB245_34:                             ;   Parent Loop BB245_32 Depth=1
                                        ; =>  This Inner Loop Header: Depth=2
	v_lshl_add_u32 v12, v16, 2, 0
	ds_read_b32 v17, v12
                                        ; implicit-def: $sgpr14_sgpr15
	s_waitcnt lgkmcnt(0)
	v_cmp_ne_u32_e32 vcc, v17, v15
	s_and_saveexec_b64 s[12:13], vcc
	s_xor_b64 s[12:13], exec, s[12:13]
	s_cbranch_execz .LBB245_42
; %bb.35:                               ;   in Loop: Header=BB245_34 Depth=2
	v_cmp_ne_u32_e32 vcc, s33, v17
                                        ; implicit-def: $sgpr14_sgpr15
	s_and_saveexec_b64 s[16:17], vcc
	s_xor_b64 s[16:17], exec, s[16:17]
; %bb.36:                               ;   in Loop: Header=BB245_34 Depth=2
	v_add_u32_e32 v12, 1, v16
	v_and_b32_e32 v16, 0x3ff, v12
	s_mov_b64 s[14:15], -1
                                        ; implicit-def: $vgpr12
; %bb.37:                               ;   in Loop: Header=BB245_34 Depth=2
	s_andn2_saveexec_b64 s[16:17], s[16:17]
	s_cbranch_execz .LBB245_41
; %bb.38:                               ;   in Loop: Header=BB245_34 Depth=2
	v_mov_b32_e32 v17, s33
	ds_cmpst_rtn_b32 v17, v12, v17, v15
	s_mov_b64 s[20:21], -1
	s_waitcnt lgkmcnt(0)
	v_cmp_eq_u32_e32 vcc, s33, v17
	s_and_saveexec_b64 s[18:19], vcc
	s_cbranch_execz .LBB245_40
; %bb.39:                               ;   in Loop: Header=BB245_34 Depth=2
	v_mad_u64_u32 v[18:19], s[20:21], v16, 12, v[12:13]
	ds_add_f64 v18, v[8:9] offset:4096
	ds_add_f64 v18, v[10:11] offset:4104
	s_xor_b64 s[20:21], exec, -1
.LBB245_40:                             ;   in Loop: Header=BB245_34 Depth=2
	s_or_b64 exec, exec, s[18:19]
	s_andn2_b64 s[14:15], s[14:15], exec
	s_and_b64 s[18:19], s[20:21], exec
	s_or_b64 s[14:15], s[14:15], s[18:19]
.LBB245_41:                             ;   in Loop: Header=BB245_34 Depth=2
	s_or_b64 exec, exec, s[16:17]
	s_and_b64 s[14:15], s[14:15], exec
                                        ; implicit-def: $vgpr12
.LBB245_42:                             ;   in Loop: Header=BB245_34 Depth=2
	s_andn2_saveexec_b64 s[12:13], s[12:13]
	s_cbranch_execz .LBB245_33
; %bb.43:                               ;   in Loop: Header=BB245_34 Depth=2
	v_mad_u64_u32 v[18:19], s[16:17], v16, 12, v[12:13]
	ds_add_f64 v18, v[8:9] offset:4096
	ds_add_f64 v18, v[10:11] offset:4104
	s_andn2_b64 s[14:15], s[14:15], exec
	s_branch .LBB245_33
.LBB245_44:
	s_or_b64 exec, exec, s[6:7]
.LBB245_45:
	s_waitcnt vmcnt(0)
	v_mbcnt_lo_u32_b32 v2, -1, 0
	v_mbcnt_hi_u32_b32 v2, -1, v2
	v_sub_u32_e32 v2, 63, v2
	s_movk_i32 s4, 0x1ff
	s_movk_i32 s10, 0x5f
	;; [unrolled: 1-line block ×14, first 2 shown]
	v_mov_b32_e32 v4, 0
	v_lshrrev_b64 v[2:3], v2, -1
	v_lshl_add_u32 v5, v27, 2, 0
	v_cmp_eq_u32_e64 s[4:5], s4, v0
	v_cmp_lt_u32_e64 s[6:7], 31, v0
	v_cmp_lt_u32_e64 s[8:9], 63, v0
	;; [unrolled: 1-line block ×15, first 2 shown]
	s_mov_b64 s[38:39], 0
	v_mov_b32_e32 v6, 0
	s_waitcnt lgkmcnt(0)
	s_barrier
	s_branch .LBB245_47
.LBB245_46:                             ;   in Loop: Header=BB245_47 Depth=1
	s_or_b64 exec, exec, s[40:41]
	s_waitcnt lgkmcnt(0)
	s_barrier
	ds_read_b32 v7, v4 offset:20540
	v_add_co_u32_e32 v25, vcc, 0x200, v25
	s_xor_b64 s[40:41], vcc, -1
	s_and_b64 s[40:41], exec, s[40:41]
	v_add_u32_e32 v1, 0x2000, v1
	s_waitcnt lgkmcnt(0)
	v_add_u32_e32 v6, v7, v6
	s_or_b64 s[38:39], s[40:41], s[38:39]
	v_add_u32_e32 v26, 0x800, v26
	s_andn2_b64 exec, exec, s[38:39]
	s_cbranch_execz .LBB245_81
.LBB245_47:                             ; =>This Inner Loop Header: Depth=1
	ds_read2_b64 v[10:13], v1 offset1:1
	ds_read_b32 v8, v26
	s_waitcnt lgkmcnt(1)
	buffer_store_dword v13, off, s[0:3], 0 offset:12
	buffer_store_dword v12, off, s[0:3], 0 offset:8
	;; [unrolled: 1-line block ×3, first 2 shown]
	buffer_store_dword v10, off, s[0:3], 0
	s_waitcnt lgkmcnt(0)
	v_cmp_gt_i32_e32 vcc, s33, v8
	v_and_b32_e32 v9, vcc_lo, v2
	s_bcnt1_i32_b64 s40, vcc
	v_and_b32_e32 v7, vcc_hi, v3
	v_bcnt_u32_b32 v9, v9, 0
	v_bcnt_u32_b32 v7, v7, v9
	v_mov_b32_e32 v9, s40
	s_barrier
	ds_write_b32 v5, v9 offset:20480
	s_waitcnt lgkmcnt(0)
	s_barrier
	s_and_saveexec_b64 s[40:41], s[6:7]
	s_cbranch_execnz .LBB245_64
; %bb.48:                               ;   in Loop: Header=BB245_47 Depth=1
	s_or_b64 exec, exec, s[40:41]
	s_and_saveexec_b64 s[40:41], s[8:9]
	s_cbranch_execnz .LBB245_65
.LBB245_49:                             ;   in Loop: Header=BB245_47 Depth=1
	s_or_b64 exec, exec, s[40:41]
	s_and_saveexec_b64 s[40:41], s[10:11]
	s_cbranch_execnz .LBB245_66
.LBB245_50:                             ;   in Loop: Header=BB245_47 Depth=1
	s_or_b64 exec, exec, s[40:41]
	s_and_saveexec_b64 s[40:41], s[12:13]
	s_cbranch_execnz .LBB245_67
.LBB245_51:                             ;   in Loop: Header=BB245_47 Depth=1
	s_or_b64 exec, exec, s[40:41]
	s_and_saveexec_b64 s[40:41], s[14:15]
	s_cbranch_execnz .LBB245_68
.LBB245_52:                             ;   in Loop: Header=BB245_47 Depth=1
	s_or_b64 exec, exec, s[40:41]
	s_and_saveexec_b64 s[40:41], s[16:17]
	s_cbranch_execnz .LBB245_69
.LBB245_53:                             ;   in Loop: Header=BB245_47 Depth=1
	s_or_b64 exec, exec, s[40:41]
	s_and_saveexec_b64 s[40:41], s[18:19]
	s_cbranch_execnz .LBB245_70
.LBB245_54:                             ;   in Loop: Header=BB245_47 Depth=1
	s_or_b64 exec, exec, s[40:41]
	s_and_saveexec_b64 s[40:41], s[20:21]
	s_cbranch_execnz .LBB245_71
.LBB245_55:                             ;   in Loop: Header=BB245_47 Depth=1
	s_or_b64 exec, exec, s[40:41]
	s_and_saveexec_b64 s[40:41], s[22:23]
	s_cbranch_execnz .LBB245_72
.LBB245_56:                             ;   in Loop: Header=BB245_47 Depth=1
	s_or_b64 exec, exec, s[40:41]
	s_and_saveexec_b64 s[40:41], s[24:25]
	s_cbranch_execnz .LBB245_73
.LBB245_57:                             ;   in Loop: Header=BB245_47 Depth=1
	s_or_b64 exec, exec, s[40:41]
	s_and_saveexec_b64 s[40:41], s[26:27]
	s_cbranch_execnz .LBB245_74
.LBB245_58:                             ;   in Loop: Header=BB245_47 Depth=1
	s_or_b64 exec, exec, s[40:41]
	s_and_saveexec_b64 s[40:41], s[28:29]
	s_cbranch_execnz .LBB245_75
.LBB245_59:                             ;   in Loop: Header=BB245_47 Depth=1
	s_or_b64 exec, exec, s[40:41]
	s_and_saveexec_b64 s[40:41], s[30:31]
	s_cbranch_execnz .LBB245_76
.LBB245_60:                             ;   in Loop: Header=BB245_47 Depth=1
	s_or_b64 exec, exec, s[40:41]
	s_and_saveexec_b64 s[40:41], s[34:35]
	s_cbranch_execnz .LBB245_77
.LBB245_61:                             ;   in Loop: Header=BB245_47 Depth=1
	s_or_b64 exec, exec, s[40:41]
	s_and_saveexec_b64 s[40:41], s[36:37]
	s_cbranch_execnz .LBB245_78
.LBB245_62:                             ;   in Loop: Header=BB245_47 Depth=1
	s_or_b64 exec, exec, s[40:41]
	s_and_saveexec_b64 s[40:41], vcc
	s_cbranch_execnz .LBB245_79
.LBB245_63:                             ;   in Loop: Header=BB245_47 Depth=1
	s_or_b64 exec, exec, s[40:41]
	s_and_saveexec_b64 s[40:41], s[4:5]
	s_cbranch_execz .LBB245_46
	s_branch .LBB245_80
.LBB245_64:                             ;   in Loop: Header=BB245_47 Depth=1
	ds_read_b32 v9, v4 offset:20480
	s_waitcnt lgkmcnt(0)
	v_add_u32_e32 v7, v9, v7
	s_or_b64 exec, exec, s[40:41]
	s_and_saveexec_b64 s[40:41], s[8:9]
	s_cbranch_execz .LBB245_49
.LBB245_65:                             ;   in Loop: Header=BB245_47 Depth=1
	ds_read_b32 v9, v4 offset:20484
	s_waitcnt lgkmcnt(0)
	v_add_u32_e32 v7, v9, v7
	s_or_b64 exec, exec, s[40:41]
	s_and_saveexec_b64 s[40:41], s[10:11]
	s_cbranch_execz .LBB245_50
.LBB245_66:                             ;   in Loop: Header=BB245_47 Depth=1
	ds_read_b32 v9, v4 offset:20488
	s_waitcnt lgkmcnt(0)
	v_add_u32_e32 v7, v9, v7
	s_or_b64 exec, exec, s[40:41]
	s_and_saveexec_b64 s[40:41], s[12:13]
	s_cbranch_execz .LBB245_51
.LBB245_67:                             ;   in Loop: Header=BB245_47 Depth=1
	ds_read_b32 v9, v4 offset:20492
	s_waitcnt lgkmcnt(0)
	v_add_u32_e32 v7, v9, v7
	s_or_b64 exec, exec, s[40:41]
	s_and_saveexec_b64 s[40:41], s[14:15]
	s_cbranch_execz .LBB245_52
.LBB245_68:                             ;   in Loop: Header=BB245_47 Depth=1
	ds_read_b32 v9, v4 offset:20496
	s_waitcnt lgkmcnt(0)
	v_add_u32_e32 v7, v9, v7
	s_or_b64 exec, exec, s[40:41]
	s_and_saveexec_b64 s[40:41], s[16:17]
	s_cbranch_execz .LBB245_53
.LBB245_69:                             ;   in Loop: Header=BB245_47 Depth=1
	ds_read_b32 v9, v4 offset:20500
	s_waitcnt lgkmcnt(0)
	v_add_u32_e32 v7, v9, v7
	s_or_b64 exec, exec, s[40:41]
	s_and_saveexec_b64 s[40:41], s[18:19]
	s_cbranch_execz .LBB245_54
.LBB245_70:                             ;   in Loop: Header=BB245_47 Depth=1
	ds_read_b32 v9, v4 offset:20504
	s_waitcnt lgkmcnt(0)
	v_add_u32_e32 v7, v9, v7
	s_or_b64 exec, exec, s[40:41]
	s_and_saveexec_b64 s[40:41], s[20:21]
	s_cbranch_execz .LBB245_55
.LBB245_71:                             ;   in Loop: Header=BB245_47 Depth=1
	ds_read_b32 v9, v4 offset:20508
	s_waitcnt lgkmcnt(0)
	v_add_u32_e32 v7, v9, v7
	s_or_b64 exec, exec, s[40:41]
	s_and_saveexec_b64 s[40:41], s[22:23]
	s_cbranch_execz .LBB245_56
.LBB245_72:                             ;   in Loop: Header=BB245_47 Depth=1
	ds_read_b32 v9, v4 offset:20512
	s_waitcnt lgkmcnt(0)
	v_add_u32_e32 v7, v9, v7
	s_or_b64 exec, exec, s[40:41]
	s_and_saveexec_b64 s[40:41], s[24:25]
	s_cbranch_execz .LBB245_57
.LBB245_73:                             ;   in Loop: Header=BB245_47 Depth=1
	ds_read_b32 v9, v4 offset:20516
	s_waitcnt lgkmcnt(0)
	v_add_u32_e32 v7, v9, v7
	s_or_b64 exec, exec, s[40:41]
	s_and_saveexec_b64 s[40:41], s[26:27]
	s_cbranch_execz .LBB245_58
.LBB245_74:                             ;   in Loop: Header=BB245_47 Depth=1
	ds_read_b32 v9, v4 offset:20520
	s_waitcnt lgkmcnt(0)
	v_add_u32_e32 v7, v9, v7
	s_or_b64 exec, exec, s[40:41]
	s_and_saveexec_b64 s[40:41], s[28:29]
	s_cbranch_execz .LBB245_59
.LBB245_75:                             ;   in Loop: Header=BB245_47 Depth=1
	ds_read_b32 v9, v4 offset:20524
	s_waitcnt lgkmcnt(0)
	v_add_u32_e32 v7, v9, v7
	s_or_b64 exec, exec, s[40:41]
	s_and_saveexec_b64 s[40:41], s[30:31]
	s_cbranch_execz .LBB245_60
.LBB245_76:                             ;   in Loop: Header=BB245_47 Depth=1
	ds_read_b32 v9, v4 offset:20528
	s_waitcnt lgkmcnt(0)
	v_add_u32_e32 v7, v9, v7
	s_or_b64 exec, exec, s[40:41]
	s_and_saveexec_b64 s[40:41], s[34:35]
	s_cbranch_execz .LBB245_61
.LBB245_77:                             ;   in Loop: Header=BB245_47 Depth=1
	ds_read_b32 v9, v4 offset:20532
	s_waitcnt lgkmcnt(0)
	v_add_u32_e32 v7, v9, v7
	s_or_b64 exec, exec, s[40:41]
	s_and_saveexec_b64 s[40:41], s[36:37]
	s_cbranch_execz .LBB245_62
.LBB245_78:                             ;   in Loop: Header=BB245_47 Depth=1
	ds_read_b32 v9, v4 offset:20536
	s_waitcnt lgkmcnt(0)
	v_add_u32_e32 v7, v9, v7
	s_or_b64 exec, exec, s[40:41]
	s_and_saveexec_b64 s[40:41], vcc
	s_cbranch_execz .LBB245_63
.LBB245_79:                             ;   in Loop: Header=BB245_47 Depth=1
	buffer_load_dword v10, off, s[0:3], 0
	buffer_load_dword v11, off, s[0:3], 0 offset:4
	buffer_load_dword v12, off, s[0:3], 0 offset:8
	buffer_load_dword v13, off, s[0:3], 0 offset:12
	v_add3_u32 v9, v6, -1, v7
	v_lshl_add_u32 v14, v9, 2, 0
	v_lshl_add_u32 v9, v9, 4, 0
	v_add_u32_e32 v9, 0x1000, v9
	ds_write_b32 v14, v8
	s_waitcnt vmcnt(0)
	ds_write2_b64 v9, v[10:11], v[12:13] offset1:1
	s_or_b64 exec, exec, s[40:41]
	s_and_saveexec_b64 s[40:41], s[4:5]
	s_cbranch_execz .LBB245_46
.LBB245_80:                             ;   in Loop: Header=BB245_47 Depth=1
	ds_write_b32 v4, v7 offset:20540
	s_branch .LBB245_46
.LBB245_81:
	s_or_b64 exec, exec, s[38:39]
	s_ashr_i32 s53, s52, 31
	s_lshl_b64 s[4:5], s[52:53], 3
	s_add_u32 s4, s42, s4
	s_addc_u32 s5, s43, s5
	s_load_dwordx4 s[4:7], s[4:5], 0x0
	s_waitcnt lgkmcnt(0)
	s_sub_i32 s12, s6, s4
	v_cmp_gt_i32_e32 vcc, s12, v0
	s_and_saveexec_b64 s[8:9], vcc
	s_cbranch_execz .LBB245_91
; %bb.82:
	s_sub_u32 s8, s4, s46
	s_subb_u32 s9, s5, 0
	s_and_b32 s13, s12, 7
	s_sub_i32 s4, s4, s6
	s_cmp_lt_u32 s4, -7
	s_cselect_b64 s[4:5], -1, 0
	s_and_b32 s14, s12, -8
	s_cmp_lg_u32 s13, 0
	v_cndmask_b32_e64 v1, 0, 1, s[4:5]
	s_cselect_b64 s[6:7], -1, 0
	v_cmp_ne_u32_e64 s[4:5], 1, v1
	v_cndmask_b32_e64 v1, 0, 1, s[6:7]
	s_mov_b64 s[10:11], 0
	s_movk_i32 s15, 0x1000
	v_cmp_ne_u32_e64 s[6:7], 1, v1
	v_mov_b32_e32 v1, s49
	s_branch .LBB245_84
.LBB245_83:                             ;   in Loop: Header=BB245_84 Depth=1
	v_mul_lo_u32 v6, v0, 12
	v_add3_u32 v8, v4, v6, s15
	s_waitcnt lgkmcnt(0)
	v_add_u32_e32 v6, s46, v5
	v_lshlrev_b64 v[4:5], 2, v[2:3]
	v_add_co_u32_e32 v4, vcc, s48, v4
	v_addc_co_u32_e32 v5, vcc, v1, v5, vcc
	global_store_dword v[4:5], v6, off
	v_lshlrev_b64 v[6:7], 4, v[2:3]
	ds_read2_b64 v[2:5], v8 offset1:1
	v_mov_b32_e32 v9, s51
	v_add_co_u32_e32 v6, vcc, s50, v6
	v_addc_co_u32_e32 v7, vcc, v9, v7, vcc
	v_add_u32_e32 v0, 0x200, v0
	v_cmp_le_i32_e32 vcc, s12, v0
	s_or_b64 s[10:11], vcc, s[10:11]
	s_waitcnt lgkmcnt(0)
	global_store_dwordx4 v[6:7], v[2:5], off
	s_andn2_b64 exec, exec, s[10:11]
	s_cbranch_execz .LBB245_91
.LBB245_84:                             ; =>This Loop Header: Depth=1
                                        ;     Child Loop BB245_86 Depth 2
                                        ;     Child Loop BB245_90 Depth 2
	v_lshl_add_u32 v4, v0, 2, 0
	ds_read_b32 v5, v4
	s_and_b64 vcc, exec, s[4:5]
	v_pk_mov_b32 v[2:3], s[8:9], s[8:9] op_sel:[0,1]
	s_mov_b32 s16, 0
	s_cbranch_vccnz .LBB245_88
; %bb.85:                               ;   in Loop: Header=BB245_84 Depth=1
	s_mov_b32 s17, 0
	v_pk_mov_b32 v[2:3], s[8:9], s[8:9] op_sel:[0,1]
.LBB245_86:                             ;   Parent Loop BB245_84 Depth=1
                                        ; =>  This Inner Loop Header: Depth=2
	v_mov_b32_e32 v12, s17
	ds_read2_b32 v[6:7], v12 offset1:1
	ds_read2_b32 v[8:9], v12 offset0:2 offset1:3
	ds_read2_b32 v[10:11], v12 offset0:4 offset1:5
	;; [unrolled: 1-line block ×3, first 2 shown]
	s_add_i32 s16, s16, 8
	s_waitcnt lgkmcnt(3)
	v_cmp_gt_i32_e32 vcc, v5, v6
	v_cndmask_b32_e64 v6, 0, 1, vcc
	v_cmp_gt_i32_e32 vcc, v5, v7
	v_cndmask_b32_e64 v7, 0, 1, vcc
	s_waitcnt lgkmcnt(2)
	v_cmp_gt_i32_e32 vcc, v5, v8
	v_cndmask_b32_e64 v8, 0, 1, vcc
	v_cmp_gt_i32_e32 vcc, v5, v9
	v_cndmask_b32_e64 v9, 0, 1, vcc
	s_waitcnt lgkmcnt(1)
	v_cmp_gt_i32_e32 vcc, v5, v10
	v_cndmask_b32_e64 v10, 0, 1, vcc
	v_cmp_gt_i32_e32 vcc, v5, v11
	v_cndmask_b32_e64 v11, 0, 1, vcc
	s_waitcnt lgkmcnt(0)
	v_cmp_gt_i32_e32 vcc, v5, v12
	v_cndmask_b32_e64 v12, 0, 1, vcc
	v_cmp_gt_i32_e32 vcc, v5, v13
	v_cndmask_b32_e64 v13, 0, 1, vcc
	v_add_co_u32_e32 v2, vcc, v2, v6
	v_addc_co_u32_e32 v3, vcc, 0, v3, vcc
	v_add_co_u32_e32 v2, vcc, v2, v7
	v_addc_co_u32_e32 v3, vcc, 0, v3, vcc
	v_add_co_u32_e32 v2, vcc, v2, v8
	v_addc_co_u32_e32 v3, vcc, 0, v3, vcc
	v_add_co_u32_e32 v2, vcc, v2, v9
	v_addc_co_u32_e32 v3, vcc, 0, v3, vcc
	v_add_co_u32_e32 v2, vcc, v2, v10
	v_addc_co_u32_e32 v3, vcc, 0, v3, vcc
	v_add_co_u32_e32 v2, vcc, v2, v11
	v_addc_co_u32_e32 v3, vcc, 0, v3, vcc
	v_add_co_u32_e32 v2, vcc, v2, v12
	v_addc_co_u32_e32 v3, vcc, 0, v3, vcc
	s_add_i32 s17, s17, 32
	v_add_co_u32_e32 v2, vcc, v2, v13
	s_cmp_eq_u32 s14, s16
	v_addc_co_u32_e32 v3, vcc, 0, v3, vcc
	s_cbranch_scc0 .LBB245_86
; %bb.87:                               ;   in Loop: Header=BB245_84 Depth=1
	s_mov_b32 s16, s14
.LBB245_88:                             ;   in Loop: Header=BB245_84 Depth=1
	s_and_b64 vcc, exec, s[6:7]
	s_cbranch_vccnz .LBB245_83
; %bb.89:                               ;   in Loop: Header=BB245_84 Depth=1
	s_lshl_b32 s16, s16, 2
	s_add_i32 s16, s16, 0
	s_mov_b32 s17, s13
.LBB245_90:                             ;   Parent Loop BB245_84 Depth=1
                                        ; =>  This Inner Loop Header: Depth=2
	v_mov_b32_e32 v6, s16
	ds_read_b32 v6, v6
	s_add_i32 s16, s16, 4
	s_add_i32 s17, s17, -1
	s_cmp_lg_u32 s17, 0
	s_waitcnt lgkmcnt(0)
	v_cmp_gt_i32_e32 vcc, v5, v6
	v_cndmask_b32_e64 v6, 0, 1, vcc
	v_add_co_u32_e32 v2, vcc, v2, v6
	v_addc_co_u32_e32 v3, vcc, 0, v3, vcc
	s_cbranch_scc1 .LBB245_90
	s_branch .LBB245_83
.LBB245_91:
	s_endpgm
	.section	.rodata,"a",@progbits
	.p2align	6, 0x0
	.amdhsa_kernel _ZN9rocsparseL26csrgemm_fill_block_per_rowILj512ELj32ELj1024ELj137ELj32Eli21rocsparse_complex_numIdEEEvT5_PKS3_S5_NS_24const_host_device_scalarIT6_EEPKT4_S5_PKS7_SB_S5_SD_S8_SB_S5_SD_SB_PS3_PS7_21rocsparse_index_base_SG_SG_SG_bbb
		.amdhsa_group_segment_fixed_size 0
		.amdhsa_private_segment_fixed_size 40
		.amdhsa_kernarg_size 172
		.amdhsa_user_sgpr_count 8
		.amdhsa_user_sgpr_private_segment_buffer 1
		.amdhsa_user_sgpr_dispatch_ptr 0
		.amdhsa_user_sgpr_queue_ptr 0
		.amdhsa_user_sgpr_kernarg_segment_ptr 1
		.amdhsa_user_sgpr_dispatch_id 0
		.amdhsa_user_sgpr_flat_scratch_init 1
		.amdhsa_user_sgpr_kernarg_preload_length 0
		.amdhsa_user_sgpr_kernarg_preload_offset 0
		.amdhsa_user_sgpr_private_segment_size 0
		.amdhsa_uses_dynamic_stack 0
		.amdhsa_system_sgpr_private_segment_wavefront_offset 1
		.amdhsa_system_sgpr_workgroup_id_x 1
		.amdhsa_system_sgpr_workgroup_id_y 0
		.amdhsa_system_sgpr_workgroup_id_z 0
		.amdhsa_system_sgpr_workgroup_info 0
		.amdhsa_system_vgpr_workitem_id 0
		.amdhsa_next_free_vgpr 38
		.amdhsa_next_free_sgpr 60
		.amdhsa_accum_offset 40
		.amdhsa_reserve_vcc 1
		.amdhsa_reserve_flat_scratch 1
		.amdhsa_float_round_mode_32 0
		.amdhsa_float_round_mode_16_64 0
		.amdhsa_float_denorm_mode_32 3
		.amdhsa_float_denorm_mode_16_64 3
		.amdhsa_dx10_clamp 1
		.amdhsa_ieee_mode 1
		.amdhsa_fp16_overflow 0
		.amdhsa_tg_split 0
		.amdhsa_exception_fp_ieee_invalid_op 0
		.amdhsa_exception_fp_denorm_src 0
		.amdhsa_exception_fp_ieee_div_zero 0
		.amdhsa_exception_fp_ieee_overflow 0
		.amdhsa_exception_fp_ieee_underflow 0
		.amdhsa_exception_fp_ieee_inexact 0
		.amdhsa_exception_int_div_zero 0
	.end_amdhsa_kernel
	.section	.text._ZN9rocsparseL26csrgemm_fill_block_per_rowILj512ELj32ELj1024ELj137ELj32Eli21rocsparse_complex_numIdEEEvT5_PKS3_S5_NS_24const_host_device_scalarIT6_EEPKT4_S5_PKS7_SB_S5_SD_S8_SB_S5_SD_SB_PS3_PS7_21rocsparse_index_base_SG_SG_SG_bbb,"axG",@progbits,_ZN9rocsparseL26csrgemm_fill_block_per_rowILj512ELj32ELj1024ELj137ELj32Eli21rocsparse_complex_numIdEEEvT5_PKS3_S5_NS_24const_host_device_scalarIT6_EEPKT4_S5_PKS7_SB_S5_SD_S8_SB_S5_SD_SB_PS3_PS7_21rocsparse_index_base_SG_SG_SG_bbb,comdat
.Lfunc_end245:
	.size	_ZN9rocsparseL26csrgemm_fill_block_per_rowILj512ELj32ELj1024ELj137ELj32Eli21rocsparse_complex_numIdEEEvT5_PKS3_S5_NS_24const_host_device_scalarIT6_EEPKT4_S5_PKS7_SB_S5_SD_S8_SB_S5_SD_SB_PS3_PS7_21rocsparse_index_base_SG_SG_SG_bbb, .Lfunc_end245-_ZN9rocsparseL26csrgemm_fill_block_per_rowILj512ELj32ELj1024ELj137ELj32Eli21rocsparse_complex_numIdEEEvT5_PKS3_S5_NS_24const_host_device_scalarIT6_EEPKT4_S5_PKS7_SB_S5_SD_S8_SB_S5_SD_SB_PS3_PS7_21rocsparse_index_base_SG_SG_SG_bbb
                                        ; -- End function
	.section	.AMDGPU.csdata,"",@progbits
; Kernel info:
; codeLenInByte = 3520
; NumSgprs: 66
; NumVgprs: 38
; NumAgprs: 0
; TotalNumVgprs: 38
; ScratchSize: 40
; MemoryBound: 0
; FloatMode: 240
; IeeeMode: 1
; LDSByteSize: 0 bytes/workgroup (compile time only)
; SGPRBlocks: 8
; VGPRBlocks: 4
; NumSGPRsForWavesPerEU: 66
; NumVGPRsForWavesPerEU: 38
; AccumOffset: 40
; Occupancy: 8
; WaveLimiterHint : 1
; COMPUTE_PGM_RSRC2:SCRATCH_EN: 1
; COMPUTE_PGM_RSRC2:USER_SGPR: 8
; COMPUTE_PGM_RSRC2:TRAP_HANDLER: 0
; COMPUTE_PGM_RSRC2:TGID_X_EN: 1
; COMPUTE_PGM_RSRC2:TGID_Y_EN: 0
; COMPUTE_PGM_RSRC2:TGID_Z_EN: 0
; COMPUTE_PGM_RSRC2:TIDIG_COMP_CNT: 0
; COMPUTE_PGM_RSRC3_GFX90A:ACCUM_OFFSET: 9
; COMPUTE_PGM_RSRC3_GFX90A:TG_SPLIT: 0
	.section	.text._ZN9rocsparseL26csrgemm_fill_block_per_rowILj512ELj32ELj1024ELj137ELj64Eli21rocsparse_complex_numIdEEEvT5_PKS3_S5_NS_24const_host_device_scalarIT6_EEPKT4_S5_PKS7_SB_S5_SD_S8_SB_S5_SD_SB_PS3_PS7_21rocsparse_index_base_SG_SG_SG_bbb,"axG",@progbits,_ZN9rocsparseL26csrgemm_fill_block_per_rowILj512ELj32ELj1024ELj137ELj64Eli21rocsparse_complex_numIdEEEvT5_PKS3_S5_NS_24const_host_device_scalarIT6_EEPKT4_S5_PKS7_SB_S5_SD_S8_SB_S5_SD_SB_PS3_PS7_21rocsparse_index_base_SG_SG_SG_bbb,comdat
	.globl	_ZN9rocsparseL26csrgemm_fill_block_per_rowILj512ELj32ELj1024ELj137ELj64Eli21rocsparse_complex_numIdEEEvT5_PKS3_S5_NS_24const_host_device_scalarIT6_EEPKT4_S5_PKS7_SB_S5_SD_S8_SB_S5_SD_SB_PS3_PS7_21rocsparse_index_base_SG_SG_SG_bbb ; -- Begin function _ZN9rocsparseL26csrgemm_fill_block_per_rowILj512ELj32ELj1024ELj137ELj64Eli21rocsparse_complex_numIdEEEvT5_PKS3_S5_NS_24const_host_device_scalarIT6_EEPKT4_S5_PKS7_SB_S5_SD_S8_SB_S5_SD_SB_PS3_PS7_21rocsparse_index_base_SG_SG_SG_bbb
	.p2align	8
	.type	_ZN9rocsparseL26csrgemm_fill_block_per_rowILj512ELj32ELj1024ELj137ELj64Eli21rocsparse_complex_numIdEEEvT5_PKS3_S5_NS_24const_host_device_scalarIT6_EEPKT4_S5_PKS7_SB_S5_SD_S8_SB_S5_SD_SB_PS3_PS7_21rocsparse_index_base_SG_SG_SG_bbb,@function
_ZN9rocsparseL26csrgemm_fill_block_per_rowILj512ELj32ELj1024ELj137ELj64Eli21rocsparse_complex_numIdEEEvT5_PKS3_S5_NS_24const_host_device_scalarIT6_EEPKT4_S5_PKS7_SB_S5_SD_S8_SB_S5_SD_SB_PS3_PS7_21rocsparse_index_base_SG_SG_SG_bbb: ; @_ZN9rocsparseL26csrgemm_fill_block_per_rowILj512ELj32ELj1024ELj137ELj64Eli21rocsparse_complex_numIdEEEvT5_PKS3_S5_NS_24const_host_device_scalarIT6_EEPKT4_S5_PKS7_SB_S5_SD_S8_SB_S5_SD_SB_PS3_PS7_21rocsparse_index_base_SG_SG_SG_bbb
; %bb.0:
	s_add_u32 flat_scratch_lo, s6, s9
	s_addc_u32 flat_scratch_hi, s7, 0
	s_load_dwordx4 s[12:15], s[4:5], 0x18
	s_load_dwordx4 s[48:51], s[4:5], 0x58
	s_add_u32 s0, s0, s9
	s_load_dword s9, s[4:5], 0xa8
	s_load_dwordx4 s[36:39], s[4:5], 0x98
	s_addc_u32 s1, s1, 0
	s_waitcnt lgkmcnt(0)
	v_mov_b32_e32 v1, s13
	buffer_store_dword v1, off, s[0:3], 0 offset:20
	s_bitcmp1_b32 s9, 0
	s_cselect_b64 s[54:55], -1, 0
	s_bitcmp1_b32 s9, 16
	v_mov_b32_e32 v1, s12
	s_cselect_b64 s[6:7], -1, 0
	buffer_store_dword v1, off, s[0:3], 0 offset:16
	v_mov_b32_e32 v1, s49
	buffer_store_dword v1, off, s[0:3], 0 offset:28
	v_mov_b32_e32 v1, s48
	s_xor_b64 s[10:11], s[6:7], -1
	buffer_store_dword v1, off, s[0:3], 0 offset:24
	v_pk_mov_b32 v[2:3], 0, 0
	v_cndmask_b32_e64 v1, 0, 1, s[10:11]
	s_bitcmp0_b32 s9, 0
	v_cmp_ne_u32_e64 s[10:11], 1, v1
	v_pk_mov_b32 v[6:7], v[2:3], v[2:3] op_sel:[0,1]
	v_pk_mov_b32 v[8:9], v[2:3], v[2:3] op_sel:[0,1]
	s_cbranch_scc1 .LBB246_3
; %bb.1:
	s_mov_b64 s[16:17], src_private_base
	s_and_b64 s[18:19], s[6:7], exec
	s_cselect_b32 s16, s17, s13
	v_mov_b32_e32 v1, 16
	v_mov_b32_e32 v4, s12
	v_cndmask_b32_e64 v4, v4, v1, s[6:7]
	v_mov_b32_e32 v5, s16
	flat_load_dwordx2 v[6:7], v[4:5]
	s_and_b64 vcc, exec, s[10:11]
	v_pk_mov_b32 v[8:9], s[14:15], s[14:15] op_sel:[0,1]
	s_cbranch_vccnz .LBB246_3
; %bb.2:
	v_pk_mov_b32 v[4:5], s[12:13], s[12:13] op_sel:[0,1]
	flat_load_dwordx2 v[8:9], v[4:5] offset:8
.LBB246_3:
	s_load_dwordx4 s[40:43], s[4:5], 0x88
	s_load_dwordx8 s[16:23], s[4:5], 0x68
	s_load_dwordx4 s[12:15], s[4:5], 0x48
	s_load_dwordx4 s[44:47], s[4:5], 0x8
	s_load_dwordx8 s[24:31], s[4:5], 0x28
	s_bitcmp1_b32 s9, 8
	s_cselect_b64 s[52:53], -1, 0
	s_bfe_u32 s9, s9, 0x10008
	s_mov_b64 s[34:35], 0
	s_cmp_eq_u32 s9, 0
	v_pk_mov_b32 v[4:5], v[2:3], v[2:3] op_sel:[0,1]
	s_cbranch_scc1 .LBB246_6
; %bb.4:
	s_mov_b64 s[56:57], src_private_base
	s_and_b64 s[58:59], s[6:7], exec
	s_cselect_b32 s9, s57, s49
	v_mov_b32_e32 v1, 24
	v_mov_b32_e32 v2, s48
	v_cndmask_b32_e64 v2, v2, v1, s[6:7]
	v_mov_b32_e32 v3, s9
	flat_load_dwordx2 v[4:5], v[2:3]
	s_and_b64 vcc, exec, s[10:11]
	v_pk_mov_b32 v[2:3], s[50:51], s[50:51] op_sel:[0,1]
	s_cbranch_vccnz .LBB246_6
; %bb.5:
	v_pk_mov_b32 v[2:3], s[48:49], s[48:49] op_sel:[0,1]
	flat_load_dwordx2 v[2:3], v[2:3] offset:8
.LBB246_6:
	s_load_dword s33, s[4:5], 0x0
	s_mov_b32 s4, 0
	v_lshl_add_u32 v1, v0, 4, 0
	v_add_u32_e32 v1, 0x1000, v1
	v_or_b32_e32 v25, 0xfffffe00, v0
	v_lshl_add_u32 v26, v0, 2, 0
	s_mov_b32 s5, s4
	s_mov_b32 s6, s4
	;; [unrolled: 1-line block ×3, first 2 shown]
	s_waitcnt lgkmcnt(0)
	v_mov_b32_e32 v14, s33
	v_pk_mov_b32 v[10:11], s[4:5], s[4:5] op_sel:[0,1]
	v_pk_mov_b32 v[12:13], s[6:7], s[6:7] op_sel:[0,1]
	v_mov_b32_e32 v15, v26
	v_mov_b32_e32 v16, v25
	;; [unrolled: 1-line block ×3, first 2 shown]
.LBB246_7:                              ; =>This Inner Loop Header: Depth=1
	v_add_co_u32_e32 v16, vcc, 0x200, v16
	s_xor_b64 s[4:5], vcc, -1
	s_and_b64 s[4:5], exec, s[4:5]
	ds_write_b32 v15, v14
	ds_write2_b64 v17, v[10:11], v[12:13] offset1:1
	v_add_u32_e32 v17, 0x2000, v17
	s_or_b64 s[34:35], s[4:5], s[34:35]
	v_add_u32_e32 v15, 0x800, v15
	s_andn2_b64 exec, exec, s[34:35]
	s_cbranch_execnz .LBB246_7
; %bb.8:
	s_or_b64 exec, exec, s[34:35]
	s_waitcnt lgkmcnt(0)
	s_barrier
	s_load_dword s4, s[44:45], 0x0
	s_mov_b32 s5, 0
	s_waitcnt lgkmcnt(0)
	s_add_i32 s4, s4, s8
	s_lshl_b64 s[4:5], s[4:5], 2
	s_add_u32 s4, s46, s4
	s_addc_u32 s5, s47, s5
	s_load_dword s34, s[4:5], 0x0
	s_and_b64 vcc, exec, s[54:55]
	s_cbranch_vccz .LBB246_28
; %bb.9:
	s_waitcnt lgkmcnt(0)
	s_ashr_i32 s35, s34, 31
	s_lshl_b64 s[4:5], s[34:35], 3
	s_add_u32 s4, s24, s4
	s_addc_u32 s5, s25, s5
	s_load_dwordx4 s[8:11], s[4:5], 0x0
	v_lshrrev_b32_e32 v10, 5, v0
	v_subrev_co_u32_e32 v10, vcc, s36, v10
	v_subb_co_u32_e64 v11, s[6:7], 0, 0, vcc
	s_waitcnt lgkmcnt(0)
	s_sub_u32 s4, s10, s36
	v_mov_b32_e32 v12, s9
	v_add_co_u32_e32 v10, vcc, s8, v10
	s_subb_u32 s5, s11, 0
	v_addc_co_u32_e32 v11, vcc, v12, v11, vcc
	v_cmp_gt_i64_e32 vcc, s[4:5], v[10:11]
	s_and_saveexec_b64 s[6:7], vcc
	s_cbranch_execz .LBB246_27
; %bb.10:
	v_and_b32_e32 v12, 31, v0
	v_subrev_co_u32_e32 v27, vcc, s37, v12
	s_mov_b32 s10, 0
	v_subb_co_u32_e64 v28, s[8:9], 0, 0, vcc
	s_mov_b32 s35, s37
	s_mov_b64 s[8:9], 0
	v_mov_b32_e32 v29, s27
	v_mov_b32_e32 v30, s31
	;; [unrolled: 1-line block ×3, first 2 shown]
	s_movk_i32 s27, 0x89
	s_branch .LBB246_12
.LBB246_11:                             ;   in Loop: Header=BB246_12 Depth=1
	s_or_b64 exec, exec, s[10:11]
	v_add_co_u32_e32 v10, vcc, 16, v10
	v_addc_co_u32_e32 v11, vcc, 0, v11, vcc
	v_cmp_le_i64_e32 vcc, s[4:5], v[10:11]
	s_or_b64 s[8:9], vcc, s[8:9]
	s_andn2_b64 exec, exec, s[8:9]
	s_cbranch_execz .LBB246_27
.LBB246_12:                             ; =>This Loop Header: Depth=1
                                        ;     Child Loop BB246_15 Depth 2
                                        ;       Child Loop BB246_17 Depth 3
	v_lshlrev_b64 v[12:13], 2, v[10:11]
	v_add_co_u32_e32 v12, vcc, s26, v12
	v_addc_co_u32_e32 v13, vcc, v29, v13, vcc
	global_load_dword v12, v[12:13], off
	s_waitcnt vmcnt(0)
	v_subrev_u32_e32 v12, s36, v12
	v_ashrrev_i32_e32 v13, 31, v12
	v_lshlrev_b64 v[12:13], 3, v[12:13]
	v_add_co_u32_e32 v12, vcc, s30, v12
	v_addc_co_u32_e32 v13, vcc, v30, v13, vcc
	global_load_dwordx4 v[14:17], v[12:13], off
	s_waitcnt vmcnt(0)
	v_subrev_co_u32_e32 v12, vcc, s35, v16
	v_subb_co_u32_e32 v13, vcc, v17, v31, vcc
	v_add_co_u32_e32 v14, vcc, v14, v27
	v_addc_co_u32_e32 v15, vcc, v15, v28, vcc
	v_cmp_lt_i64_e32 vcc, v[14:15], v[12:13]
	s_and_saveexec_b64 s[10:11], vcc
	s_cbranch_execz .LBB246_11
; %bb.13:                               ;   in Loop: Header=BB246_12 Depth=1
	v_lshlrev_b64 v[16:17], 4, v[10:11]
	v_mov_b32_e32 v18, s29
	v_add_co_u32_e32 v16, vcc, s28, v16
	v_addc_co_u32_e32 v17, vcc, v18, v17, vcc
	global_load_dwordx4 v[20:23], v[16:17], off
	s_mov_b64 s[24:25], 0
	s_waitcnt vmcnt(0)
	v_mul_f64 v[16:17], v[22:23], -v[8:9]
	v_mul_f64 v[18:19], v[6:7], v[22:23]
	v_fmac_f64_e32 v[16:17], v[6:7], v[20:21]
	v_fmac_f64_e32 v[18:19], v[8:9], v[20:21]
	s_branch .LBB246_15
.LBB246_14:                             ;   in Loop: Header=BB246_15 Depth=2
	s_or_b64 exec, exec, s[44:45]
	v_add_co_u32_e32 v14, vcc, 32, v14
	v_addc_co_u32_e32 v15, vcc, 0, v15, vcc
	v_cmp_ge_i64_e32 vcc, v[14:15], v[12:13]
	s_or_b64 s[24:25], vcc, s[24:25]
	s_andn2_b64 exec, exec, s[24:25]
	s_cbranch_execz .LBB246_11
.LBB246_15:                             ;   Parent Loop BB246_12 Depth=1
                                        ; =>  This Loop Header: Depth=2
                                        ;       Child Loop BB246_17 Depth 3
	v_lshlrev_b64 v[20:21], 2, v[14:15]
	v_mov_b32_e32 v22, s13
	v_add_co_u32_e32 v20, vcc, s12, v20
	v_addc_co_u32_e32 v21, vcc, v22, v21, vcc
	global_load_dword v22, v[20:21], off
	v_lshlrev_b64 v[20:21], 4, v[14:15]
	v_mov_b32_e32 v23, s15
	v_add_co_u32_e32 v20, vcc, s14, v20
	v_addc_co_u32_e32 v21, vcc, v23, v21, vcc
	global_load_dwordx4 v[34:37], v[20:21], off
	s_mov_b64 s[44:45], 0
	s_waitcnt vmcnt(1)
	v_subrev_u32_e32 v32, s37, v22
	v_mul_lo_u32 v24, v32, s27
	v_and_b32_e32 v33, 0x3ff, v24
	s_waitcnt vmcnt(0)
	v_mul_f64 v[20:21], v[36:37], -v[18:19]
	v_mul_f64 v[22:23], v[16:17], v[36:37]
	v_fmac_f64_e32 v[20:21], v[16:17], v[34:35]
	v_fmac_f64_e32 v[22:23], v[18:19], v[34:35]
	s_branch .LBB246_17
.LBB246_16:                             ;   in Loop: Header=BB246_17 Depth=3
	s_or_b64 exec, exec, s[46:47]
	s_xor_b64 s[46:47], s[48:49], -1
	s_and_b64 s[46:47], exec, s[46:47]
	s_or_b64 s[44:45], s[46:47], s[44:45]
	s_andn2_b64 exec, exec, s[44:45]
	s_cbranch_execz .LBB246_14
.LBB246_17:                             ;   Parent Loop BB246_12 Depth=1
                                        ;     Parent Loop BB246_15 Depth=2
                                        ; =>    This Inner Loop Header: Depth=3
	v_lshl_add_u32 v24, v33, 2, 0
	ds_read_b32 v34, v24
                                        ; implicit-def: $sgpr48_sgpr49
	s_waitcnt lgkmcnt(0)
	v_cmp_ne_u32_e32 vcc, v34, v32
	s_and_saveexec_b64 s[46:47], vcc
	s_xor_b64 s[46:47], exec, s[46:47]
	s_cbranch_execz .LBB246_25
; %bb.18:                               ;   in Loop: Header=BB246_17 Depth=3
	v_cmp_ne_u32_e32 vcc, s33, v34
                                        ; implicit-def: $sgpr48_sgpr49
	s_and_saveexec_b64 s[50:51], vcc
	s_xor_b64 s[50:51], exec, s[50:51]
; %bb.19:                               ;   in Loop: Header=BB246_17 Depth=3
	v_add_u32_e32 v24, 1, v33
	v_and_b32_e32 v33, 0x3ff, v24
	s_mov_b64 s[48:49], -1
                                        ; implicit-def: $vgpr24
; %bb.20:                               ;   in Loop: Header=BB246_17 Depth=3
	s_andn2_saveexec_b64 s[50:51], s[50:51]
	s_cbranch_execz .LBB246_24
; %bb.21:                               ;   in Loop: Header=BB246_17 Depth=3
	v_mov_b32_e32 v34, s33
	ds_cmpst_rtn_b32 v34, v24, v34, v32
	s_mov_b64 s[56:57], -1
	s_waitcnt lgkmcnt(0)
	v_cmp_eq_u32_e32 vcc, s33, v34
	s_and_saveexec_b64 s[54:55], vcc
	s_cbranch_execz .LBB246_23
; %bb.22:                               ;   in Loop: Header=BB246_17 Depth=3
	v_mad_u64_u32 v[34:35], s[56:57], v33, 12, v[24:25]
	ds_add_f64 v34, v[20:21] offset:4096
	ds_add_f64 v34, v[22:23] offset:4104
	s_xor_b64 s[56:57], exec, -1
.LBB246_23:                             ;   in Loop: Header=BB246_17 Depth=3
	s_or_b64 exec, exec, s[54:55]
	s_andn2_b64 s[48:49], s[48:49], exec
	s_and_b64 s[54:55], s[56:57], exec
	s_or_b64 s[48:49], s[48:49], s[54:55]
.LBB246_24:                             ;   in Loop: Header=BB246_17 Depth=3
	s_or_b64 exec, exec, s[50:51]
	s_and_b64 s[48:49], s[48:49], exec
                                        ; implicit-def: $vgpr24
.LBB246_25:                             ;   in Loop: Header=BB246_17 Depth=3
	s_andn2_saveexec_b64 s[46:47], s[46:47]
	s_cbranch_execz .LBB246_16
; %bb.26:                               ;   in Loop: Header=BB246_17 Depth=3
	v_mad_u64_u32 v[34:35], s[50:51], v33, 12, v[24:25]
	ds_add_f64 v34, v[20:21] offset:4096
	ds_add_f64 v34, v[22:23] offset:4104
	s_andn2_b64 s[48:49], s[48:49], exec
	s_branch .LBB246_16
.LBB246_27:
	s_or_b64 exec, exec, s[6:7]
.LBB246_28:
	s_andn2_b64 vcc, exec, s[52:53]
	s_cbranch_vccnz .LBB246_45
; %bb.29:
	s_waitcnt lgkmcnt(0)
	s_ashr_i32 s35, s34, 31
	s_lshl_b64 s[4:5], s[34:35], 3
	s_add_u32 s4, s16, s4
	s_addc_u32 s5, s17, s5
	s_load_dwordx4 s[8:11], s[4:5], 0x0
	s_waitcnt vmcnt(0)
	v_subrev_co_u32_e32 v6, vcc, s39, v0
	v_subb_co_u32_e64 v7, s[4:5], 0, 0, vcc
	s_waitcnt lgkmcnt(0)
	s_sub_u32 s4, s10, s39
	v_mov_b32_e32 v8, s9
	v_add_co_u32_e32 v6, vcc, s8, v6
	s_subb_u32 s5, s11, 0
	v_addc_co_u32_e32 v7, vcc, v8, v7, vcc
	v_cmp_gt_i64_e32 vcc, s[4:5], v[6:7]
	s_and_saveexec_b64 s[6:7], vcc
	s_cbranch_execz .LBB246_44
; %bb.30:
	s_mov_b64 s[8:9], 0
	v_mov_b32_e32 v13, s19
	v_mov_b32_e32 v14, s21
	s_movk_i32 s19, 0x89
	s_branch .LBB246_32
.LBB246_31:                             ;   in Loop: Header=BB246_32 Depth=1
	s_or_b64 exec, exec, s[10:11]
	v_add_co_u32_e32 v6, vcc, 0x200, v6
	v_addc_co_u32_e32 v7, vcc, 0, v7, vcc
	v_cmp_le_i64_e32 vcc, s[4:5], v[6:7]
	s_or_b64 s[8:9], vcc, s[8:9]
	s_andn2_b64 exec, exec, s[8:9]
	s_cbranch_execz .LBB246_44
.LBB246_32:                             ; =>This Loop Header: Depth=1
                                        ;     Child Loop BB246_34 Depth 2
	v_lshlrev_b64 v[8:9], 2, v[6:7]
	v_add_co_u32_e32 v8, vcc, s18, v8
	v_addc_co_u32_e32 v9, vcc, v13, v9, vcc
	global_load_dword v10, v[8:9], off
	v_lshlrev_b64 v[8:9], 4, v[6:7]
	v_add_co_u32_e32 v8, vcc, s20, v8
	v_addc_co_u32_e32 v9, vcc, v14, v9, vcc
	global_load_dwordx4 v[16:19], v[8:9], off
	s_mov_b64 s[10:11], 0
	s_waitcnt vmcnt(1)
	v_subrev_u32_e32 v15, s39, v10
	v_mul_lo_u32 v12, v15, s19
	s_waitcnt vmcnt(0)
	v_mul_f64 v[8:9], v[18:19], -v[2:3]
	v_mul_f64 v[10:11], v[4:5], v[18:19]
	v_fmac_f64_e32 v[8:9], v[4:5], v[16:17]
	v_fmac_f64_e32 v[10:11], v[2:3], v[16:17]
	v_and_b32_e32 v16, 0x3ff, v12
	s_branch .LBB246_34
.LBB246_33:                             ;   in Loop: Header=BB246_34 Depth=2
	s_or_b64 exec, exec, s[12:13]
	s_xor_b64 s[12:13], s[14:15], -1
	s_and_b64 s[12:13], exec, s[12:13]
	s_or_b64 s[10:11], s[12:13], s[10:11]
	s_andn2_b64 exec, exec, s[10:11]
	s_cbranch_execz .LBB246_31
.LBB246_34:                             ;   Parent Loop BB246_32 Depth=1
                                        ; =>  This Inner Loop Header: Depth=2
	v_lshl_add_u32 v12, v16, 2, 0
	ds_read_b32 v17, v12
                                        ; implicit-def: $sgpr14_sgpr15
	s_waitcnt lgkmcnt(0)
	v_cmp_ne_u32_e32 vcc, v17, v15
	s_and_saveexec_b64 s[12:13], vcc
	s_xor_b64 s[12:13], exec, s[12:13]
	s_cbranch_execz .LBB246_42
; %bb.35:                               ;   in Loop: Header=BB246_34 Depth=2
	v_cmp_ne_u32_e32 vcc, s33, v17
                                        ; implicit-def: $sgpr14_sgpr15
	s_and_saveexec_b64 s[16:17], vcc
	s_xor_b64 s[16:17], exec, s[16:17]
; %bb.36:                               ;   in Loop: Header=BB246_34 Depth=2
	v_add_u32_e32 v12, 1, v16
	v_and_b32_e32 v16, 0x3ff, v12
	s_mov_b64 s[14:15], -1
                                        ; implicit-def: $vgpr12
; %bb.37:                               ;   in Loop: Header=BB246_34 Depth=2
	s_andn2_saveexec_b64 s[16:17], s[16:17]
	s_cbranch_execz .LBB246_41
; %bb.38:                               ;   in Loop: Header=BB246_34 Depth=2
	v_mov_b32_e32 v17, s33
	ds_cmpst_rtn_b32 v17, v12, v17, v15
	s_mov_b64 s[26:27], -1
	s_waitcnt lgkmcnt(0)
	v_cmp_eq_u32_e32 vcc, s33, v17
	s_and_saveexec_b64 s[24:25], vcc
	s_cbranch_execz .LBB246_40
; %bb.39:                               ;   in Loop: Header=BB246_34 Depth=2
	v_mad_u64_u32 v[18:19], s[26:27], v16, 12, v[12:13]
	ds_add_f64 v18, v[8:9] offset:4096
	ds_add_f64 v18, v[10:11] offset:4104
	s_xor_b64 s[26:27], exec, -1
.LBB246_40:                             ;   in Loop: Header=BB246_34 Depth=2
	s_or_b64 exec, exec, s[24:25]
	s_andn2_b64 s[14:15], s[14:15], exec
	s_and_b64 s[24:25], s[26:27], exec
	s_or_b64 s[14:15], s[14:15], s[24:25]
.LBB246_41:                             ;   in Loop: Header=BB246_34 Depth=2
	s_or_b64 exec, exec, s[16:17]
	s_and_b64 s[14:15], s[14:15], exec
                                        ; implicit-def: $vgpr12
.LBB246_42:                             ;   in Loop: Header=BB246_34 Depth=2
	s_andn2_saveexec_b64 s[12:13], s[12:13]
	s_cbranch_execz .LBB246_33
; %bb.43:                               ;   in Loop: Header=BB246_34 Depth=2
	v_mad_u64_u32 v[18:19], s[16:17], v16, 12, v[12:13]
	ds_add_f64 v18, v[8:9] offset:4096
	ds_add_f64 v18, v[10:11] offset:4104
	s_andn2_b64 s[14:15], s[14:15], exec
	s_branch .LBB246_33
.LBB246_44:
	s_or_b64 exec, exec, s[6:7]
.LBB246_45:
	s_waitcnt vmcnt(0)
	v_mbcnt_lo_u32_b32 v2, -1, 0
	v_mbcnt_hi_u32_b32 v2, -1, v2
	v_lshrrev_b32_e32 v5, 4, v0
	v_sub_u32_e32 v2, 63, v2
	v_and_b32_e32 v5, 28, v5
	s_movk_i32 s4, 0x1ff
	s_movk_i32 s8, 0x7f
	;; [unrolled: 1-line block ×7, first 2 shown]
	v_mov_b32_e32 v4, 0
	v_lshrrev_b64 v[2:3], v2, -1
	v_add_u32_e32 v5, 0, v5
	v_cmp_eq_u32_e64 s[4:5], s4, v0
	v_cmp_lt_u32_e64 s[6:7], 63, v0
	v_cmp_lt_u32_e64 s[8:9], s8, v0
	;; [unrolled: 1-line block ×7, first 2 shown]
	s_mov_b64 s[20:21], 0
	v_mov_b32_e32 v6, 0
	s_waitcnt lgkmcnt(0)
	s_barrier
	s_branch .LBB246_47
.LBB246_46:                             ;   in Loop: Header=BB246_47 Depth=1
	s_or_b64 exec, exec, s[24:25]
	s_waitcnt lgkmcnt(0)
	s_barrier
	ds_read_b32 v7, v4 offset:20508
	v_add_co_u32_e32 v25, vcc, 0x200, v25
	s_xor_b64 s[24:25], vcc, -1
	s_and_b64 s[24:25], exec, s[24:25]
	v_add_u32_e32 v1, 0x2000, v1
	s_waitcnt lgkmcnt(0)
	v_add_u32_e32 v6, v7, v6
	s_or_b64 s[20:21], s[24:25], s[20:21]
	v_add_u32_e32 v26, 0x800, v26
	s_andn2_b64 exec, exec, s[20:21]
	s_cbranch_execz .LBB246_65
.LBB246_47:                             ; =>This Inner Loop Header: Depth=1
	ds_read2_b64 v[10:13], v1 offset1:1
	ds_read_b32 v8, v26
	s_waitcnt lgkmcnt(1)
	buffer_store_dword v13, off, s[0:3], 0 offset:12
	buffer_store_dword v12, off, s[0:3], 0 offset:8
	;; [unrolled: 1-line block ×3, first 2 shown]
	buffer_store_dword v10, off, s[0:3], 0
	s_waitcnt lgkmcnt(0)
	v_cmp_gt_i32_e32 vcc, s33, v8
	v_and_b32_e32 v9, vcc_lo, v2
	s_bcnt1_i32_b64 s24, vcc
	v_and_b32_e32 v7, vcc_hi, v3
	v_bcnt_u32_b32 v9, v9, 0
	v_bcnt_u32_b32 v7, v7, v9
	v_mov_b32_e32 v9, s24
	s_barrier
	ds_write_b32 v5, v9 offset:20480
	s_waitcnt lgkmcnt(0)
	s_barrier
	s_and_saveexec_b64 s[24:25], s[6:7]
	s_cbranch_execnz .LBB246_56
; %bb.48:                               ;   in Loop: Header=BB246_47 Depth=1
	s_or_b64 exec, exec, s[24:25]
	s_and_saveexec_b64 s[24:25], s[8:9]
	s_cbranch_execnz .LBB246_57
.LBB246_49:                             ;   in Loop: Header=BB246_47 Depth=1
	s_or_b64 exec, exec, s[24:25]
	s_and_saveexec_b64 s[24:25], s[10:11]
	s_cbranch_execnz .LBB246_58
.LBB246_50:                             ;   in Loop: Header=BB246_47 Depth=1
	s_or_b64 exec, exec, s[24:25]
	s_and_saveexec_b64 s[24:25], s[12:13]
	s_cbranch_execnz .LBB246_59
.LBB246_51:                             ;   in Loop: Header=BB246_47 Depth=1
	s_or_b64 exec, exec, s[24:25]
	s_and_saveexec_b64 s[24:25], s[14:15]
	s_cbranch_execnz .LBB246_60
.LBB246_52:                             ;   in Loop: Header=BB246_47 Depth=1
	s_or_b64 exec, exec, s[24:25]
	s_and_saveexec_b64 s[24:25], s[16:17]
	s_cbranch_execnz .LBB246_61
.LBB246_53:                             ;   in Loop: Header=BB246_47 Depth=1
	s_or_b64 exec, exec, s[24:25]
	s_and_saveexec_b64 s[24:25], s[18:19]
	s_cbranch_execnz .LBB246_62
.LBB246_54:                             ;   in Loop: Header=BB246_47 Depth=1
	s_or_b64 exec, exec, s[24:25]
	s_and_saveexec_b64 s[24:25], vcc
	s_cbranch_execnz .LBB246_63
.LBB246_55:                             ;   in Loop: Header=BB246_47 Depth=1
	s_or_b64 exec, exec, s[24:25]
	s_and_saveexec_b64 s[24:25], s[4:5]
	s_cbranch_execz .LBB246_46
	s_branch .LBB246_64
.LBB246_56:                             ;   in Loop: Header=BB246_47 Depth=1
	ds_read_b32 v9, v4 offset:20480
	s_waitcnt lgkmcnt(0)
	v_add_u32_e32 v7, v9, v7
	s_or_b64 exec, exec, s[24:25]
	s_and_saveexec_b64 s[24:25], s[8:9]
	s_cbranch_execz .LBB246_49
.LBB246_57:                             ;   in Loop: Header=BB246_47 Depth=1
	ds_read_b32 v9, v4 offset:20484
	s_waitcnt lgkmcnt(0)
	v_add_u32_e32 v7, v9, v7
	s_or_b64 exec, exec, s[24:25]
	s_and_saveexec_b64 s[24:25], s[10:11]
	s_cbranch_execz .LBB246_50
.LBB246_58:                             ;   in Loop: Header=BB246_47 Depth=1
	ds_read_b32 v9, v4 offset:20488
	s_waitcnt lgkmcnt(0)
	v_add_u32_e32 v7, v9, v7
	s_or_b64 exec, exec, s[24:25]
	s_and_saveexec_b64 s[24:25], s[12:13]
	s_cbranch_execz .LBB246_51
.LBB246_59:                             ;   in Loop: Header=BB246_47 Depth=1
	ds_read_b32 v9, v4 offset:20492
	s_waitcnt lgkmcnt(0)
	v_add_u32_e32 v7, v9, v7
	s_or_b64 exec, exec, s[24:25]
	s_and_saveexec_b64 s[24:25], s[14:15]
	s_cbranch_execz .LBB246_52
.LBB246_60:                             ;   in Loop: Header=BB246_47 Depth=1
	ds_read_b32 v9, v4 offset:20496
	s_waitcnt lgkmcnt(0)
	v_add_u32_e32 v7, v9, v7
	s_or_b64 exec, exec, s[24:25]
	s_and_saveexec_b64 s[24:25], s[16:17]
	s_cbranch_execz .LBB246_53
.LBB246_61:                             ;   in Loop: Header=BB246_47 Depth=1
	ds_read_b32 v9, v4 offset:20500
	s_waitcnt lgkmcnt(0)
	v_add_u32_e32 v7, v9, v7
	s_or_b64 exec, exec, s[24:25]
	s_and_saveexec_b64 s[24:25], s[18:19]
	s_cbranch_execz .LBB246_54
.LBB246_62:                             ;   in Loop: Header=BB246_47 Depth=1
	ds_read_b32 v9, v4 offset:20504
	s_waitcnt lgkmcnt(0)
	v_add_u32_e32 v7, v9, v7
	s_or_b64 exec, exec, s[24:25]
	s_and_saveexec_b64 s[24:25], vcc
	s_cbranch_execz .LBB246_55
.LBB246_63:                             ;   in Loop: Header=BB246_47 Depth=1
	buffer_load_dword v10, off, s[0:3], 0
	buffer_load_dword v11, off, s[0:3], 0 offset:4
	buffer_load_dword v12, off, s[0:3], 0 offset:8
	;; [unrolled: 1-line block ×3, first 2 shown]
	v_add3_u32 v9, v6, -1, v7
	v_lshl_add_u32 v14, v9, 2, 0
	v_lshl_add_u32 v9, v9, 4, 0
	v_add_u32_e32 v9, 0x1000, v9
	ds_write_b32 v14, v8
	s_waitcnt vmcnt(0)
	ds_write2_b64 v9, v[10:11], v[12:13] offset1:1
	s_or_b64 exec, exec, s[24:25]
	s_and_saveexec_b64 s[24:25], s[4:5]
	s_cbranch_execz .LBB246_46
.LBB246_64:                             ;   in Loop: Header=BB246_47 Depth=1
	ds_write_b32 v4, v7 offset:20508
	s_branch .LBB246_46
.LBB246_65:
	s_or_b64 exec, exec, s[20:21]
	s_ashr_i32 s35, s34, 31
	s_lshl_b64 s[4:5], s[34:35], 3
	s_add_u32 s4, s22, s4
	s_addc_u32 s5, s23, s5
	s_load_dwordx4 s[4:7], s[4:5], 0x0
	s_waitcnt lgkmcnt(0)
	s_sub_i32 s12, s6, s4
	v_cmp_gt_i32_e32 vcc, s12, v0
	s_and_saveexec_b64 s[8:9], vcc
	s_cbranch_execz .LBB246_75
; %bb.66:
	s_sub_u32 s8, s4, s38
	s_subb_u32 s9, s5, 0
	s_and_b32 s13, s12, 7
	s_sub_i32 s4, s4, s6
	s_cmp_lt_u32 s4, -7
	s_cselect_b64 s[4:5], -1, 0
	s_and_b32 s14, s12, -8
	s_cmp_lg_u32 s13, 0
	v_cndmask_b32_e64 v1, 0, 1, s[4:5]
	s_cselect_b64 s[6:7], -1, 0
	v_cmp_ne_u32_e64 s[4:5], 1, v1
	v_cndmask_b32_e64 v1, 0, 1, s[6:7]
	s_mov_b64 s[10:11], 0
	s_movk_i32 s15, 0x1000
	v_cmp_ne_u32_e64 s[6:7], 1, v1
	v_mov_b32_e32 v1, s41
	s_branch .LBB246_68
.LBB246_67:                             ;   in Loop: Header=BB246_68 Depth=1
	v_mul_lo_u32 v6, v0, 12
	v_add3_u32 v8, v4, v6, s15
	s_waitcnt lgkmcnt(0)
	v_add_u32_e32 v6, s38, v5
	v_lshlrev_b64 v[4:5], 2, v[2:3]
	v_add_co_u32_e32 v4, vcc, s40, v4
	v_addc_co_u32_e32 v5, vcc, v1, v5, vcc
	global_store_dword v[4:5], v6, off
	v_lshlrev_b64 v[6:7], 4, v[2:3]
	ds_read2_b64 v[2:5], v8 offset1:1
	v_mov_b32_e32 v9, s43
	v_add_co_u32_e32 v6, vcc, s42, v6
	v_addc_co_u32_e32 v7, vcc, v9, v7, vcc
	v_add_u32_e32 v0, 0x200, v0
	v_cmp_le_i32_e32 vcc, s12, v0
	s_or_b64 s[10:11], vcc, s[10:11]
	s_waitcnt lgkmcnt(0)
	global_store_dwordx4 v[6:7], v[2:5], off
	s_andn2_b64 exec, exec, s[10:11]
	s_cbranch_execz .LBB246_75
.LBB246_68:                             ; =>This Loop Header: Depth=1
                                        ;     Child Loop BB246_70 Depth 2
                                        ;     Child Loop BB246_74 Depth 2
	v_lshl_add_u32 v4, v0, 2, 0
	ds_read_b32 v5, v4
	s_and_b64 vcc, exec, s[4:5]
	v_pk_mov_b32 v[2:3], s[8:9], s[8:9] op_sel:[0,1]
	s_mov_b32 s16, 0
	s_cbranch_vccnz .LBB246_72
; %bb.69:                               ;   in Loop: Header=BB246_68 Depth=1
	s_mov_b32 s17, 0
	v_pk_mov_b32 v[2:3], s[8:9], s[8:9] op_sel:[0,1]
.LBB246_70:                             ;   Parent Loop BB246_68 Depth=1
                                        ; =>  This Inner Loop Header: Depth=2
	v_mov_b32_e32 v12, s17
	ds_read2_b32 v[6:7], v12 offset1:1
	ds_read2_b32 v[8:9], v12 offset0:2 offset1:3
	ds_read2_b32 v[10:11], v12 offset0:4 offset1:5
	;; [unrolled: 1-line block ×3, first 2 shown]
	s_add_i32 s16, s16, 8
	s_waitcnt lgkmcnt(3)
	v_cmp_gt_i32_e32 vcc, v5, v6
	v_cndmask_b32_e64 v6, 0, 1, vcc
	v_cmp_gt_i32_e32 vcc, v5, v7
	v_cndmask_b32_e64 v7, 0, 1, vcc
	s_waitcnt lgkmcnt(2)
	v_cmp_gt_i32_e32 vcc, v5, v8
	v_cndmask_b32_e64 v8, 0, 1, vcc
	v_cmp_gt_i32_e32 vcc, v5, v9
	v_cndmask_b32_e64 v9, 0, 1, vcc
	;; [unrolled: 5-line block ×4, first 2 shown]
	v_add_co_u32_e32 v2, vcc, v2, v6
	v_addc_co_u32_e32 v3, vcc, 0, v3, vcc
	v_add_co_u32_e32 v2, vcc, v2, v7
	v_addc_co_u32_e32 v3, vcc, 0, v3, vcc
	v_add_co_u32_e32 v2, vcc, v2, v8
	v_addc_co_u32_e32 v3, vcc, 0, v3, vcc
	v_add_co_u32_e32 v2, vcc, v2, v9
	v_addc_co_u32_e32 v3, vcc, 0, v3, vcc
	v_add_co_u32_e32 v2, vcc, v2, v10
	v_addc_co_u32_e32 v3, vcc, 0, v3, vcc
	v_add_co_u32_e32 v2, vcc, v2, v11
	v_addc_co_u32_e32 v3, vcc, 0, v3, vcc
	v_add_co_u32_e32 v2, vcc, v2, v12
	v_addc_co_u32_e32 v3, vcc, 0, v3, vcc
	s_add_i32 s17, s17, 32
	v_add_co_u32_e32 v2, vcc, v2, v13
	s_cmp_eq_u32 s14, s16
	v_addc_co_u32_e32 v3, vcc, 0, v3, vcc
	s_cbranch_scc0 .LBB246_70
; %bb.71:                               ;   in Loop: Header=BB246_68 Depth=1
	s_mov_b32 s16, s14
.LBB246_72:                             ;   in Loop: Header=BB246_68 Depth=1
	s_and_b64 vcc, exec, s[6:7]
	s_cbranch_vccnz .LBB246_67
; %bb.73:                               ;   in Loop: Header=BB246_68 Depth=1
	s_lshl_b32 s16, s16, 2
	s_add_i32 s16, s16, 0
	s_mov_b32 s17, s13
.LBB246_74:                             ;   Parent Loop BB246_68 Depth=1
                                        ; =>  This Inner Loop Header: Depth=2
	v_mov_b32_e32 v6, s16
	ds_read_b32 v6, v6
	s_add_i32 s16, s16, 4
	s_add_i32 s17, s17, -1
	s_cmp_lg_u32 s17, 0
	s_waitcnt lgkmcnt(0)
	v_cmp_gt_i32_e32 vcc, v5, v6
	v_cndmask_b32_e64 v6, 0, 1, vcc
	v_add_co_u32_e32 v2, vcc, v2, v6
	v_addc_co_u32_e32 v3, vcc, 0, v3, vcc
	s_cbranch_scc1 .LBB246_74
	s_branch .LBB246_67
.LBB246_75:
	s_endpgm
	.section	.rodata,"a",@progbits
	.p2align	6, 0x0
	.amdhsa_kernel _ZN9rocsparseL26csrgemm_fill_block_per_rowILj512ELj32ELj1024ELj137ELj64Eli21rocsparse_complex_numIdEEEvT5_PKS3_S5_NS_24const_host_device_scalarIT6_EEPKT4_S5_PKS7_SB_S5_SD_S8_SB_S5_SD_SB_PS3_PS7_21rocsparse_index_base_SG_SG_SG_bbb
		.amdhsa_group_segment_fixed_size 0
		.amdhsa_private_segment_fixed_size 40
		.amdhsa_kernarg_size 172
		.amdhsa_user_sgpr_count 8
		.amdhsa_user_sgpr_private_segment_buffer 1
		.amdhsa_user_sgpr_dispatch_ptr 0
		.amdhsa_user_sgpr_queue_ptr 0
		.amdhsa_user_sgpr_kernarg_segment_ptr 1
		.amdhsa_user_sgpr_dispatch_id 0
		.amdhsa_user_sgpr_flat_scratch_init 1
		.amdhsa_user_sgpr_kernarg_preload_length 0
		.amdhsa_user_sgpr_kernarg_preload_offset 0
		.amdhsa_user_sgpr_private_segment_size 0
		.amdhsa_uses_dynamic_stack 0
		.amdhsa_system_sgpr_private_segment_wavefront_offset 1
		.amdhsa_system_sgpr_workgroup_id_x 1
		.amdhsa_system_sgpr_workgroup_id_y 0
		.amdhsa_system_sgpr_workgroup_id_z 0
		.amdhsa_system_sgpr_workgroup_info 0
		.amdhsa_system_vgpr_workitem_id 0
		.amdhsa_next_free_vgpr 38
		.amdhsa_next_free_sgpr 60
		.amdhsa_accum_offset 40
		.amdhsa_reserve_vcc 1
		.amdhsa_reserve_flat_scratch 1
		.amdhsa_float_round_mode_32 0
		.amdhsa_float_round_mode_16_64 0
		.amdhsa_float_denorm_mode_32 3
		.amdhsa_float_denorm_mode_16_64 3
		.amdhsa_dx10_clamp 1
		.amdhsa_ieee_mode 1
		.amdhsa_fp16_overflow 0
		.amdhsa_tg_split 0
		.amdhsa_exception_fp_ieee_invalid_op 0
		.amdhsa_exception_fp_denorm_src 0
		.amdhsa_exception_fp_ieee_div_zero 0
		.amdhsa_exception_fp_ieee_overflow 0
		.amdhsa_exception_fp_ieee_underflow 0
		.amdhsa_exception_fp_ieee_inexact 0
		.amdhsa_exception_int_div_zero 0
	.end_amdhsa_kernel
	.section	.text._ZN9rocsparseL26csrgemm_fill_block_per_rowILj512ELj32ELj1024ELj137ELj64Eli21rocsparse_complex_numIdEEEvT5_PKS3_S5_NS_24const_host_device_scalarIT6_EEPKT4_S5_PKS7_SB_S5_SD_S8_SB_S5_SD_SB_PS3_PS7_21rocsparse_index_base_SG_SG_SG_bbb,"axG",@progbits,_ZN9rocsparseL26csrgemm_fill_block_per_rowILj512ELj32ELj1024ELj137ELj64Eli21rocsparse_complex_numIdEEEvT5_PKS3_S5_NS_24const_host_device_scalarIT6_EEPKT4_S5_PKS7_SB_S5_SD_S8_SB_S5_SD_SB_PS3_PS7_21rocsparse_index_base_SG_SG_SG_bbb,comdat
.Lfunc_end246:
	.size	_ZN9rocsparseL26csrgemm_fill_block_per_rowILj512ELj32ELj1024ELj137ELj64Eli21rocsparse_complex_numIdEEEvT5_PKS3_S5_NS_24const_host_device_scalarIT6_EEPKT4_S5_PKS7_SB_S5_SD_S8_SB_S5_SD_SB_PS3_PS7_21rocsparse_index_base_SG_SG_SG_bbb, .Lfunc_end246-_ZN9rocsparseL26csrgemm_fill_block_per_rowILj512ELj32ELj1024ELj137ELj64Eli21rocsparse_complex_numIdEEEvT5_PKS3_S5_NS_24const_host_device_scalarIT6_EEPKT4_S5_PKS7_SB_S5_SD_S8_SB_S5_SD_SB_PS3_PS7_21rocsparse_index_base_SG_SG_SG_bbb
                                        ; -- End function
	.section	.AMDGPU.csdata,"",@progbits
; Kernel info:
; codeLenInByte = 3112
; NumSgprs: 66
; NumVgprs: 38
; NumAgprs: 0
; TotalNumVgprs: 38
; ScratchSize: 40
; MemoryBound: 0
; FloatMode: 240
; IeeeMode: 1
; LDSByteSize: 0 bytes/workgroup (compile time only)
; SGPRBlocks: 8
; VGPRBlocks: 4
; NumSGPRsForWavesPerEU: 66
; NumVGPRsForWavesPerEU: 38
; AccumOffset: 40
; Occupancy: 8
; WaveLimiterHint : 1
; COMPUTE_PGM_RSRC2:SCRATCH_EN: 1
; COMPUTE_PGM_RSRC2:USER_SGPR: 8
; COMPUTE_PGM_RSRC2:TRAP_HANDLER: 0
; COMPUTE_PGM_RSRC2:TGID_X_EN: 1
; COMPUTE_PGM_RSRC2:TGID_Y_EN: 0
; COMPUTE_PGM_RSRC2:TGID_Z_EN: 0
; COMPUTE_PGM_RSRC2:TIDIG_COMP_CNT: 0
; COMPUTE_PGM_RSRC3_GFX90A:ACCUM_OFFSET: 9
; COMPUTE_PGM_RSRC3_GFX90A:TG_SPLIT: 0
	.section	.text._ZN9rocsparseL26csrgemm_fill_block_per_rowILj1024ELj32ELj2048ELj137ELj32Eli21rocsparse_complex_numIdEEEvT5_PKS3_S5_NS_24const_host_device_scalarIT6_EEPKT4_S5_PKS7_SB_S5_SD_S8_SB_S5_SD_SB_PS3_PS7_21rocsparse_index_base_SG_SG_SG_bbb,"axG",@progbits,_ZN9rocsparseL26csrgemm_fill_block_per_rowILj1024ELj32ELj2048ELj137ELj32Eli21rocsparse_complex_numIdEEEvT5_PKS3_S5_NS_24const_host_device_scalarIT6_EEPKT4_S5_PKS7_SB_S5_SD_S8_SB_S5_SD_SB_PS3_PS7_21rocsparse_index_base_SG_SG_SG_bbb,comdat
	.globl	_ZN9rocsparseL26csrgemm_fill_block_per_rowILj1024ELj32ELj2048ELj137ELj32Eli21rocsparse_complex_numIdEEEvT5_PKS3_S5_NS_24const_host_device_scalarIT6_EEPKT4_S5_PKS7_SB_S5_SD_S8_SB_S5_SD_SB_PS3_PS7_21rocsparse_index_base_SG_SG_SG_bbb ; -- Begin function _ZN9rocsparseL26csrgemm_fill_block_per_rowILj1024ELj32ELj2048ELj137ELj32Eli21rocsparse_complex_numIdEEEvT5_PKS3_S5_NS_24const_host_device_scalarIT6_EEPKT4_S5_PKS7_SB_S5_SD_S8_SB_S5_SD_SB_PS3_PS7_21rocsparse_index_base_SG_SG_SG_bbb
	.p2align	8
	.type	_ZN9rocsparseL26csrgemm_fill_block_per_rowILj1024ELj32ELj2048ELj137ELj32Eli21rocsparse_complex_numIdEEEvT5_PKS3_S5_NS_24const_host_device_scalarIT6_EEPKT4_S5_PKS7_SB_S5_SD_S8_SB_S5_SD_SB_PS3_PS7_21rocsparse_index_base_SG_SG_SG_bbb,@function
_ZN9rocsparseL26csrgemm_fill_block_per_rowILj1024ELj32ELj2048ELj137ELj32Eli21rocsparse_complex_numIdEEEvT5_PKS3_S5_NS_24const_host_device_scalarIT6_EEPKT4_S5_PKS7_SB_S5_SD_S8_SB_S5_SD_SB_PS3_PS7_21rocsparse_index_base_SG_SG_SG_bbb: ; @_ZN9rocsparseL26csrgemm_fill_block_per_rowILj1024ELj32ELj2048ELj137ELj32Eli21rocsparse_complex_numIdEEEvT5_PKS3_S5_NS_24const_host_device_scalarIT6_EEPKT4_S5_PKS7_SB_S5_SD_S8_SB_S5_SD_SB_PS3_PS7_21rocsparse_index_base_SG_SG_SG_bbb
; %bb.0:
	s_add_u32 flat_scratch_lo, s6, s9
	s_addc_u32 flat_scratch_hi, s7, 0
	s_load_dwordx4 s[12:15], s[4:5], 0x18
	s_load_dwordx4 s[28:31], s[4:5], 0x58
	s_add_u32 s0, s0, s9
	s_load_dword s9, s[4:5], 0xa8
	s_load_dwordx4 s[72:75], s[4:5], 0x98
	s_addc_u32 s1, s1, 0
	s_waitcnt lgkmcnt(0)
	v_mov_b32_e32 v1, s13
	buffer_store_dword v1, off, s[0:3], 0 offset:20
	s_bitcmp1_b32 s9, 0
	s_cselect_b64 s[36:37], -1, 0
	s_bitcmp1_b32 s9, 16
	v_mov_b32_e32 v1, s12
	s_cselect_b64 s[6:7], -1, 0
	buffer_store_dword v1, off, s[0:3], 0 offset:16
	v_mov_b32_e32 v1, s29
	buffer_store_dword v1, off, s[0:3], 0 offset:28
	v_mov_b32_e32 v1, s28
	s_xor_b64 s[10:11], s[6:7], -1
	buffer_store_dword v1, off, s[0:3], 0 offset:24
	v_pk_mov_b32 v[2:3], 0, 0
	v_cndmask_b32_e64 v1, 0, 1, s[10:11]
	s_bitcmp0_b32 s9, 0
	v_cmp_ne_u32_e64 s[10:11], 1, v1
	v_pk_mov_b32 v[6:7], v[2:3], v[2:3] op_sel:[0,1]
	v_pk_mov_b32 v[8:9], v[2:3], v[2:3] op_sel:[0,1]
	s_cbranch_scc1 .LBB247_3
; %bb.1:
	s_mov_b64 s[16:17], src_private_base
	s_and_b64 s[18:19], s[6:7], exec
	s_cselect_b32 s16, s17, s13
	v_mov_b32_e32 v1, 16
	v_mov_b32_e32 v4, s12
	v_cndmask_b32_e64 v4, v4, v1, s[6:7]
	v_mov_b32_e32 v5, s16
	flat_load_dwordx2 v[6:7], v[4:5]
	s_and_b64 vcc, exec, s[10:11]
	v_pk_mov_b32 v[8:9], s[14:15], s[14:15] op_sel:[0,1]
	s_cbranch_vccnz .LBB247_3
; %bb.2:
	v_pk_mov_b32 v[4:5], s[12:13], s[12:13] op_sel:[0,1]
	flat_load_dwordx2 v[8:9], v[4:5] offset:8
.LBB247_3:
	s_load_dwordx4 s[76:79], s[4:5], 0x88
	s_load_dwordx8 s[64:71], s[4:5], 0x68
	s_load_dwordx4 s[20:23], s[4:5], 0x48
	s_load_dwordx4 s[24:27], s[4:5], 0x8
	s_load_dwordx8 s[12:19], s[4:5], 0x28
	s_bitcmp1_b32 s9, 8
	s_cselect_b64 s[34:35], -1, 0
	s_bfe_u32 s9, s9, 0x10008
	s_mov_b64 s[38:39], 0
	s_cmp_eq_u32 s9, 0
	v_pk_mov_b32 v[4:5], v[2:3], v[2:3] op_sel:[0,1]
	s_cbranch_scc1 .LBB247_6
; %bb.4:
	s_mov_b64 s[40:41], src_private_base
	s_and_b64 s[42:43], s[6:7], exec
	s_cselect_b32 s9, s41, s29
	v_mov_b32_e32 v1, 24
	v_mov_b32_e32 v2, s28
	v_cndmask_b32_e64 v2, v2, v1, s[6:7]
	v_mov_b32_e32 v3, s9
	flat_load_dwordx2 v[4:5], v[2:3]
	s_and_b64 vcc, exec, s[10:11]
	v_pk_mov_b32 v[2:3], s[30:31], s[30:31] op_sel:[0,1]
	s_cbranch_vccnz .LBB247_6
; %bb.5:
	v_pk_mov_b32 v[2:3], s[28:29], s[28:29] op_sel:[0,1]
	flat_load_dwordx2 v[2:3], v[2:3] offset:8
.LBB247_6:
	s_load_dword s33, s[4:5], 0x0
	s_mov_b32 s4, 0
	v_lshl_add_u32 v1, v0, 4, 0
	v_add_u32_e32 v1, 0x2000, v1
	v_or_b32_e32 v25, 0xfffffc00, v0
	v_lshl_add_u32 v26, v0, 2, 0
	s_mov_b32 s5, s4
	s_mov_b32 s6, s4
	;; [unrolled: 1-line block ×3, first 2 shown]
	s_waitcnt lgkmcnt(0)
	v_mov_b32_e32 v14, s33
	v_pk_mov_b32 v[10:11], s[4:5], s[4:5] op_sel:[0,1]
	v_pk_mov_b32 v[12:13], s[6:7], s[6:7] op_sel:[0,1]
	v_mov_b32_e32 v15, v26
	v_mov_b32_e32 v16, v25
	;; [unrolled: 1-line block ×3, first 2 shown]
.LBB247_7:                              ; =>This Inner Loop Header: Depth=1
	v_add_co_u32_e32 v16, vcc, 0x400, v16
	s_xor_b64 s[4:5], vcc, -1
	s_and_b64 s[4:5], exec, s[4:5]
	ds_write_b32 v15, v14
	ds_write2_b64 v17, v[10:11], v[12:13] offset1:1
	v_add_u32_e32 v17, 0x4000, v17
	s_or_b64 s[38:39], s[4:5], s[38:39]
	v_add_u32_e32 v15, 0x1000, v15
	s_andn2_b64 exec, exec, s[38:39]
	s_cbranch_execnz .LBB247_7
; %bb.8:
	s_or_b64 exec, exec, s[38:39]
	s_waitcnt lgkmcnt(0)
	s_barrier
	s_load_dword s4, s[24:25], 0x0
	s_mov_b32 s5, 0
	v_lshrrev_b32_e32 v27, 5, v0
	s_waitcnt lgkmcnt(0)
	s_add_i32 s4, s4, s8
	s_lshl_b64 s[4:5], s[4:5], 2
	s_add_u32 s4, s26, s4
	s_addc_u32 s5, s27, s5
	s_load_dword s80, s[4:5], 0x0
	s_and_b64 vcc, exec, s[36:37]
	s_cbranch_vccz .LBB247_28
; %bb.9:
	s_waitcnt lgkmcnt(0)
	s_ashr_i32 s81, s80, 31
	s_lshl_b64 s[4:5], s[80:81], 3
	s_add_u32 s4, s12, s4
	s_addc_u32 s5, s13, s5
	s_load_dwordx4 s[8:11], s[4:5], 0x0
	v_subrev_co_u32_e32 v10, vcc, s72, v27
	v_subb_co_u32_e64 v11, s[4:5], 0, 0, vcc
	s_waitcnt lgkmcnt(0)
	s_sub_u32 s4, s10, s72
	v_mov_b32_e32 v12, s9
	v_add_co_u32_e32 v10, vcc, s8, v10
	s_subb_u32 s5, s11, 0
	v_addc_co_u32_e32 v11, vcc, v12, v11, vcc
	v_cmp_gt_i64_e32 vcc, s[4:5], v[10:11]
	s_and_saveexec_b64 s[6:7], vcc
	s_cbranch_execz .LBB247_27
; %bb.10:
	v_and_b32_e32 v12, 31, v0
	v_subrev_co_u32_e32 v28, vcc, s73, v12
	s_mov_b32 s10, 0
	v_subb_co_u32_e64 v29, s[8:9], 0, 0, vcc
	s_mov_b32 s40, s73
	s_mov_b64 s[8:9], 0
	v_mov_b32_e32 v30, s15
	v_mov_b32_e32 v31, s19
	;; [unrolled: 1-line block ×3, first 2 shown]
	s_movk_i32 s15, 0x89
	s_branch .LBB247_12
.LBB247_11:                             ;   in Loop: Header=BB247_12 Depth=1
	s_or_b64 exec, exec, s[10:11]
	v_add_co_u32_e32 v10, vcc, 32, v10
	v_addc_co_u32_e32 v11, vcc, 0, v11, vcc
	v_cmp_le_i64_e32 vcc, s[4:5], v[10:11]
	s_or_b64 s[8:9], vcc, s[8:9]
	s_andn2_b64 exec, exec, s[8:9]
	s_cbranch_execz .LBB247_27
.LBB247_12:                             ; =>This Loop Header: Depth=1
                                        ;     Child Loop BB247_15 Depth 2
                                        ;       Child Loop BB247_17 Depth 3
	v_lshlrev_b64 v[12:13], 2, v[10:11]
	v_add_co_u32_e32 v12, vcc, s14, v12
	v_addc_co_u32_e32 v13, vcc, v30, v13, vcc
	global_load_dword v12, v[12:13], off
	s_waitcnt vmcnt(0)
	v_subrev_u32_e32 v12, s72, v12
	v_ashrrev_i32_e32 v13, 31, v12
	v_lshlrev_b64 v[12:13], 3, v[12:13]
	v_add_co_u32_e32 v12, vcc, s18, v12
	v_addc_co_u32_e32 v13, vcc, v31, v13, vcc
	global_load_dwordx4 v[14:17], v[12:13], off
	s_waitcnt vmcnt(0)
	v_subrev_co_u32_e32 v12, vcc, s40, v16
	v_subb_co_u32_e32 v13, vcc, v17, v32, vcc
	v_add_co_u32_e32 v14, vcc, v14, v28
	v_addc_co_u32_e32 v15, vcc, v15, v29, vcc
	v_cmp_lt_i64_e32 vcc, v[14:15], v[12:13]
	s_and_saveexec_b64 s[10:11], vcc
	s_cbranch_execz .LBB247_11
; %bb.13:                               ;   in Loop: Header=BB247_12 Depth=1
	v_lshlrev_b64 v[16:17], 4, v[10:11]
	v_mov_b32_e32 v18, s17
	v_add_co_u32_e32 v16, vcc, s16, v16
	v_addc_co_u32_e32 v17, vcc, v18, v17, vcc
	global_load_dwordx4 v[20:23], v[16:17], off
	s_mov_b64 s[12:13], 0
	s_waitcnt vmcnt(0)
	v_mul_f64 v[16:17], v[22:23], -v[8:9]
	v_mul_f64 v[18:19], v[6:7], v[22:23]
	v_fmac_f64_e32 v[16:17], v[6:7], v[20:21]
	v_fmac_f64_e32 v[18:19], v[8:9], v[20:21]
	s_branch .LBB247_15
.LBB247_14:                             ;   in Loop: Header=BB247_15 Depth=2
	s_or_b64 exec, exec, s[24:25]
	v_add_co_u32_e32 v14, vcc, 32, v14
	v_addc_co_u32_e32 v15, vcc, 0, v15, vcc
	v_cmp_ge_i64_e32 vcc, v[14:15], v[12:13]
	s_or_b64 s[12:13], vcc, s[12:13]
	s_andn2_b64 exec, exec, s[12:13]
	s_cbranch_execz .LBB247_11
.LBB247_15:                             ;   Parent Loop BB247_12 Depth=1
                                        ; =>  This Loop Header: Depth=2
                                        ;       Child Loop BB247_17 Depth 3
	v_lshlrev_b64 v[20:21], 2, v[14:15]
	v_mov_b32_e32 v22, s21
	v_add_co_u32_e32 v20, vcc, s20, v20
	v_addc_co_u32_e32 v21, vcc, v22, v21, vcc
	global_load_dword v22, v[20:21], off
	v_lshlrev_b64 v[20:21], 4, v[14:15]
	v_mov_b32_e32 v23, s23
	v_add_co_u32_e32 v20, vcc, s22, v20
	v_addc_co_u32_e32 v21, vcc, v23, v21, vcc
	global_load_dwordx4 v[34:37], v[20:21], off
	s_mov_b64 s[24:25], 0
	s_waitcnt vmcnt(1)
	v_subrev_u32_e32 v33, s73, v22
	v_mul_lo_u32 v24, v33, s15
	s_waitcnt vmcnt(0)
	v_mul_f64 v[20:21], v[36:37], -v[18:19]
	v_mul_f64 v[22:23], v[16:17], v[36:37]
	v_fmac_f64_e32 v[20:21], v[16:17], v[34:35]
	v_fmac_f64_e32 v[22:23], v[18:19], v[34:35]
	v_and_b32_e32 v34, 0x7ff, v24
	s_branch .LBB247_17
.LBB247_16:                             ;   in Loop: Header=BB247_17 Depth=3
	s_or_b64 exec, exec, s[26:27]
	s_xor_b64 s[26:27], s[28:29], -1
	s_and_b64 s[26:27], exec, s[26:27]
	s_or_b64 s[24:25], s[26:27], s[24:25]
	s_andn2_b64 exec, exec, s[24:25]
	s_cbranch_execz .LBB247_14
.LBB247_17:                             ;   Parent Loop BB247_12 Depth=1
                                        ;     Parent Loop BB247_15 Depth=2
                                        ; =>    This Inner Loop Header: Depth=3
	v_lshl_add_u32 v24, v34, 2, 0
	ds_read_b32 v35, v24
                                        ; implicit-def: $sgpr28_sgpr29
	s_waitcnt lgkmcnt(0)
	v_cmp_ne_u32_e32 vcc, v35, v33
	s_and_saveexec_b64 s[26:27], vcc
	s_xor_b64 s[26:27], exec, s[26:27]
	s_cbranch_execz .LBB247_25
; %bb.18:                               ;   in Loop: Header=BB247_17 Depth=3
	v_cmp_ne_u32_e32 vcc, s33, v35
                                        ; implicit-def: $sgpr28_sgpr29
	s_and_saveexec_b64 s[30:31], vcc
	s_xor_b64 s[30:31], exec, s[30:31]
; %bb.19:                               ;   in Loop: Header=BB247_17 Depth=3
	v_add_u32_e32 v24, 1, v34
	v_and_b32_e32 v34, 0x7ff, v24
	s_mov_b64 s[28:29], -1
                                        ; implicit-def: $vgpr24
; %bb.20:                               ;   in Loop: Header=BB247_17 Depth=3
	s_andn2_saveexec_b64 s[30:31], s[30:31]
	s_cbranch_execz .LBB247_24
; %bb.21:                               ;   in Loop: Header=BB247_17 Depth=3
	v_mov_b32_e32 v35, s33
	ds_cmpst_rtn_b32 v35, v24, v35, v33
	s_mov_b64 s[38:39], -1
	s_waitcnt lgkmcnt(0)
	v_cmp_eq_u32_e32 vcc, s33, v35
	s_and_saveexec_b64 s[36:37], vcc
	s_cbranch_execz .LBB247_23
; %bb.22:                               ;   in Loop: Header=BB247_17 Depth=3
	v_mad_u64_u32 v[36:37], s[38:39], v34, 12, v[24:25]
	ds_add_f64 v36, v[20:21] offset:8192
	ds_add_f64 v36, v[22:23] offset:8200
	s_xor_b64 s[38:39], exec, -1
.LBB247_23:                             ;   in Loop: Header=BB247_17 Depth=3
	s_or_b64 exec, exec, s[36:37]
	s_andn2_b64 s[28:29], s[28:29], exec
	s_and_b64 s[36:37], s[38:39], exec
	s_or_b64 s[28:29], s[28:29], s[36:37]
.LBB247_24:                             ;   in Loop: Header=BB247_17 Depth=3
	s_or_b64 exec, exec, s[30:31]
	s_and_b64 s[28:29], s[28:29], exec
                                        ; implicit-def: $vgpr24
.LBB247_25:                             ;   in Loop: Header=BB247_17 Depth=3
	s_andn2_saveexec_b64 s[26:27], s[26:27]
	s_cbranch_execz .LBB247_16
; %bb.26:                               ;   in Loop: Header=BB247_17 Depth=3
	v_mad_u64_u32 v[36:37], s[30:31], v34, 12, v[24:25]
	ds_add_f64 v36, v[20:21] offset:8192
	ds_add_f64 v36, v[22:23] offset:8200
	s_andn2_b64 s[28:29], s[28:29], exec
	s_branch .LBB247_16
.LBB247_27:
	s_or_b64 exec, exec, s[6:7]
.LBB247_28:
	s_andn2_b64 vcc, exec, s[34:35]
	s_cbranch_vccnz .LBB247_45
; %bb.29:
	s_waitcnt lgkmcnt(0)
	s_ashr_i32 s81, s80, 31
	s_lshl_b64 s[4:5], s[80:81], 3
	s_add_u32 s4, s64, s4
	s_addc_u32 s5, s65, s5
	s_load_dwordx4 s[8:11], s[4:5], 0x0
	s_waitcnt vmcnt(0)
	v_subrev_co_u32_e32 v6, vcc, s75, v0
	v_subb_co_u32_e64 v7, s[4:5], 0, 0, vcc
	s_waitcnt lgkmcnt(0)
	s_sub_u32 s4, s10, s75
	v_mov_b32_e32 v8, s9
	v_add_co_u32_e32 v6, vcc, s8, v6
	s_subb_u32 s5, s11, 0
	v_addc_co_u32_e32 v7, vcc, v8, v7, vcc
	v_cmp_gt_i64_e32 vcc, s[4:5], v[6:7]
	s_and_saveexec_b64 s[6:7], vcc
	s_cbranch_execz .LBB247_44
; %bb.30:
	s_mov_b64 s[8:9], 0
	v_mov_b32_e32 v13, s67
	v_mov_b32_e32 v14, s69
	s_movk_i32 s22, 0x89
	s_branch .LBB247_32
.LBB247_31:                             ;   in Loop: Header=BB247_32 Depth=1
	s_or_b64 exec, exec, s[10:11]
	v_add_co_u32_e32 v6, vcc, 0x400, v6
	v_addc_co_u32_e32 v7, vcc, 0, v7, vcc
	v_cmp_le_i64_e32 vcc, s[4:5], v[6:7]
	s_or_b64 s[8:9], vcc, s[8:9]
	s_andn2_b64 exec, exec, s[8:9]
	s_cbranch_execz .LBB247_44
.LBB247_32:                             ; =>This Loop Header: Depth=1
                                        ;     Child Loop BB247_34 Depth 2
	v_lshlrev_b64 v[8:9], 2, v[6:7]
	v_add_co_u32_e32 v8, vcc, s66, v8
	v_addc_co_u32_e32 v9, vcc, v13, v9, vcc
	global_load_dword v10, v[8:9], off
	v_lshlrev_b64 v[8:9], 4, v[6:7]
	v_add_co_u32_e32 v8, vcc, s68, v8
	v_addc_co_u32_e32 v9, vcc, v14, v9, vcc
	global_load_dwordx4 v[16:19], v[8:9], off
	s_mov_b64 s[10:11], 0
	s_waitcnt vmcnt(1)
	v_subrev_u32_e32 v15, s75, v10
	v_mul_lo_u32 v12, v15, s22
	s_waitcnt vmcnt(0)
	v_mul_f64 v[8:9], v[18:19], -v[2:3]
	v_mul_f64 v[10:11], v[4:5], v[18:19]
	v_fmac_f64_e32 v[8:9], v[4:5], v[16:17]
	v_fmac_f64_e32 v[10:11], v[2:3], v[16:17]
	v_and_b32_e32 v16, 0x7ff, v12
	s_branch .LBB247_34
.LBB247_33:                             ;   in Loop: Header=BB247_34 Depth=2
	s_or_b64 exec, exec, s[12:13]
	s_xor_b64 s[12:13], s[14:15], -1
	s_and_b64 s[12:13], exec, s[12:13]
	s_or_b64 s[10:11], s[12:13], s[10:11]
	s_andn2_b64 exec, exec, s[10:11]
	s_cbranch_execz .LBB247_31
.LBB247_34:                             ;   Parent Loop BB247_32 Depth=1
                                        ; =>  This Inner Loop Header: Depth=2
	v_lshl_add_u32 v12, v16, 2, 0
	ds_read_b32 v17, v12
                                        ; implicit-def: $sgpr14_sgpr15
	s_waitcnt lgkmcnt(0)
	v_cmp_ne_u32_e32 vcc, v17, v15
	s_and_saveexec_b64 s[12:13], vcc
	s_xor_b64 s[12:13], exec, s[12:13]
	s_cbranch_execz .LBB247_42
; %bb.35:                               ;   in Loop: Header=BB247_34 Depth=2
	v_cmp_ne_u32_e32 vcc, s33, v17
                                        ; implicit-def: $sgpr14_sgpr15
	s_and_saveexec_b64 s[16:17], vcc
	s_xor_b64 s[16:17], exec, s[16:17]
; %bb.36:                               ;   in Loop: Header=BB247_34 Depth=2
	v_add_u32_e32 v12, 1, v16
	v_and_b32_e32 v16, 0x7ff, v12
	s_mov_b64 s[14:15], -1
                                        ; implicit-def: $vgpr12
; %bb.37:                               ;   in Loop: Header=BB247_34 Depth=2
	s_andn2_saveexec_b64 s[16:17], s[16:17]
	s_cbranch_execz .LBB247_41
; %bb.38:                               ;   in Loop: Header=BB247_34 Depth=2
	v_mov_b32_e32 v17, s33
	ds_cmpst_rtn_b32 v17, v12, v17, v15
	s_mov_b64 s[20:21], -1
	s_waitcnt lgkmcnt(0)
	v_cmp_eq_u32_e32 vcc, s33, v17
	s_and_saveexec_b64 s[18:19], vcc
	s_cbranch_execz .LBB247_40
; %bb.39:                               ;   in Loop: Header=BB247_34 Depth=2
	v_mad_u64_u32 v[18:19], s[20:21], v16, 12, v[12:13]
	ds_add_f64 v18, v[8:9] offset:8192
	ds_add_f64 v18, v[10:11] offset:8200
	s_xor_b64 s[20:21], exec, -1
.LBB247_40:                             ;   in Loop: Header=BB247_34 Depth=2
	s_or_b64 exec, exec, s[18:19]
	s_andn2_b64 s[14:15], s[14:15], exec
	s_and_b64 s[18:19], s[20:21], exec
	s_or_b64 s[14:15], s[14:15], s[18:19]
.LBB247_41:                             ;   in Loop: Header=BB247_34 Depth=2
	s_or_b64 exec, exec, s[16:17]
	s_and_b64 s[14:15], s[14:15], exec
                                        ; implicit-def: $vgpr12
.LBB247_42:                             ;   in Loop: Header=BB247_34 Depth=2
	s_andn2_saveexec_b64 s[12:13], s[12:13]
	s_cbranch_execz .LBB247_33
; %bb.43:                               ;   in Loop: Header=BB247_34 Depth=2
	v_mad_u64_u32 v[18:19], s[16:17], v16, 12, v[12:13]
	ds_add_f64 v18, v[8:9] offset:8192
	ds_add_f64 v18, v[10:11] offset:8200
	s_andn2_b64 s[14:15], s[14:15], exec
	s_branch .LBB247_33
.LBB247_44:
	s_or_b64 exec, exec, s[6:7]
.LBB247_45:
	s_waitcnt vmcnt(0)
	v_mbcnt_lo_u32_b32 v2, -1, 0
	v_mbcnt_hi_u32_b32 v2, -1, v2
	v_sub_u32_e32 v2, 63, v2
	s_movk_i32 s4, 0x3ff
	s_movk_i32 s10, 0x5f
	s_movk_i32 s12, 0x7f
	s_movk_i32 s14, 0x9f
	s_movk_i32 s16, 0xbf
	s_movk_i32 s18, 0xdf
	s_movk_i32 s20, 0xff
	s_movk_i32 s22, 0x11f
	s_movk_i32 s24, 0x13f
	s_movk_i32 s26, 0x15f
	s_movk_i32 s28, 0x17f
	s_movk_i32 s30, 0x19f
	s_movk_i32 s34, 0x1bf
	s_movk_i32 s36, 0x1df
	s_movk_i32 s38, 0x1ff
	s_movk_i32 s40, 0x21f
	s_movk_i32 s42, 0x23f
	s_movk_i32 s44, 0x25f
	s_movk_i32 s46, 0x27f
	s_movk_i32 s48, 0x29f
	s_movk_i32 s50, 0x2bf
	s_movk_i32 s52, 0x2df
	s_movk_i32 s54, 0x2ff
	s_movk_i32 s56, 0x31f
	s_movk_i32 s58, 0x33f
	s_movk_i32 s60, 0x35f
	s_movk_i32 s62, 0x37f
	s_movk_i32 s64, 0x39f
	s_movk_i32 s66, 0x3bf
	s_movk_i32 s68, 0x3df
	v_mov_b32_e32 v4, 0
	v_lshrrev_b64 v[2:3], v2, -1
	v_lshl_add_u32 v5, v27, 2, 0
	v_cmp_eq_u32_e64 s[4:5], s4, v0
	v_cmp_lt_u32_e64 s[6:7], 31, v0
	v_cmp_lt_u32_e64 s[8:9], 63, v0
	;; [unrolled: 1-line block ×31, first 2 shown]
	s_mov_b64 s[72:73], 0
	v_mov_b32_e32 v6, 0
	s_waitcnt lgkmcnt(0)
	s_barrier
	s_branch .LBB247_47
.LBB247_46:                             ;   in Loop: Header=BB247_47 Depth=1
	s_or_b64 exec, exec, s[82:83]
	s_waitcnt lgkmcnt(0)
	s_barrier
	ds_read_b32 v7, v4 offset:41084
	v_add_co_u32_e32 v25, vcc, 0x400, v25
	s_xor_b64 s[82:83], vcc, -1
	s_and_b64 s[82:83], exec, s[82:83]
	v_add_u32_e32 v1, 0x4000, v1
	s_waitcnt lgkmcnt(0)
	v_add_u32_e32 v6, v7, v6
	s_or_b64 s[72:73], s[82:83], s[72:73]
	v_add_u32_e32 v26, 0x1000, v26
	s_andn2_b64 exec, exec, s[72:73]
	s_cbranch_execz .LBB247_113
.LBB247_47:                             ; =>This Inner Loop Header: Depth=1
	ds_read2_b64 v[10:13], v1 offset1:1
	ds_read_b32 v8, v26
	s_waitcnt lgkmcnt(1)
	buffer_store_dword v13, off, s[0:3], 0 offset:12
	buffer_store_dword v12, off, s[0:3], 0 offset:8
	;; [unrolled: 1-line block ×3, first 2 shown]
	buffer_store_dword v10, off, s[0:3], 0
	s_waitcnt lgkmcnt(0)
	v_cmp_gt_i32_e32 vcc, s33, v8
	v_and_b32_e32 v9, vcc_lo, v2
	s_bcnt1_i32_b64 s75, vcc
	v_and_b32_e32 v7, vcc_hi, v3
	v_bcnt_u32_b32 v9, v9, 0
	v_bcnt_u32_b32 v7, v7, v9
	v_mov_b32_e32 v9, s75
	s_barrier
	ds_write_b32 v5, v9 offset:40960
	s_waitcnt lgkmcnt(0)
	s_barrier
	s_and_saveexec_b64 s[82:83], s[6:7]
	s_cbranch_execnz .LBB247_80
; %bb.48:                               ;   in Loop: Header=BB247_47 Depth=1
	s_or_b64 exec, exec, s[82:83]
	s_and_saveexec_b64 s[82:83], s[8:9]
	s_cbranch_execnz .LBB247_81
.LBB247_49:                             ;   in Loop: Header=BB247_47 Depth=1
	s_or_b64 exec, exec, s[82:83]
	s_and_saveexec_b64 s[82:83], s[10:11]
	s_cbranch_execnz .LBB247_82
.LBB247_50:                             ;   in Loop: Header=BB247_47 Depth=1
	s_or_b64 exec, exec, s[82:83]
	s_and_saveexec_b64 s[82:83], s[12:13]
	s_cbranch_execnz .LBB247_83
.LBB247_51:                             ;   in Loop: Header=BB247_47 Depth=1
	s_or_b64 exec, exec, s[82:83]
	s_and_saveexec_b64 s[82:83], s[14:15]
	s_cbranch_execnz .LBB247_84
.LBB247_52:                             ;   in Loop: Header=BB247_47 Depth=1
	s_or_b64 exec, exec, s[82:83]
	s_and_saveexec_b64 s[82:83], s[16:17]
	s_cbranch_execnz .LBB247_85
.LBB247_53:                             ;   in Loop: Header=BB247_47 Depth=1
	s_or_b64 exec, exec, s[82:83]
	s_and_saveexec_b64 s[82:83], s[18:19]
	s_cbranch_execnz .LBB247_86
.LBB247_54:                             ;   in Loop: Header=BB247_47 Depth=1
	s_or_b64 exec, exec, s[82:83]
	s_and_saveexec_b64 s[82:83], s[20:21]
	s_cbranch_execnz .LBB247_87
.LBB247_55:                             ;   in Loop: Header=BB247_47 Depth=1
	s_or_b64 exec, exec, s[82:83]
	s_and_saveexec_b64 s[82:83], s[22:23]
	s_cbranch_execnz .LBB247_88
.LBB247_56:                             ;   in Loop: Header=BB247_47 Depth=1
	s_or_b64 exec, exec, s[82:83]
	s_and_saveexec_b64 s[82:83], s[24:25]
	s_cbranch_execnz .LBB247_89
.LBB247_57:                             ;   in Loop: Header=BB247_47 Depth=1
	s_or_b64 exec, exec, s[82:83]
	s_and_saveexec_b64 s[82:83], s[26:27]
	s_cbranch_execnz .LBB247_90
.LBB247_58:                             ;   in Loop: Header=BB247_47 Depth=1
	s_or_b64 exec, exec, s[82:83]
	s_and_saveexec_b64 s[82:83], s[28:29]
	s_cbranch_execnz .LBB247_91
.LBB247_59:                             ;   in Loop: Header=BB247_47 Depth=1
	s_or_b64 exec, exec, s[82:83]
	s_and_saveexec_b64 s[82:83], s[30:31]
	s_cbranch_execnz .LBB247_92
.LBB247_60:                             ;   in Loop: Header=BB247_47 Depth=1
	s_or_b64 exec, exec, s[82:83]
	s_and_saveexec_b64 s[82:83], s[34:35]
	s_cbranch_execnz .LBB247_93
.LBB247_61:                             ;   in Loop: Header=BB247_47 Depth=1
	s_or_b64 exec, exec, s[82:83]
	s_and_saveexec_b64 s[82:83], s[36:37]
	s_cbranch_execnz .LBB247_94
.LBB247_62:                             ;   in Loop: Header=BB247_47 Depth=1
	s_or_b64 exec, exec, s[82:83]
	s_and_saveexec_b64 s[82:83], s[38:39]
	s_cbranch_execnz .LBB247_95
.LBB247_63:                             ;   in Loop: Header=BB247_47 Depth=1
	s_or_b64 exec, exec, s[82:83]
	s_and_saveexec_b64 s[82:83], s[40:41]
	s_cbranch_execnz .LBB247_96
.LBB247_64:                             ;   in Loop: Header=BB247_47 Depth=1
	s_or_b64 exec, exec, s[82:83]
	s_and_saveexec_b64 s[82:83], s[42:43]
	s_cbranch_execnz .LBB247_97
.LBB247_65:                             ;   in Loop: Header=BB247_47 Depth=1
	s_or_b64 exec, exec, s[82:83]
	s_and_saveexec_b64 s[82:83], s[44:45]
	s_cbranch_execnz .LBB247_98
.LBB247_66:                             ;   in Loop: Header=BB247_47 Depth=1
	s_or_b64 exec, exec, s[82:83]
	s_and_saveexec_b64 s[82:83], s[46:47]
	s_cbranch_execnz .LBB247_99
.LBB247_67:                             ;   in Loop: Header=BB247_47 Depth=1
	s_or_b64 exec, exec, s[82:83]
	s_and_saveexec_b64 s[82:83], s[48:49]
	s_cbranch_execnz .LBB247_100
.LBB247_68:                             ;   in Loop: Header=BB247_47 Depth=1
	s_or_b64 exec, exec, s[82:83]
	s_and_saveexec_b64 s[82:83], s[50:51]
	s_cbranch_execnz .LBB247_101
.LBB247_69:                             ;   in Loop: Header=BB247_47 Depth=1
	s_or_b64 exec, exec, s[82:83]
	s_and_saveexec_b64 s[82:83], s[52:53]
	s_cbranch_execnz .LBB247_102
.LBB247_70:                             ;   in Loop: Header=BB247_47 Depth=1
	s_or_b64 exec, exec, s[82:83]
	s_and_saveexec_b64 s[82:83], s[54:55]
	s_cbranch_execnz .LBB247_103
.LBB247_71:                             ;   in Loop: Header=BB247_47 Depth=1
	s_or_b64 exec, exec, s[82:83]
	s_and_saveexec_b64 s[82:83], s[56:57]
	s_cbranch_execnz .LBB247_104
.LBB247_72:                             ;   in Loop: Header=BB247_47 Depth=1
	s_or_b64 exec, exec, s[82:83]
	s_and_saveexec_b64 s[82:83], s[58:59]
	s_cbranch_execnz .LBB247_105
.LBB247_73:                             ;   in Loop: Header=BB247_47 Depth=1
	s_or_b64 exec, exec, s[82:83]
	s_and_saveexec_b64 s[82:83], s[60:61]
	s_cbranch_execnz .LBB247_106
.LBB247_74:                             ;   in Loop: Header=BB247_47 Depth=1
	s_or_b64 exec, exec, s[82:83]
	s_and_saveexec_b64 s[82:83], s[62:63]
	s_cbranch_execnz .LBB247_107
.LBB247_75:                             ;   in Loop: Header=BB247_47 Depth=1
	s_or_b64 exec, exec, s[82:83]
	s_and_saveexec_b64 s[82:83], s[64:65]
	s_cbranch_execnz .LBB247_108
.LBB247_76:                             ;   in Loop: Header=BB247_47 Depth=1
	s_or_b64 exec, exec, s[82:83]
	s_and_saveexec_b64 s[82:83], s[66:67]
	s_cbranch_execnz .LBB247_109
.LBB247_77:                             ;   in Loop: Header=BB247_47 Depth=1
	s_or_b64 exec, exec, s[82:83]
	s_and_saveexec_b64 s[82:83], s[68:69]
	s_cbranch_execnz .LBB247_110
.LBB247_78:                             ;   in Loop: Header=BB247_47 Depth=1
	s_or_b64 exec, exec, s[82:83]
	s_and_saveexec_b64 s[82:83], vcc
	s_cbranch_execnz .LBB247_111
.LBB247_79:                             ;   in Loop: Header=BB247_47 Depth=1
	s_or_b64 exec, exec, s[82:83]
	s_and_saveexec_b64 s[82:83], s[4:5]
	s_cbranch_execz .LBB247_46
	s_branch .LBB247_112
.LBB247_80:                             ;   in Loop: Header=BB247_47 Depth=1
	ds_read_b32 v9, v4 offset:40960
	s_waitcnt lgkmcnt(0)
	v_add_u32_e32 v7, v9, v7
	s_or_b64 exec, exec, s[82:83]
	s_and_saveexec_b64 s[82:83], s[8:9]
	s_cbranch_execz .LBB247_49
.LBB247_81:                             ;   in Loop: Header=BB247_47 Depth=1
	ds_read_b32 v9, v4 offset:40964
	s_waitcnt lgkmcnt(0)
	v_add_u32_e32 v7, v9, v7
	s_or_b64 exec, exec, s[82:83]
	s_and_saveexec_b64 s[82:83], s[10:11]
	s_cbranch_execz .LBB247_50
.LBB247_82:                             ;   in Loop: Header=BB247_47 Depth=1
	ds_read_b32 v9, v4 offset:40968
	s_waitcnt lgkmcnt(0)
	v_add_u32_e32 v7, v9, v7
	s_or_b64 exec, exec, s[82:83]
	s_and_saveexec_b64 s[82:83], s[12:13]
	s_cbranch_execz .LBB247_51
.LBB247_83:                             ;   in Loop: Header=BB247_47 Depth=1
	ds_read_b32 v9, v4 offset:40972
	s_waitcnt lgkmcnt(0)
	v_add_u32_e32 v7, v9, v7
	s_or_b64 exec, exec, s[82:83]
	s_and_saveexec_b64 s[82:83], s[14:15]
	s_cbranch_execz .LBB247_52
.LBB247_84:                             ;   in Loop: Header=BB247_47 Depth=1
	ds_read_b32 v9, v4 offset:40976
	s_waitcnt lgkmcnt(0)
	v_add_u32_e32 v7, v9, v7
	s_or_b64 exec, exec, s[82:83]
	s_and_saveexec_b64 s[82:83], s[16:17]
	s_cbranch_execz .LBB247_53
.LBB247_85:                             ;   in Loop: Header=BB247_47 Depth=1
	ds_read_b32 v9, v4 offset:40980
	s_waitcnt lgkmcnt(0)
	v_add_u32_e32 v7, v9, v7
	s_or_b64 exec, exec, s[82:83]
	s_and_saveexec_b64 s[82:83], s[18:19]
	s_cbranch_execz .LBB247_54
.LBB247_86:                             ;   in Loop: Header=BB247_47 Depth=1
	ds_read_b32 v9, v4 offset:40984
	s_waitcnt lgkmcnt(0)
	v_add_u32_e32 v7, v9, v7
	s_or_b64 exec, exec, s[82:83]
	s_and_saveexec_b64 s[82:83], s[20:21]
	s_cbranch_execz .LBB247_55
.LBB247_87:                             ;   in Loop: Header=BB247_47 Depth=1
	ds_read_b32 v9, v4 offset:40988
	s_waitcnt lgkmcnt(0)
	v_add_u32_e32 v7, v9, v7
	s_or_b64 exec, exec, s[82:83]
	s_and_saveexec_b64 s[82:83], s[22:23]
	s_cbranch_execz .LBB247_56
.LBB247_88:                             ;   in Loop: Header=BB247_47 Depth=1
	ds_read_b32 v9, v4 offset:40992
	s_waitcnt lgkmcnt(0)
	v_add_u32_e32 v7, v9, v7
	s_or_b64 exec, exec, s[82:83]
	s_and_saveexec_b64 s[82:83], s[24:25]
	s_cbranch_execz .LBB247_57
.LBB247_89:                             ;   in Loop: Header=BB247_47 Depth=1
	ds_read_b32 v9, v4 offset:40996
	s_waitcnt lgkmcnt(0)
	v_add_u32_e32 v7, v9, v7
	s_or_b64 exec, exec, s[82:83]
	s_and_saveexec_b64 s[82:83], s[26:27]
	s_cbranch_execz .LBB247_58
.LBB247_90:                             ;   in Loop: Header=BB247_47 Depth=1
	ds_read_b32 v9, v4 offset:41000
	s_waitcnt lgkmcnt(0)
	v_add_u32_e32 v7, v9, v7
	s_or_b64 exec, exec, s[82:83]
	s_and_saveexec_b64 s[82:83], s[28:29]
	s_cbranch_execz .LBB247_59
.LBB247_91:                             ;   in Loop: Header=BB247_47 Depth=1
	ds_read_b32 v9, v4 offset:41004
	s_waitcnt lgkmcnt(0)
	v_add_u32_e32 v7, v9, v7
	s_or_b64 exec, exec, s[82:83]
	s_and_saveexec_b64 s[82:83], s[30:31]
	s_cbranch_execz .LBB247_60
.LBB247_92:                             ;   in Loop: Header=BB247_47 Depth=1
	ds_read_b32 v9, v4 offset:41008
	s_waitcnt lgkmcnt(0)
	v_add_u32_e32 v7, v9, v7
	s_or_b64 exec, exec, s[82:83]
	s_and_saveexec_b64 s[82:83], s[34:35]
	s_cbranch_execz .LBB247_61
.LBB247_93:                             ;   in Loop: Header=BB247_47 Depth=1
	ds_read_b32 v9, v4 offset:41012
	s_waitcnt lgkmcnt(0)
	v_add_u32_e32 v7, v9, v7
	s_or_b64 exec, exec, s[82:83]
	s_and_saveexec_b64 s[82:83], s[36:37]
	s_cbranch_execz .LBB247_62
.LBB247_94:                             ;   in Loop: Header=BB247_47 Depth=1
	ds_read_b32 v9, v4 offset:41016
	s_waitcnt lgkmcnt(0)
	v_add_u32_e32 v7, v9, v7
	s_or_b64 exec, exec, s[82:83]
	s_and_saveexec_b64 s[82:83], s[38:39]
	s_cbranch_execz .LBB247_63
.LBB247_95:                             ;   in Loop: Header=BB247_47 Depth=1
	ds_read_b32 v9, v4 offset:41020
	s_waitcnt lgkmcnt(0)
	v_add_u32_e32 v7, v9, v7
	s_or_b64 exec, exec, s[82:83]
	s_and_saveexec_b64 s[82:83], s[40:41]
	s_cbranch_execz .LBB247_64
.LBB247_96:                             ;   in Loop: Header=BB247_47 Depth=1
	ds_read_b32 v9, v4 offset:41024
	s_waitcnt lgkmcnt(0)
	v_add_u32_e32 v7, v9, v7
	s_or_b64 exec, exec, s[82:83]
	s_and_saveexec_b64 s[82:83], s[42:43]
	s_cbranch_execz .LBB247_65
.LBB247_97:                             ;   in Loop: Header=BB247_47 Depth=1
	ds_read_b32 v9, v4 offset:41028
	s_waitcnt lgkmcnt(0)
	v_add_u32_e32 v7, v9, v7
	s_or_b64 exec, exec, s[82:83]
	s_and_saveexec_b64 s[82:83], s[44:45]
	s_cbranch_execz .LBB247_66
.LBB247_98:                             ;   in Loop: Header=BB247_47 Depth=1
	ds_read_b32 v9, v4 offset:41032
	s_waitcnt lgkmcnt(0)
	v_add_u32_e32 v7, v9, v7
	s_or_b64 exec, exec, s[82:83]
	s_and_saveexec_b64 s[82:83], s[46:47]
	s_cbranch_execz .LBB247_67
.LBB247_99:                             ;   in Loop: Header=BB247_47 Depth=1
	ds_read_b32 v9, v4 offset:41036
	s_waitcnt lgkmcnt(0)
	v_add_u32_e32 v7, v9, v7
	s_or_b64 exec, exec, s[82:83]
	s_and_saveexec_b64 s[82:83], s[48:49]
	s_cbranch_execz .LBB247_68
.LBB247_100:                            ;   in Loop: Header=BB247_47 Depth=1
	ds_read_b32 v9, v4 offset:41040
	s_waitcnt lgkmcnt(0)
	v_add_u32_e32 v7, v9, v7
	s_or_b64 exec, exec, s[82:83]
	s_and_saveexec_b64 s[82:83], s[50:51]
	s_cbranch_execz .LBB247_69
.LBB247_101:                            ;   in Loop: Header=BB247_47 Depth=1
	ds_read_b32 v9, v4 offset:41044
	s_waitcnt lgkmcnt(0)
	v_add_u32_e32 v7, v9, v7
	s_or_b64 exec, exec, s[82:83]
	s_and_saveexec_b64 s[82:83], s[52:53]
	s_cbranch_execz .LBB247_70
.LBB247_102:                            ;   in Loop: Header=BB247_47 Depth=1
	ds_read_b32 v9, v4 offset:41048
	s_waitcnt lgkmcnt(0)
	v_add_u32_e32 v7, v9, v7
	s_or_b64 exec, exec, s[82:83]
	s_and_saveexec_b64 s[82:83], s[54:55]
	s_cbranch_execz .LBB247_71
.LBB247_103:                            ;   in Loop: Header=BB247_47 Depth=1
	ds_read_b32 v9, v4 offset:41052
	s_waitcnt lgkmcnt(0)
	v_add_u32_e32 v7, v9, v7
	s_or_b64 exec, exec, s[82:83]
	s_and_saveexec_b64 s[82:83], s[56:57]
	s_cbranch_execz .LBB247_72
.LBB247_104:                            ;   in Loop: Header=BB247_47 Depth=1
	ds_read_b32 v9, v4 offset:41056
	s_waitcnt lgkmcnt(0)
	v_add_u32_e32 v7, v9, v7
	s_or_b64 exec, exec, s[82:83]
	s_and_saveexec_b64 s[82:83], s[58:59]
	s_cbranch_execz .LBB247_73
.LBB247_105:                            ;   in Loop: Header=BB247_47 Depth=1
	ds_read_b32 v9, v4 offset:41060
	s_waitcnt lgkmcnt(0)
	v_add_u32_e32 v7, v9, v7
	s_or_b64 exec, exec, s[82:83]
	s_and_saveexec_b64 s[82:83], s[60:61]
	s_cbranch_execz .LBB247_74
.LBB247_106:                            ;   in Loop: Header=BB247_47 Depth=1
	ds_read_b32 v9, v4 offset:41064
	s_waitcnt lgkmcnt(0)
	v_add_u32_e32 v7, v9, v7
	s_or_b64 exec, exec, s[82:83]
	s_and_saveexec_b64 s[82:83], s[62:63]
	s_cbranch_execz .LBB247_75
.LBB247_107:                            ;   in Loop: Header=BB247_47 Depth=1
	ds_read_b32 v9, v4 offset:41068
	s_waitcnt lgkmcnt(0)
	v_add_u32_e32 v7, v9, v7
	s_or_b64 exec, exec, s[82:83]
	s_and_saveexec_b64 s[82:83], s[64:65]
	s_cbranch_execz .LBB247_76
.LBB247_108:                            ;   in Loop: Header=BB247_47 Depth=1
	ds_read_b32 v9, v4 offset:41072
	s_waitcnt lgkmcnt(0)
	v_add_u32_e32 v7, v9, v7
	s_or_b64 exec, exec, s[82:83]
	s_and_saveexec_b64 s[82:83], s[66:67]
	s_cbranch_execz .LBB247_77
.LBB247_109:                            ;   in Loop: Header=BB247_47 Depth=1
	ds_read_b32 v9, v4 offset:41076
	s_waitcnt lgkmcnt(0)
	v_add_u32_e32 v7, v9, v7
	s_or_b64 exec, exec, s[82:83]
	s_and_saveexec_b64 s[82:83], s[68:69]
	s_cbranch_execz .LBB247_78
.LBB247_110:                            ;   in Loop: Header=BB247_47 Depth=1
	ds_read_b32 v9, v4 offset:41080
	s_waitcnt lgkmcnt(0)
	v_add_u32_e32 v7, v9, v7
	s_or_b64 exec, exec, s[82:83]
	s_and_saveexec_b64 s[82:83], vcc
	s_cbranch_execz .LBB247_79
.LBB247_111:                            ;   in Loop: Header=BB247_47 Depth=1
	buffer_load_dword v10, off, s[0:3], 0
	buffer_load_dword v11, off, s[0:3], 0 offset:4
	buffer_load_dword v12, off, s[0:3], 0 offset:8
	;; [unrolled: 1-line block ×3, first 2 shown]
	v_add3_u32 v9, v6, -1, v7
	v_lshl_add_u32 v14, v9, 2, 0
	v_lshl_add_u32 v9, v9, 4, 0
	v_add_u32_e32 v9, 0x2000, v9
	ds_write_b32 v14, v8
	s_waitcnt vmcnt(0)
	ds_write2_b64 v9, v[10:11], v[12:13] offset1:1
	s_or_b64 exec, exec, s[82:83]
	s_and_saveexec_b64 s[82:83], s[4:5]
	s_cbranch_execz .LBB247_46
.LBB247_112:                            ;   in Loop: Header=BB247_47 Depth=1
	ds_write_b32 v4, v7 offset:41084
	s_branch .LBB247_46
.LBB247_113:
	s_or_b64 exec, exec, s[72:73]
	s_ashr_i32 s81, s80, 31
	s_lshl_b64 s[4:5], s[80:81], 3
	s_add_u32 s4, s70, s4
	s_addc_u32 s5, s71, s5
	s_load_dwordx4 s[4:7], s[4:5], 0x0
	s_waitcnt lgkmcnt(0)
	s_sub_i32 s12, s6, s4
	v_cmp_gt_i32_e32 vcc, s12, v0
	s_and_saveexec_b64 s[8:9], vcc
	s_cbranch_execz .LBB247_123
; %bb.114:
	s_sub_u32 s8, s4, s74
	s_subb_u32 s9, s5, 0
	s_and_b32 s13, s12, 7
	s_sub_i32 s4, s4, s6
	s_cmp_lt_u32 s4, -7
	s_cselect_b64 s[4:5], -1, 0
	s_and_b32 s14, s12, -8
	s_cmp_lg_u32 s13, 0
	v_cndmask_b32_e64 v1, 0, 1, s[4:5]
	s_cselect_b64 s[6:7], -1, 0
	v_cmp_ne_u32_e64 s[4:5], 1, v1
	v_cndmask_b32_e64 v1, 0, 1, s[6:7]
	s_mov_b64 s[10:11], 0
	s_movk_i32 s15, 0x2000
	v_cmp_ne_u32_e64 s[6:7], 1, v1
	v_mov_b32_e32 v1, s77
	s_branch .LBB247_116
.LBB247_115:                            ;   in Loop: Header=BB247_116 Depth=1
	v_mul_lo_u32 v6, v0, 12
	v_add3_u32 v8, v4, v6, s15
	s_waitcnt lgkmcnt(0)
	v_add_u32_e32 v6, s74, v5
	v_lshlrev_b64 v[4:5], 2, v[2:3]
	v_add_co_u32_e32 v4, vcc, s76, v4
	v_addc_co_u32_e32 v5, vcc, v1, v5, vcc
	global_store_dword v[4:5], v6, off
	v_lshlrev_b64 v[6:7], 4, v[2:3]
	ds_read2_b64 v[2:5], v8 offset1:1
	v_mov_b32_e32 v9, s79
	v_add_co_u32_e32 v6, vcc, s78, v6
	v_addc_co_u32_e32 v7, vcc, v9, v7, vcc
	v_add_u32_e32 v0, 0x400, v0
	v_cmp_le_i32_e32 vcc, s12, v0
	s_or_b64 s[10:11], vcc, s[10:11]
	s_waitcnt lgkmcnt(0)
	global_store_dwordx4 v[6:7], v[2:5], off
	s_andn2_b64 exec, exec, s[10:11]
	s_cbranch_execz .LBB247_123
.LBB247_116:                            ; =>This Loop Header: Depth=1
                                        ;     Child Loop BB247_118 Depth 2
                                        ;     Child Loop BB247_122 Depth 2
	v_lshl_add_u32 v4, v0, 2, 0
	ds_read_b32 v5, v4
	s_and_b64 vcc, exec, s[4:5]
	v_pk_mov_b32 v[2:3], s[8:9], s[8:9] op_sel:[0,1]
	s_mov_b32 s16, 0
	s_cbranch_vccnz .LBB247_120
; %bb.117:                              ;   in Loop: Header=BB247_116 Depth=1
	s_mov_b32 s17, 0
	v_pk_mov_b32 v[2:3], s[8:9], s[8:9] op_sel:[0,1]
.LBB247_118:                            ;   Parent Loop BB247_116 Depth=1
                                        ; =>  This Inner Loop Header: Depth=2
	v_mov_b32_e32 v12, s17
	ds_read2_b32 v[6:7], v12 offset1:1
	ds_read2_b32 v[8:9], v12 offset0:2 offset1:3
	ds_read2_b32 v[10:11], v12 offset0:4 offset1:5
	;; [unrolled: 1-line block ×3, first 2 shown]
	s_add_i32 s16, s16, 8
	s_waitcnt lgkmcnt(3)
	v_cmp_gt_i32_e32 vcc, v5, v6
	v_cndmask_b32_e64 v6, 0, 1, vcc
	v_cmp_gt_i32_e32 vcc, v5, v7
	v_cndmask_b32_e64 v7, 0, 1, vcc
	s_waitcnt lgkmcnt(2)
	v_cmp_gt_i32_e32 vcc, v5, v8
	v_cndmask_b32_e64 v8, 0, 1, vcc
	v_cmp_gt_i32_e32 vcc, v5, v9
	v_cndmask_b32_e64 v9, 0, 1, vcc
	;; [unrolled: 5-line block ×4, first 2 shown]
	v_add_co_u32_e32 v2, vcc, v2, v6
	v_addc_co_u32_e32 v3, vcc, 0, v3, vcc
	v_add_co_u32_e32 v2, vcc, v2, v7
	v_addc_co_u32_e32 v3, vcc, 0, v3, vcc
	;; [unrolled: 2-line block ×7, first 2 shown]
	s_add_i32 s17, s17, 32
	v_add_co_u32_e32 v2, vcc, v2, v13
	s_cmp_eq_u32 s14, s16
	v_addc_co_u32_e32 v3, vcc, 0, v3, vcc
	s_cbranch_scc0 .LBB247_118
; %bb.119:                              ;   in Loop: Header=BB247_116 Depth=1
	s_mov_b32 s16, s14
.LBB247_120:                            ;   in Loop: Header=BB247_116 Depth=1
	s_and_b64 vcc, exec, s[6:7]
	s_cbranch_vccnz .LBB247_115
; %bb.121:                              ;   in Loop: Header=BB247_116 Depth=1
	s_lshl_b32 s16, s16, 2
	s_add_i32 s16, s16, 0
	s_mov_b32 s17, s13
.LBB247_122:                            ;   Parent Loop BB247_116 Depth=1
                                        ; =>  This Inner Loop Header: Depth=2
	v_mov_b32_e32 v6, s16
	ds_read_b32 v6, v6
	s_add_i32 s16, s16, 4
	s_add_i32 s17, s17, -1
	s_cmp_lg_u32 s17, 0
	s_waitcnt lgkmcnt(0)
	v_cmp_gt_i32_e32 vcc, v5, v6
	v_cndmask_b32_e64 v6, 0, 1, vcc
	v_add_co_u32_e32 v2, vcc, v2, v6
	v_addc_co_u32_e32 v3, vcc, 0, v3, vcc
	s_cbranch_scc1 .LBB247_122
	s_branch .LBB247_115
.LBB247_123:
	s_endpgm
	.section	.rodata,"a",@progbits
	.p2align	6, 0x0
	.amdhsa_kernel _ZN9rocsparseL26csrgemm_fill_block_per_rowILj1024ELj32ELj2048ELj137ELj32Eli21rocsparse_complex_numIdEEEvT5_PKS3_S5_NS_24const_host_device_scalarIT6_EEPKT4_S5_PKS7_SB_S5_SD_S8_SB_S5_SD_SB_PS3_PS7_21rocsparse_index_base_SG_SG_SG_bbb
		.amdhsa_group_segment_fixed_size 0
		.amdhsa_private_segment_fixed_size 40
		.amdhsa_kernarg_size 172
		.amdhsa_user_sgpr_count 8
		.amdhsa_user_sgpr_private_segment_buffer 1
		.amdhsa_user_sgpr_dispatch_ptr 0
		.amdhsa_user_sgpr_queue_ptr 0
		.amdhsa_user_sgpr_kernarg_segment_ptr 1
		.amdhsa_user_sgpr_dispatch_id 0
		.amdhsa_user_sgpr_flat_scratch_init 1
		.amdhsa_user_sgpr_kernarg_preload_length 0
		.amdhsa_user_sgpr_kernarg_preload_offset 0
		.amdhsa_user_sgpr_private_segment_size 0
		.amdhsa_uses_dynamic_stack 0
		.amdhsa_system_sgpr_private_segment_wavefront_offset 1
		.amdhsa_system_sgpr_workgroup_id_x 1
		.amdhsa_system_sgpr_workgroup_id_y 0
		.amdhsa_system_sgpr_workgroup_id_z 0
		.amdhsa_system_sgpr_workgroup_info 0
		.amdhsa_system_vgpr_workitem_id 0
		.amdhsa_next_free_vgpr 38
		.amdhsa_next_free_sgpr 84
		.amdhsa_accum_offset 40
		.amdhsa_reserve_vcc 1
		.amdhsa_reserve_flat_scratch 1
		.amdhsa_float_round_mode_32 0
		.amdhsa_float_round_mode_16_64 0
		.amdhsa_float_denorm_mode_32 3
		.amdhsa_float_denorm_mode_16_64 3
		.amdhsa_dx10_clamp 1
		.amdhsa_ieee_mode 1
		.amdhsa_fp16_overflow 0
		.amdhsa_tg_split 0
		.amdhsa_exception_fp_ieee_invalid_op 0
		.amdhsa_exception_fp_denorm_src 0
		.amdhsa_exception_fp_ieee_div_zero 0
		.amdhsa_exception_fp_ieee_overflow 0
		.amdhsa_exception_fp_ieee_underflow 0
		.amdhsa_exception_fp_ieee_inexact 0
		.amdhsa_exception_int_div_zero 0
	.end_amdhsa_kernel
	.section	.text._ZN9rocsparseL26csrgemm_fill_block_per_rowILj1024ELj32ELj2048ELj137ELj32Eli21rocsparse_complex_numIdEEEvT5_PKS3_S5_NS_24const_host_device_scalarIT6_EEPKT4_S5_PKS7_SB_S5_SD_S8_SB_S5_SD_SB_PS3_PS7_21rocsparse_index_base_SG_SG_SG_bbb,"axG",@progbits,_ZN9rocsparseL26csrgemm_fill_block_per_rowILj1024ELj32ELj2048ELj137ELj32Eli21rocsparse_complex_numIdEEEvT5_PKS3_S5_NS_24const_host_device_scalarIT6_EEPKT4_S5_PKS7_SB_S5_SD_S8_SB_S5_SD_SB_PS3_PS7_21rocsparse_index_base_SG_SG_SG_bbb,comdat
.Lfunc_end247:
	.size	_ZN9rocsparseL26csrgemm_fill_block_per_rowILj1024ELj32ELj2048ELj137ELj32Eli21rocsparse_complex_numIdEEEvT5_PKS3_S5_NS_24const_host_device_scalarIT6_EEPKT4_S5_PKS7_SB_S5_SD_S8_SB_S5_SD_SB_PS3_PS7_21rocsparse_index_base_SG_SG_SG_bbb, .Lfunc_end247-_ZN9rocsparseL26csrgemm_fill_block_per_rowILj1024ELj32ELj2048ELj137ELj32Eli21rocsparse_complex_numIdEEEvT5_PKS3_S5_NS_24const_host_device_scalarIT6_EEPKT4_S5_PKS7_SB_S5_SD_S8_SB_S5_SD_SB_PS3_PS7_21rocsparse_index_base_SG_SG_SG_bbb
                                        ; -- End function
	.section	.AMDGPU.csdata,"",@progbits
; Kernel info:
; codeLenInByte = 4352
; NumSgprs: 90
; NumVgprs: 38
; NumAgprs: 0
; TotalNumVgprs: 38
; ScratchSize: 40
; MemoryBound: 0
; FloatMode: 240
; IeeeMode: 1
; LDSByteSize: 0 bytes/workgroup (compile time only)
; SGPRBlocks: 11
; VGPRBlocks: 4
; NumSGPRsForWavesPerEU: 90
; NumVGPRsForWavesPerEU: 38
; AccumOffset: 40
; Occupancy: 8
; WaveLimiterHint : 1
; COMPUTE_PGM_RSRC2:SCRATCH_EN: 1
; COMPUTE_PGM_RSRC2:USER_SGPR: 8
; COMPUTE_PGM_RSRC2:TRAP_HANDLER: 0
; COMPUTE_PGM_RSRC2:TGID_X_EN: 1
; COMPUTE_PGM_RSRC2:TGID_Y_EN: 0
; COMPUTE_PGM_RSRC2:TGID_Z_EN: 0
; COMPUTE_PGM_RSRC2:TIDIG_COMP_CNT: 0
; COMPUTE_PGM_RSRC3_GFX90A:ACCUM_OFFSET: 9
; COMPUTE_PGM_RSRC3_GFX90A:TG_SPLIT: 0
	.section	.text._ZN9rocsparseL26csrgemm_fill_block_per_rowILj1024ELj32ELj2048ELj137ELj64Eli21rocsparse_complex_numIdEEEvT5_PKS3_S5_NS_24const_host_device_scalarIT6_EEPKT4_S5_PKS7_SB_S5_SD_S8_SB_S5_SD_SB_PS3_PS7_21rocsparse_index_base_SG_SG_SG_bbb,"axG",@progbits,_ZN9rocsparseL26csrgemm_fill_block_per_rowILj1024ELj32ELj2048ELj137ELj64Eli21rocsparse_complex_numIdEEEvT5_PKS3_S5_NS_24const_host_device_scalarIT6_EEPKT4_S5_PKS7_SB_S5_SD_S8_SB_S5_SD_SB_PS3_PS7_21rocsparse_index_base_SG_SG_SG_bbb,comdat
	.globl	_ZN9rocsparseL26csrgemm_fill_block_per_rowILj1024ELj32ELj2048ELj137ELj64Eli21rocsparse_complex_numIdEEEvT5_PKS3_S5_NS_24const_host_device_scalarIT6_EEPKT4_S5_PKS7_SB_S5_SD_S8_SB_S5_SD_SB_PS3_PS7_21rocsparse_index_base_SG_SG_SG_bbb ; -- Begin function _ZN9rocsparseL26csrgemm_fill_block_per_rowILj1024ELj32ELj2048ELj137ELj64Eli21rocsparse_complex_numIdEEEvT5_PKS3_S5_NS_24const_host_device_scalarIT6_EEPKT4_S5_PKS7_SB_S5_SD_S8_SB_S5_SD_SB_PS3_PS7_21rocsparse_index_base_SG_SG_SG_bbb
	.p2align	8
	.type	_ZN9rocsparseL26csrgemm_fill_block_per_rowILj1024ELj32ELj2048ELj137ELj64Eli21rocsparse_complex_numIdEEEvT5_PKS3_S5_NS_24const_host_device_scalarIT6_EEPKT4_S5_PKS7_SB_S5_SD_S8_SB_S5_SD_SB_PS3_PS7_21rocsparse_index_base_SG_SG_SG_bbb,@function
_ZN9rocsparseL26csrgemm_fill_block_per_rowILj1024ELj32ELj2048ELj137ELj64Eli21rocsparse_complex_numIdEEEvT5_PKS3_S5_NS_24const_host_device_scalarIT6_EEPKT4_S5_PKS7_SB_S5_SD_S8_SB_S5_SD_SB_PS3_PS7_21rocsparse_index_base_SG_SG_SG_bbb: ; @_ZN9rocsparseL26csrgemm_fill_block_per_rowILj1024ELj32ELj2048ELj137ELj64Eli21rocsparse_complex_numIdEEEvT5_PKS3_S5_NS_24const_host_device_scalarIT6_EEPKT4_S5_PKS7_SB_S5_SD_S8_SB_S5_SD_SB_PS3_PS7_21rocsparse_index_base_SG_SG_SG_bbb
; %bb.0:
	s_add_u32 flat_scratch_lo, s6, s9
	s_addc_u32 flat_scratch_hi, s7, 0
	s_load_dwordx4 s[12:15], s[4:5], 0x18
	s_load_dwordx4 s[28:31], s[4:5], 0x58
	s_add_u32 s0, s0, s9
	s_load_dword s9, s[4:5], 0xa8
	s_load_dwordx4 s[44:47], s[4:5], 0x98
	s_addc_u32 s1, s1, 0
	s_waitcnt lgkmcnt(0)
	v_mov_b32_e32 v1, s13
	buffer_store_dword v1, off, s[0:3], 0 offset:20
	s_bitcmp1_b32 s9, 0
	s_cselect_b64 s[54:55], -1, 0
	s_bitcmp1_b32 s9, 16
	v_mov_b32_e32 v1, s12
	s_cselect_b64 s[6:7], -1, 0
	buffer_store_dword v1, off, s[0:3], 0 offset:16
	v_mov_b32_e32 v1, s29
	buffer_store_dword v1, off, s[0:3], 0 offset:28
	v_mov_b32_e32 v1, s28
	s_xor_b64 s[10:11], s[6:7], -1
	buffer_store_dword v1, off, s[0:3], 0 offset:24
	v_pk_mov_b32 v[2:3], 0, 0
	v_cndmask_b32_e64 v1, 0, 1, s[10:11]
	s_bitcmp0_b32 s9, 0
	v_cmp_ne_u32_e64 s[10:11], 1, v1
	v_pk_mov_b32 v[6:7], v[2:3], v[2:3] op_sel:[0,1]
	v_pk_mov_b32 v[8:9], v[2:3], v[2:3] op_sel:[0,1]
	s_cbranch_scc1 .LBB248_3
; %bb.1:
	s_mov_b64 s[16:17], src_private_base
	s_and_b64 s[18:19], s[6:7], exec
	s_cselect_b32 s16, s17, s13
	v_mov_b32_e32 v1, 16
	v_mov_b32_e32 v4, s12
	v_cndmask_b32_e64 v4, v4, v1, s[6:7]
	v_mov_b32_e32 v5, s16
	flat_load_dwordx2 v[6:7], v[4:5]
	s_and_b64 vcc, exec, s[10:11]
	v_pk_mov_b32 v[8:9], s[14:15], s[14:15] op_sel:[0,1]
	s_cbranch_vccnz .LBB248_3
; %bb.2:
	v_pk_mov_b32 v[4:5], s[12:13], s[12:13] op_sel:[0,1]
	flat_load_dwordx2 v[8:9], v[4:5] offset:8
.LBB248_3:
	s_load_dwordx4 s[48:51], s[4:5], 0x88
	s_load_dwordx8 s[36:43], s[4:5], 0x68
	s_load_dwordx4 s[20:23], s[4:5], 0x48
	s_load_dwordx4 s[24:27], s[4:5], 0x8
	s_load_dwordx8 s[12:19], s[4:5], 0x28
	s_bitcmp1_b32 s9, 8
	s_cselect_b64 s[34:35], -1, 0
	s_bfe_u32 s9, s9, 0x10008
	s_mov_b64 s[52:53], 0
	s_cmp_eq_u32 s9, 0
	v_pk_mov_b32 v[4:5], v[2:3], v[2:3] op_sel:[0,1]
	s_cbranch_scc1 .LBB248_6
; %bb.4:
	s_mov_b64 s[56:57], src_private_base
	s_and_b64 s[58:59], s[6:7], exec
	s_cselect_b32 s9, s57, s29
	v_mov_b32_e32 v1, 24
	v_mov_b32_e32 v2, s28
	v_cndmask_b32_e64 v2, v2, v1, s[6:7]
	v_mov_b32_e32 v3, s9
	flat_load_dwordx2 v[4:5], v[2:3]
	s_and_b64 vcc, exec, s[10:11]
	v_pk_mov_b32 v[2:3], s[30:31], s[30:31] op_sel:[0,1]
	s_cbranch_vccnz .LBB248_6
; %bb.5:
	v_pk_mov_b32 v[2:3], s[28:29], s[28:29] op_sel:[0,1]
	flat_load_dwordx2 v[2:3], v[2:3] offset:8
.LBB248_6:
	s_load_dword s33, s[4:5], 0x0
	s_mov_b32 s4, 0
	v_lshl_add_u32 v1, v0, 4, 0
	v_add_u32_e32 v1, 0x2000, v1
	v_or_b32_e32 v25, 0xfffffc00, v0
	v_lshl_add_u32 v26, v0, 2, 0
	s_mov_b32 s5, s4
	s_mov_b32 s6, s4
	;; [unrolled: 1-line block ×3, first 2 shown]
	s_waitcnt lgkmcnt(0)
	v_mov_b32_e32 v14, s33
	v_pk_mov_b32 v[10:11], s[4:5], s[4:5] op_sel:[0,1]
	v_pk_mov_b32 v[12:13], s[6:7], s[6:7] op_sel:[0,1]
	v_mov_b32_e32 v15, v26
	v_mov_b32_e32 v16, v25
	;; [unrolled: 1-line block ×3, first 2 shown]
.LBB248_7:                              ; =>This Inner Loop Header: Depth=1
	v_add_co_u32_e32 v16, vcc, 0x400, v16
	s_xor_b64 s[4:5], vcc, -1
	s_and_b64 s[4:5], exec, s[4:5]
	ds_write_b32 v15, v14
	ds_write2_b64 v17, v[10:11], v[12:13] offset1:1
	v_add_u32_e32 v17, 0x4000, v17
	s_or_b64 s[52:53], s[4:5], s[52:53]
	v_add_u32_e32 v15, 0x1000, v15
	s_andn2_b64 exec, exec, s[52:53]
	s_cbranch_execnz .LBB248_7
; %bb.8:
	s_or_b64 exec, exec, s[52:53]
	s_waitcnt lgkmcnt(0)
	s_barrier
	s_load_dword s4, s[24:25], 0x0
	s_mov_b32 s5, 0
	s_waitcnt lgkmcnt(0)
	s_add_i32 s4, s4, s8
	s_lshl_b64 s[4:5], s[4:5], 2
	s_add_u32 s4, s26, s4
	s_addc_u32 s5, s27, s5
	s_load_dword s52, s[4:5], 0x0
	s_and_b64 vcc, exec, s[54:55]
	s_cbranch_vccz .LBB248_28
; %bb.9:
	s_waitcnt lgkmcnt(0)
	s_ashr_i32 s53, s52, 31
	s_lshl_b64 s[4:5], s[52:53], 3
	s_add_u32 s4, s12, s4
	s_addc_u32 s5, s13, s5
	s_load_dwordx4 s[8:11], s[4:5], 0x0
	v_lshrrev_b32_e32 v10, 5, v0
	v_subrev_co_u32_e32 v10, vcc, s44, v10
	v_subb_co_u32_e64 v11, s[6:7], 0, 0, vcc
	s_waitcnt lgkmcnt(0)
	s_sub_u32 s4, s10, s44
	v_mov_b32_e32 v12, s9
	v_add_co_u32_e32 v10, vcc, s8, v10
	s_subb_u32 s5, s11, 0
	v_addc_co_u32_e32 v11, vcc, v12, v11, vcc
	v_cmp_gt_i64_e32 vcc, s[4:5], v[10:11]
	s_and_saveexec_b64 s[6:7], vcc
	s_cbranch_execz .LBB248_27
; %bb.10:
	v_and_b32_e32 v12, 31, v0
	v_subrev_co_u32_e32 v27, vcc, s45, v12
	s_mov_b32 s10, 0
	v_subb_co_u32_e64 v28, s[8:9], 0, 0, vcc
	s_mov_b32 s53, s45
	s_mov_b64 s[8:9], 0
	v_mov_b32_e32 v29, s15
	v_mov_b32_e32 v30, s19
	;; [unrolled: 1-line block ×3, first 2 shown]
	s_movk_i32 s15, 0x89
	s_branch .LBB248_12
.LBB248_11:                             ;   in Loop: Header=BB248_12 Depth=1
	s_or_b64 exec, exec, s[10:11]
	v_add_co_u32_e32 v10, vcc, 32, v10
	v_addc_co_u32_e32 v11, vcc, 0, v11, vcc
	v_cmp_le_i64_e32 vcc, s[4:5], v[10:11]
	s_or_b64 s[8:9], vcc, s[8:9]
	s_andn2_b64 exec, exec, s[8:9]
	s_cbranch_execz .LBB248_27
.LBB248_12:                             ; =>This Loop Header: Depth=1
                                        ;     Child Loop BB248_15 Depth 2
                                        ;       Child Loop BB248_17 Depth 3
	v_lshlrev_b64 v[12:13], 2, v[10:11]
	v_add_co_u32_e32 v12, vcc, s14, v12
	v_addc_co_u32_e32 v13, vcc, v29, v13, vcc
	global_load_dword v12, v[12:13], off
	s_waitcnt vmcnt(0)
	v_subrev_u32_e32 v12, s44, v12
	v_ashrrev_i32_e32 v13, 31, v12
	v_lshlrev_b64 v[12:13], 3, v[12:13]
	v_add_co_u32_e32 v12, vcc, s18, v12
	v_addc_co_u32_e32 v13, vcc, v30, v13, vcc
	global_load_dwordx4 v[14:17], v[12:13], off
	s_waitcnt vmcnt(0)
	v_subrev_co_u32_e32 v12, vcc, s53, v16
	v_subb_co_u32_e32 v13, vcc, v17, v31, vcc
	v_add_co_u32_e32 v14, vcc, v14, v27
	v_addc_co_u32_e32 v15, vcc, v15, v28, vcc
	v_cmp_lt_i64_e32 vcc, v[14:15], v[12:13]
	s_and_saveexec_b64 s[10:11], vcc
	s_cbranch_execz .LBB248_11
; %bb.13:                               ;   in Loop: Header=BB248_12 Depth=1
	v_lshlrev_b64 v[16:17], 4, v[10:11]
	v_mov_b32_e32 v18, s17
	v_add_co_u32_e32 v16, vcc, s16, v16
	v_addc_co_u32_e32 v17, vcc, v18, v17, vcc
	global_load_dwordx4 v[20:23], v[16:17], off
	s_mov_b64 s[12:13], 0
	s_waitcnt vmcnt(0)
	v_mul_f64 v[16:17], v[22:23], -v[8:9]
	v_mul_f64 v[18:19], v[6:7], v[22:23]
	v_fmac_f64_e32 v[16:17], v[6:7], v[20:21]
	v_fmac_f64_e32 v[18:19], v[8:9], v[20:21]
	s_branch .LBB248_15
.LBB248_14:                             ;   in Loop: Header=BB248_15 Depth=2
	s_or_b64 exec, exec, s[24:25]
	v_add_co_u32_e32 v14, vcc, 32, v14
	v_addc_co_u32_e32 v15, vcc, 0, v15, vcc
	v_cmp_ge_i64_e32 vcc, v[14:15], v[12:13]
	s_or_b64 s[12:13], vcc, s[12:13]
	s_andn2_b64 exec, exec, s[12:13]
	s_cbranch_execz .LBB248_11
.LBB248_15:                             ;   Parent Loop BB248_12 Depth=1
                                        ; =>  This Loop Header: Depth=2
                                        ;       Child Loop BB248_17 Depth 3
	v_lshlrev_b64 v[20:21], 2, v[14:15]
	v_mov_b32_e32 v22, s21
	v_add_co_u32_e32 v20, vcc, s20, v20
	v_addc_co_u32_e32 v21, vcc, v22, v21, vcc
	global_load_dword v22, v[20:21], off
	v_lshlrev_b64 v[20:21], 4, v[14:15]
	v_mov_b32_e32 v23, s23
	v_add_co_u32_e32 v20, vcc, s22, v20
	v_addc_co_u32_e32 v21, vcc, v23, v21, vcc
	global_load_dwordx4 v[34:37], v[20:21], off
	s_mov_b64 s[24:25], 0
	s_waitcnt vmcnt(1)
	v_subrev_u32_e32 v32, s45, v22
	v_mul_lo_u32 v24, v32, s15
	v_and_b32_e32 v33, 0x7ff, v24
	s_waitcnt vmcnt(0)
	v_mul_f64 v[20:21], v[36:37], -v[18:19]
	v_mul_f64 v[22:23], v[16:17], v[36:37]
	v_fmac_f64_e32 v[20:21], v[16:17], v[34:35]
	v_fmac_f64_e32 v[22:23], v[18:19], v[34:35]
	s_branch .LBB248_17
.LBB248_16:                             ;   in Loop: Header=BB248_17 Depth=3
	s_or_b64 exec, exec, s[26:27]
	s_xor_b64 s[26:27], s[28:29], -1
	s_and_b64 s[26:27], exec, s[26:27]
	s_or_b64 s[24:25], s[26:27], s[24:25]
	s_andn2_b64 exec, exec, s[24:25]
	s_cbranch_execz .LBB248_14
.LBB248_17:                             ;   Parent Loop BB248_12 Depth=1
                                        ;     Parent Loop BB248_15 Depth=2
                                        ; =>    This Inner Loop Header: Depth=3
	v_lshl_add_u32 v24, v33, 2, 0
	ds_read_b32 v34, v24
                                        ; implicit-def: $sgpr28_sgpr29
	s_waitcnt lgkmcnt(0)
	v_cmp_ne_u32_e32 vcc, v34, v32
	s_and_saveexec_b64 s[26:27], vcc
	s_xor_b64 s[26:27], exec, s[26:27]
	s_cbranch_execz .LBB248_25
; %bb.18:                               ;   in Loop: Header=BB248_17 Depth=3
	v_cmp_ne_u32_e32 vcc, s33, v34
                                        ; implicit-def: $sgpr28_sgpr29
	s_and_saveexec_b64 s[30:31], vcc
	s_xor_b64 s[30:31], exec, s[30:31]
; %bb.19:                               ;   in Loop: Header=BB248_17 Depth=3
	v_add_u32_e32 v24, 1, v33
	v_and_b32_e32 v33, 0x7ff, v24
	s_mov_b64 s[28:29], -1
                                        ; implicit-def: $vgpr24
; %bb.20:                               ;   in Loop: Header=BB248_17 Depth=3
	s_andn2_saveexec_b64 s[30:31], s[30:31]
	s_cbranch_execz .LBB248_24
; %bb.21:                               ;   in Loop: Header=BB248_17 Depth=3
	v_mov_b32_e32 v34, s33
	ds_cmpst_rtn_b32 v34, v24, v34, v32
	s_mov_b64 s[56:57], -1
	s_waitcnt lgkmcnt(0)
	v_cmp_eq_u32_e32 vcc, s33, v34
	s_and_saveexec_b64 s[54:55], vcc
	s_cbranch_execz .LBB248_23
; %bb.22:                               ;   in Loop: Header=BB248_17 Depth=3
	v_mad_u64_u32 v[34:35], s[56:57], v33, 12, v[24:25]
	ds_add_f64 v34, v[20:21] offset:8192
	ds_add_f64 v34, v[22:23] offset:8200
	s_xor_b64 s[56:57], exec, -1
.LBB248_23:                             ;   in Loop: Header=BB248_17 Depth=3
	s_or_b64 exec, exec, s[54:55]
	s_andn2_b64 s[28:29], s[28:29], exec
	s_and_b64 s[54:55], s[56:57], exec
	s_or_b64 s[28:29], s[28:29], s[54:55]
.LBB248_24:                             ;   in Loop: Header=BB248_17 Depth=3
	s_or_b64 exec, exec, s[30:31]
	s_and_b64 s[28:29], s[28:29], exec
                                        ; implicit-def: $vgpr24
.LBB248_25:                             ;   in Loop: Header=BB248_17 Depth=3
	s_andn2_saveexec_b64 s[26:27], s[26:27]
	s_cbranch_execz .LBB248_16
; %bb.26:                               ;   in Loop: Header=BB248_17 Depth=3
	v_mad_u64_u32 v[34:35], s[30:31], v33, 12, v[24:25]
	ds_add_f64 v34, v[20:21] offset:8192
	ds_add_f64 v34, v[22:23] offset:8200
	s_andn2_b64 s[28:29], s[28:29], exec
	s_branch .LBB248_16
.LBB248_27:
	s_or_b64 exec, exec, s[6:7]
.LBB248_28:
	s_andn2_b64 vcc, exec, s[34:35]
	s_cbranch_vccnz .LBB248_45
; %bb.29:
	s_waitcnt lgkmcnt(0)
	s_ashr_i32 s53, s52, 31
	s_lshl_b64 s[4:5], s[52:53], 3
	s_add_u32 s4, s36, s4
	s_addc_u32 s5, s37, s5
	s_load_dwordx4 s[8:11], s[4:5], 0x0
	s_waitcnt vmcnt(0)
	v_subrev_co_u32_e32 v6, vcc, s47, v0
	v_subb_co_u32_e64 v7, s[4:5], 0, 0, vcc
	s_waitcnt lgkmcnt(0)
	s_sub_u32 s4, s10, s47
	v_mov_b32_e32 v8, s9
	v_add_co_u32_e32 v6, vcc, s8, v6
	s_subb_u32 s5, s11, 0
	v_addc_co_u32_e32 v7, vcc, v8, v7, vcc
	v_cmp_gt_i64_e32 vcc, s[4:5], v[6:7]
	s_and_saveexec_b64 s[6:7], vcc
	s_cbranch_execz .LBB248_44
; %bb.30:
	s_mov_b64 s[8:9], 0
	v_mov_b32_e32 v13, s39
	v_mov_b32_e32 v14, s41
	s_movk_i32 s22, 0x89
	s_branch .LBB248_32
.LBB248_31:                             ;   in Loop: Header=BB248_32 Depth=1
	s_or_b64 exec, exec, s[10:11]
	v_add_co_u32_e32 v6, vcc, 0x400, v6
	v_addc_co_u32_e32 v7, vcc, 0, v7, vcc
	v_cmp_le_i64_e32 vcc, s[4:5], v[6:7]
	s_or_b64 s[8:9], vcc, s[8:9]
	s_andn2_b64 exec, exec, s[8:9]
	s_cbranch_execz .LBB248_44
.LBB248_32:                             ; =>This Loop Header: Depth=1
                                        ;     Child Loop BB248_34 Depth 2
	v_lshlrev_b64 v[8:9], 2, v[6:7]
	v_add_co_u32_e32 v8, vcc, s38, v8
	v_addc_co_u32_e32 v9, vcc, v13, v9, vcc
	global_load_dword v10, v[8:9], off
	v_lshlrev_b64 v[8:9], 4, v[6:7]
	v_add_co_u32_e32 v8, vcc, s40, v8
	v_addc_co_u32_e32 v9, vcc, v14, v9, vcc
	global_load_dwordx4 v[16:19], v[8:9], off
	s_mov_b64 s[10:11], 0
	s_waitcnt vmcnt(1)
	v_subrev_u32_e32 v15, s47, v10
	v_mul_lo_u32 v12, v15, s22
	s_waitcnt vmcnt(0)
	v_mul_f64 v[8:9], v[18:19], -v[2:3]
	v_mul_f64 v[10:11], v[4:5], v[18:19]
	v_fmac_f64_e32 v[8:9], v[4:5], v[16:17]
	v_fmac_f64_e32 v[10:11], v[2:3], v[16:17]
	v_and_b32_e32 v16, 0x7ff, v12
	s_branch .LBB248_34
.LBB248_33:                             ;   in Loop: Header=BB248_34 Depth=2
	s_or_b64 exec, exec, s[12:13]
	s_xor_b64 s[12:13], s[14:15], -1
	s_and_b64 s[12:13], exec, s[12:13]
	s_or_b64 s[10:11], s[12:13], s[10:11]
	s_andn2_b64 exec, exec, s[10:11]
	s_cbranch_execz .LBB248_31
.LBB248_34:                             ;   Parent Loop BB248_32 Depth=1
                                        ; =>  This Inner Loop Header: Depth=2
	v_lshl_add_u32 v12, v16, 2, 0
	ds_read_b32 v17, v12
                                        ; implicit-def: $sgpr14_sgpr15
	s_waitcnt lgkmcnt(0)
	v_cmp_ne_u32_e32 vcc, v17, v15
	s_and_saveexec_b64 s[12:13], vcc
	s_xor_b64 s[12:13], exec, s[12:13]
	s_cbranch_execz .LBB248_42
; %bb.35:                               ;   in Loop: Header=BB248_34 Depth=2
	v_cmp_ne_u32_e32 vcc, s33, v17
                                        ; implicit-def: $sgpr14_sgpr15
	s_and_saveexec_b64 s[16:17], vcc
	s_xor_b64 s[16:17], exec, s[16:17]
; %bb.36:                               ;   in Loop: Header=BB248_34 Depth=2
	v_add_u32_e32 v12, 1, v16
	v_and_b32_e32 v16, 0x7ff, v12
	s_mov_b64 s[14:15], -1
                                        ; implicit-def: $vgpr12
; %bb.37:                               ;   in Loop: Header=BB248_34 Depth=2
	s_andn2_saveexec_b64 s[16:17], s[16:17]
	s_cbranch_execz .LBB248_41
; %bb.38:                               ;   in Loop: Header=BB248_34 Depth=2
	v_mov_b32_e32 v17, s33
	ds_cmpst_rtn_b32 v17, v12, v17, v15
	s_mov_b64 s[20:21], -1
	s_waitcnt lgkmcnt(0)
	v_cmp_eq_u32_e32 vcc, s33, v17
	s_and_saveexec_b64 s[18:19], vcc
	s_cbranch_execz .LBB248_40
; %bb.39:                               ;   in Loop: Header=BB248_34 Depth=2
	v_mad_u64_u32 v[18:19], s[20:21], v16, 12, v[12:13]
	ds_add_f64 v18, v[8:9] offset:8192
	ds_add_f64 v18, v[10:11] offset:8200
	s_xor_b64 s[20:21], exec, -1
.LBB248_40:                             ;   in Loop: Header=BB248_34 Depth=2
	s_or_b64 exec, exec, s[18:19]
	s_andn2_b64 s[14:15], s[14:15], exec
	s_and_b64 s[18:19], s[20:21], exec
	s_or_b64 s[14:15], s[14:15], s[18:19]
.LBB248_41:                             ;   in Loop: Header=BB248_34 Depth=2
	s_or_b64 exec, exec, s[16:17]
	s_and_b64 s[14:15], s[14:15], exec
                                        ; implicit-def: $vgpr12
.LBB248_42:                             ;   in Loop: Header=BB248_34 Depth=2
	s_andn2_saveexec_b64 s[12:13], s[12:13]
	s_cbranch_execz .LBB248_33
; %bb.43:                               ;   in Loop: Header=BB248_34 Depth=2
	v_mad_u64_u32 v[18:19], s[16:17], v16, 12, v[12:13]
	ds_add_f64 v18, v[8:9] offset:8192
	ds_add_f64 v18, v[10:11] offset:8200
	s_andn2_b64 s[14:15], s[14:15], exec
	s_branch .LBB248_33
.LBB248_44:
	s_or_b64 exec, exec, s[6:7]
.LBB248_45:
	s_waitcnt vmcnt(0)
	v_mbcnt_lo_u32_b32 v2, -1, 0
	v_mbcnt_hi_u32_b32 v2, -1, v2
	v_lshrrev_b32_e32 v5, 4, v0
	v_sub_u32_e32 v2, 63, v2
	v_and_b32_e32 v5, 60, v5
	s_movk_i32 s4, 0x3ff
	s_movk_i32 s8, 0x7f
	;; [unrolled: 1-line block ×15, first 2 shown]
	v_mov_b32_e32 v4, 0
	v_lshrrev_b64 v[2:3], v2, -1
	v_add_u32_e32 v5, 0, v5
	v_cmp_eq_u32_e64 s[4:5], s4, v0
	v_cmp_lt_u32_e64 s[6:7], 63, v0
	v_cmp_lt_u32_e64 s[8:9], s8, v0
	;; [unrolled: 1-line block ×15, first 2 shown]
	s_mov_b64 s[38:39], 0
	v_mov_b32_e32 v6, 0
	s_waitcnt lgkmcnt(0)
	s_barrier
	s_branch .LBB248_47
.LBB248_46:                             ;   in Loop: Header=BB248_47 Depth=1
	s_or_b64 exec, exec, s[40:41]
	s_waitcnt lgkmcnt(0)
	s_barrier
	ds_read_b32 v7, v4 offset:41020
	v_add_co_u32_e32 v25, vcc, 0x400, v25
	s_xor_b64 s[40:41], vcc, -1
	s_and_b64 s[40:41], exec, s[40:41]
	v_add_u32_e32 v1, 0x4000, v1
	s_waitcnt lgkmcnt(0)
	v_add_u32_e32 v6, v7, v6
	s_or_b64 s[38:39], s[40:41], s[38:39]
	v_add_u32_e32 v26, 0x1000, v26
	s_andn2_b64 exec, exec, s[38:39]
	s_cbranch_execz .LBB248_81
.LBB248_47:                             ; =>This Inner Loop Header: Depth=1
	ds_read2_b64 v[10:13], v1 offset1:1
	ds_read_b32 v8, v26
	s_waitcnt lgkmcnt(1)
	buffer_store_dword v13, off, s[0:3], 0 offset:12
	buffer_store_dword v12, off, s[0:3], 0 offset:8
	;; [unrolled: 1-line block ×3, first 2 shown]
	buffer_store_dword v10, off, s[0:3], 0
	s_waitcnt lgkmcnt(0)
	v_cmp_gt_i32_e32 vcc, s33, v8
	v_and_b32_e32 v9, vcc_lo, v2
	s_bcnt1_i32_b64 s40, vcc
	v_and_b32_e32 v7, vcc_hi, v3
	v_bcnt_u32_b32 v9, v9, 0
	v_bcnt_u32_b32 v7, v7, v9
	v_mov_b32_e32 v9, s40
	s_barrier
	ds_write_b32 v5, v9 offset:40960
	s_waitcnt lgkmcnt(0)
	s_barrier
	s_and_saveexec_b64 s[40:41], s[6:7]
	s_cbranch_execnz .LBB248_64
; %bb.48:                               ;   in Loop: Header=BB248_47 Depth=1
	s_or_b64 exec, exec, s[40:41]
	s_and_saveexec_b64 s[40:41], s[8:9]
	s_cbranch_execnz .LBB248_65
.LBB248_49:                             ;   in Loop: Header=BB248_47 Depth=1
	s_or_b64 exec, exec, s[40:41]
	s_and_saveexec_b64 s[40:41], s[10:11]
	s_cbranch_execnz .LBB248_66
.LBB248_50:                             ;   in Loop: Header=BB248_47 Depth=1
	s_or_b64 exec, exec, s[40:41]
	s_and_saveexec_b64 s[40:41], s[12:13]
	s_cbranch_execnz .LBB248_67
.LBB248_51:                             ;   in Loop: Header=BB248_47 Depth=1
	s_or_b64 exec, exec, s[40:41]
	s_and_saveexec_b64 s[40:41], s[14:15]
	s_cbranch_execnz .LBB248_68
.LBB248_52:                             ;   in Loop: Header=BB248_47 Depth=1
	s_or_b64 exec, exec, s[40:41]
	s_and_saveexec_b64 s[40:41], s[16:17]
	s_cbranch_execnz .LBB248_69
.LBB248_53:                             ;   in Loop: Header=BB248_47 Depth=1
	s_or_b64 exec, exec, s[40:41]
	s_and_saveexec_b64 s[40:41], s[18:19]
	s_cbranch_execnz .LBB248_70
.LBB248_54:                             ;   in Loop: Header=BB248_47 Depth=1
	s_or_b64 exec, exec, s[40:41]
	s_and_saveexec_b64 s[40:41], s[20:21]
	s_cbranch_execnz .LBB248_71
.LBB248_55:                             ;   in Loop: Header=BB248_47 Depth=1
	s_or_b64 exec, exec, s[40:41]
	s_and_saveexec_b64 s[40:41], s[22:23]
	s_cbranch_execnz .LBB248_72
.LBB248_56:                             ;   in Loop: Header=BB248_47 Depth=1
	s_or_b64 exec, exec, s[40:41]
	s_and_saveexec_b64 s[40:41], s[24:25]
	s_cbranch_execnz .LBB248_73
.LBB248_57:                             ;   in Loop: Header=BB248_47 Depth=1
	s_or_b64 exec, exec, s[40:41]
	s_and_saveexec_b64 s[40:41], s[26:27]
	s_cbranch_execnz .LBB248_74
.LBB248_58:                             ;   in Loop: Header=BB248_47 Depth=1
	s_or_b64 exec, exec, s[40:41]
	s_and_saveexec_b64 s[40:41], s[28:29]
	s_cbranch_execnz .LBB248_75
.LBB248_59:                             ;   in Loop: Header=BB248_47 Depth=1
	s_or_b64 exec, exec, s[40:41]
	s_and_saveexec_b64 s[40:41], s[30:31]
	s_cbranch_execnz .LBB248_76
.LBB248_60:                             ;   in Loop: Header=BB248_47 Depth=1
	s_or_b64 exec, exec, s[40:41]
	s_and_saveexec_b64 s[40:41], s[34:35]
	s_cbranch_execnz .LBB248_77
.LBB248_61:                             ;   in Loop: Header=BB248_47 Depth=1
	s_or_b64 exec, exec, s[40:41]
	s_and_saveexec_b64 s[40:41], s[36:37]
	s_cbranch_execnz .LBB248_78
.LBB248_62:                             ;   in Loop: Header=BB248_47 Depth=1
	s_or_b64 exec, exec, s[40:41]
	s_and_saveexec_b64 s[40:41], vcc
	s_cbranch_execnz .LBB248_79
.LBB248_63:                             ;   in Loop: Header=BB248_47 Depth=1
	s_or_b64 exec, exec, s[40:41]
	s_and_saveexec_b64 s[40:41], s[4:5]
	s_cbranch_execz .LBB248_46
	s_branch .LBB248_80
.LBB248_64:                             ;   in Loop: Header=BB248_47 Depth=1
	ds_read_b32 v9, v4 offset:40960
	s_waitcnt lgkmcnt(0)
	v_add_u32_e32 v7, v9, v7
	s_or_b64 exec, exec, s[40:41]
	s_and_saveexec_b64 s[40:41], s[8:9]
	s_cbranch_execz .LBB248_49
.LBB248_65:                             ;   in Loop: Header=BB248_47 Depth=1
	ds_read_b32 v9, v4 offset:40964
	s_waitcnt lgkmcnt(0)
	v_add_u32_e32 v7, v9, v7
	s_or_b64 exec, exec, s[40:41]
	s_and_saveexec_b64 s[40:41], s[10:11]
	s_cbranch_execz .LBB248_50
.LBB248_66:                             ;   in Loop: Header=BB248_47 Depth=1
	ds_read_b32 v9, v4 offset:40968
	s_waitcnt lgkmcnt(0)
	v_add_u32_e32 v7, v9, v7
	s_or_b64 exec, exec, s[40:41]
	s_and_saveexec_b64 s[40:41], s[12:13]
	s_cbranch_execz .LBB248_51
.LBB248_67:                             ;   in Loop: Header=BB248_47 Depth=1
	ds_read_b32 v9, v4 offset:40972
	s_waitcnt lgkmcnt(0)
	v_add_u32_e32 v7, v9, v7
	s_or_b64 exec, exec, s[40:41]
	s_and_saveexec_b64 s[40:41], s[14:15]
	s_cbranch_execz .LBB248_52
.LBB248_68:                             ;   in Loop: Header=BB248_47 Depth=1
	ds_read_b32 v9, v4 offset:40976
	s_waitcnt lgkmcnt(0)
	v_add_u32_e32 v7, v9, v7
	s_or_b64 exec, exec, s[40:41]
	s_and_saveexec_b64 s[40:41], s[16:17]
	s_cbranch_execz .LBB248_53
.LBB248_69:                             ;   in Loop: Header=BB248_47 Depth=1
	ds_read_b32 v9, v4 offset:40980
	s_waitcnt lgkmcnt(0)
	v_add_u32_e32 v7, v9, v7
	s_or_b64 exec, exec, s[40:41]
	s_and_saveexec_b64 s[40:41], s[18:19]
	s_cbranch_execz .LBB248_54
.LBB248_70:                             ;   in Loop: Header=BB248_47 Depth=1
	ds_read_b32 v9, v4 offset:40984
	s_waitcnt lgkmcnt(0)
	v_add_u32_e32 v7, v9, v7
	s_or_b64 exec, exec, s[40:41]
	s_and_saveexec_b64 s[40:41], s[20:21]
	s_cbranch_execz .LBB248_55
.LBB248_71:                             ;   in Loop: Header=BB248_47 Depth=1
	ds_read_b32 v9, v4 offset:40988
	s_waitcnt lgkmcnt(0)
	v_add_u32_e32 v7, v9, v7
	s_or_b64 exec, exec, s[40:41]
	s_and_saveexec_b64 s[40:41], s[22:23]
	s_cbranch_execz .LBB248_56
.LBB248_72:                             ;   in Loop: Header=BB248_47 Depth=1
	ds_read_b32 v9, v4 offset:40992
	s_waitcnt lgkmcnt(0)
	v_add_u32_e32 v7, v9, v7
	s_or_b64 exec, exec, s[40:41]
	s_and_saveexec_b64 s[40:41], s[24:25]
	s_cbranch_execz .LBB248_57
.LBB248_73:                             ;   in Loop: Header=BB248_47 Depth=1
	ds_read_b32 v9, v4 offset:40996
	s_waitcnt lgkmcnt(0)
	v_add_u32_e32 v7, v9, v7
	s_or_b64 exec, exec, s[40:41]
	s_and_saveexec_b64 s[40:41], s[26:27]
	s_cbranch_execz .LBB248_58
.LBB248_74:                             ;   in Loop: Header=BB248_47 Depth=1
	ds_read_b32 v9, v4 offset:41000
	s_waitcnt lgkmcnt(0)
	v_add_u32_e32 v7, v9, v7
	s_or_b64 exec, exec, s[40:41]
	s_and_saveexec_b64 s[40:41], s[28:29]
	s_cbranch_execz .LBB248_59
.LBB248_75:                             ;   in Loop: Header=BB248_47 Depth=1
	ds_read_b32 v9, v4 offset:41004
	s_waitcnt lgkmcnt(0)
	v_add_u32_e32 v7, v9, v7
	s_or_b64 exec, exec, s[40:41]
	s_and_saveexec_b64 s[40:41], s[30:31]
	s_cbranch_execz .LBB248_60
.LBB248_76:                             ;   in Loop: Header=BB248_47 Depth=1
	ds_read_b32 v9, v4 offset:41008
	s_waitcnt lgkmcnt(0)
	v_add_u32_e32 v7, v9, v7
	s_or_b64 exec, exec, s[40:41]
	s_and_saveexec_b64 s[40:41], s[34:35]
	s_cbranch_execz .LBB248_61
.LBB248_77:                             ;   in Loop: Header=BB248_47 Depth=1
	ds_read_b32 v9, v4 offset:41012
	s_waitcnt lgkmcnt(0)
	v_add_u32_e32 v7, v9, v7
	s_or_b64 exec, exec, s[40:41]
	s_and_saveexec_b64 s[40:41], s[36:37]
	s_cbranch_execz .LBB248_62
.LBB248_78:                             ;   in Loop: Header=BB248_47 Depth=1
	ds_read_b32 v9, v4 offset:41016
	s_waitcnt lgkmcnt(0)
	v_add_u32_e32 v7, v9, v7
	s_or_b64 exec, exec, s[40:41]
	s_and_saveexec_b64 s[40:41], vcc
	s_cbranch_execz .LBB248_63
.LBB248_79:                             ;   in Loop: Header=BB248_47 Depth=1
	buffer_load_dword v10, off, s[0:3], 0
	buffer_load_dword v11, off, s[0:3], 0 offset:4
	buffer_load_dword v12, off, s[0:3], 0 offset:8
	;; [unrolled: 1-line block ×3, first 2 shown]
	v_add3_u32 v9, v6, -1, v7
	v_lshl_add_u32 v14, v9, 2, 0
	v_lshl_add_u32 v9, v9, 4, 0
	v_add_u32_e32 v9, 0x2000, v9
	ds_write_b32 v14, v8
	s_waitcnt vmcnt(0)
	ds_write2_b64 v9, v[10:11], v[12:13] offset1:1
	s_or_b64 exec, exec, s[40:41]
	s_and_saveexec_b64 s[40:41], s[4:5]
	s_cbranch_execz .LBB248_46
.LBB248_80:                             ;   in Loop: Header=BB248_47 Depth=1
	ds_write_b32 v4, v7 offset:41020
	s_branch .LBB248_46
.LBB248_81:
	s_or_b64 exec, exec, s[38:39]
	s_ashr_i32 s53, s52, 31
	s_lshl_b64 s[4:5], s[52:53], 3
	s_add_u32 s4, s42, s4
	s_addc_u32 s5, s43, s5
	s_load_dwordx4 s[4:7], s[4:5], 0x0
	s_waitcnt lgkmcnt(0)
	s_sub_i32 s12, s6, s4
	v_cmp_gt_i32_e32 vcc, s12, v0
	s_and_saveexec_b64 s[8:9], vcc
	s_cbranch_execz .LBB248_91
; %bb.82:
	s_sub_u32 s8, s4, s46
	s_subb_u32 s9, s5, 0
	s_and_b32 s13, s12, 7
	s_sub_i32 s4, s4, s6
	s_cmp_lt_u32 s4, -7
	s_cselect_b64 s[4:5], -1, 0
	s_and_b32 s14, s12, -8
	s_cmp_lg_u32 s13, 0
	v_cndmask_b32_e64 v1, 0, 1, s[4:5]
	s_cselect_b64 s[6:7], -1, 0
	v_cmp_ne_u32_e64 s[4:5], 1, v1
	v_cndmask_b32_e64 v1, 0, 1, s[6:7]
	s_mov_b64 s[10:11], 0
	s_movk_i32 s15, 0x2000
	v_cmp_ne_u32_e64 s[6:7], 1, v1
	v_mov_b32_e32 v1, s49
	s_branch .LBB248_84
.LBB248_83:                             ;   in Loop: Header=BB248_84 Depth=1
	v_mul_lo_u32 v6, v0, 12
	v_add3_u32 v8, v4, v6, s15
	s_waitcnt lgkmcnt(0)
	v_add_u32_e32 v6, s46, v5
	v_lshlrev_b64 v[4:5], 2, v[2:3]
	v_add_co_u32_e32 v4, vcc, s48, v4
	v_addc_co_u32_e32 v5, vcc, v1, v5, vcc
	global_store_dword v[4:5], v6, off
	v_lshlrev_b64 v[6:7], 4, v[2:3]
	ds_read2_b64 v[2:5], v8 offset1:1
	v_mov_b32_e32 v9, s51
	v_add_co_u32_e32 v6, vcc, s50, v6
	v_addc_co_u32_e32 v7, vcc, v9, v7, vcc
	v_add_u32_e32 v0, 0x400, v0
	v_cmp_le_i32_e32 vcc, s12, v0
	s_or_b64 s[10:11], vcc, s[10:11]
	s_waitcnt lgkmcnt(0)
	global_store_dwordx4 v[6:7], v[2:5], off
	s_andn2_b64 exec, exec, s[10:11]
	s_cbranch_execz .LBB248_91
.LBB248_84:                             ; =>This Loop Header: Depth=1
                                        ;     Child Loop BB248_86 Depth 2
                                        ;     Child Loop BB248_90 Depth 2
	v_lshl_add_u32 v4, v0, 2, 0
	ds_read_b32 v5, v4
	s_and_b64 vcc, exec, s[4:5]
	v_pk_mov_b32 v[2:3], s[8:9], s[8:9] op_sel:[0,1]
	s_mov_b32 s16, 0
	s_cbranch_vccnz .LBB248_88
; %bb.85:                               ;   in Loop: Header=BB248_84 Depth=1
	s_mov_b32 s17, 0
	v_pk_mov_b32 v[2:3], s[8:9], s[8:9] op_sel:[0,1]
.LBB248_86:                             ;   Parent Loop BB248_84 Depth=1
                                        ; =>  This Inner Loop Header: Depth=2
	v_mov_b32_e32 v12, s17
	ds_read2_b32 v[6:7], v12 offset1:1
	ds_read2_b32 v[8:9], v12 offset0:2 offset1:3
	ds_read2_b32 v[10:11], v12 offset0:4 offset1:5
	;; [unrolled: 1-line block ×3, first 2 shown]
	s_add_i32 s16, s16, 8
	s_waitcnt lgkmcnt(3)
	v_cmp_gt_i32_e32 vcc, v5, v6
	v_cndmask_b32_e64 v6, 0, 1, vcc
	v_cmp_gt_i32_e32 vcc, v5, v7
	v_cndmask_b32_e64 v7, 0, 1, vcc
	s_waitcnt lgkmcnt(2)
	v_cmp_gt_i32_e32 vcc, v5, v8
	v_cndmask_b32_e64 v8, 0, 1, vcc
	v_cmp_gt_i32_e32 vcc, v5, v9
	v_cndmask_b32_e64 v9, 0, 1, vcc
	;; [unrolled: 5-line block ×4, first 2 shown]
	v_add_co_u32_e32 v2, vcc, v2, v6
	v_addc_co_u32_e32 v3, vcc, 0, v3, vcc
	v_add_co_u32_e32 v2, vcc, v2, v7
	v_addc_co_u32_e32 v3, vcc, 0, v3, vcc
	;; [unrolled: 2-line block ×7, first 2 shown]
	s_add_i32 s17, s17, 32
	v_add_co_u32_e32 v2, vcc, v2, v13
	s_cmp_eq_u32 s14, s16
	v_addc_co_u32_e32 v3, vcc, 0, v3, vcc
	s_cbranch_scc0 .LBB248_86
; %bb.87:                               ;   in Loop: Header=BB248_84 Depth=1
	s_mov_b32 s16, s14
.LBB248_88:                             ;   in Loop: Header=BB248_84 Depth=1
	s_and_b64 vcc, exec, s[6:7]
	s_cbranch_vccnz .LBB248_83
; %bb.89:                               ;   in Loop: Header=BB248_84 Depth=1
	s_lshl_b32 s16, s16, 2
	s_add_i32 s16, s16, 0
	s_mov_b32 s17, s13
.LBB248_90:                             ;   Parent Loop BB248_84 Depth=1
                                        ; =>  This Inner Loop Header: Depth=2
	v_mov_b32_e32 v6, s16
	ds_read_b32 v6, v6
	s_add_i32 s16, s16, 4
	s_add_i32 s17, s17, -1
	s_cmp_lg_u32 s17, 0
	s_waitcnt lgkmcnt(0)
	v_cmp_gt_i32_e32 vcc, v5, v6
	v_cndmask_b32_e64 v6, 0, 1, vcc
	v_add_co_u32_e32 v2, vcc, v2, v6
	v_addc_co_u32_e32 v3, vcc, 0, v3, vcc
	s_cbranch_scc1 .LBB248_90
	s_branch .LBB248_83
.LBB248_91:
	s_endpgm
	.section	.rodata,"a",@progbits
	.p2align	6, 0x0
	.amdhsa_kernel _ZN9rocsparseL26csrgemm_fill_block_per_rowILj1024ELj32ELj2048ELj137ELj64Eli21rocsparse_complex_numIdEEEvT5_PKS3_S5_NS_24const_host_device_scalarIT6_EEPKT4_S5_PKS7_SB_S5_SD_S8_SB_S5_SD_SB_PS3_PS7_21rocsparse_index_base_SG_SG_SG_bbb
		.amdhsa_group_segment_fixed_size 0
		.amdhsa_private_segment_fixed_size 40
		.amdhsa_kernarg_size 172
		.amdhsa_user_sgpr_count 8
		.amdhsa_user_sgpr_private_segment_buffer 1
		.amdhsa_user_sgpr_dispatch_ptr 0
		.amdhsa_user_sgpr_queue_ptr 0
		.amdhsa_user_sgpr_kernarg_segment_ptr 1
		.amdhsa_user_sgpr_dispatch_id 0
		.amdhsa_user_sgpr_flat_scratch_init 1
		.amdhsa_user_sgpr_kernarg_preload_length 0
		.amdhsa_user_sgpr_kernarg_preload_offset 0
		.amdhsa_user_sgpr_private_segment_size 0
		.amdhsa_uses_dynamic_stack 0
		.amdhsa_system_sgpr_private_segment_wavefront_offset 1
		.amdhsa_system_sgpr_workgroup_id_x 1
		.amdhsa_system_sgpr_workgroup_id_y 0
		.amdhsa_system_sgpr_workgroup_id_z 0
		.amdhsa_system_sgpr_workgroup_info 0
		.amdhsa_system_vgpr_workitem_id 0
		.amdhsa_next_free_vgpr 38
		.amdhsa_next_free_sgpr 60
		.amdhsa_accum_offset 40
		.amdhsa_reserve_vcc 1
		.amdhsa_reserve_flat_scratch 1
		.amdhsa_float_round_mode_32 0
		.amdhsa_float_round_mode_16_64 0
		.amdhsa_float_denorm_mode_32 3
		.amdhsa_float_denorm_mode_16_64 3
		.amdhsa_dx10_clamp 1
		.amdhsa_ieee_mode 1
		.amdhsa_fp16_overflow 0
		.amdhsa_tg_split 0
		.amdhsa_exception_fp_ieee_invalid_op 0
		.amdhsa_exception_fp_denorm_src 0
		.amdhsa_exception_fp_ieee_div_zero 0
		.amdhsa_exception_fp_ieee_overflow 0
		.amdhsa_exception_fp_ieee_underflow 0
		.amdhsa_exception_fp_ieee_inexact 0
		.amdhsa_exception_int_div_zero 0
	.end_amdhsa_kernel
	.section	.text._ZN9rocsparseL26csrgemm_fill_block_per_rowILj1024ELj32ELj2048ELj137ELj64Eli21rocsparse_complex_numIdEEEvT5_PKS3_S5_NS_24const_host_device_scalarIT6_EEPKT4_S5_PKS7_SB_S5_SD_S8_SB_S5_SD_SB_PS3_PS7_21rocsparse_index_base_SG_SG_SG_bbb,"axG",@progbits,_ZN9rocsparseL26csrgemm_fill_block_per_rowILj1024ELj32ELj2048ELj137ELj64Eli21rocsparse_complex_numIdEEEvT5_PKS3_S5_NS_24const_host_device_scalarIT6_EEPKT4_S5_PKS7_SB_S5_SD_S8_SB_S5_SD_SB_PS3_PS7_21rocsparse_index_base_SG_SG_SG_bbb,comdat
.Lfunc_end248:
	.size	_ZN9rocsparseL26csrgemm_fill_block_per_rowILj1024ELj32ELj2048ELj137ELj64Eli21rocsparse_complex_numIdEEEvT5_PKS3_S5_NS_24const_host_device_scalarIT6_EEPKT4_S5_PKS7_SB_S5_SD_S8_SB_S5_SD_SB_PS3_PS7_21rocsparse_index_base_SG_SG_SG_bbb, .Lfunc_end248-_ZN9rocsparseL26csrgemm_fill_block_per_rowILj1024ELj32ELj2048ELj137ELj64Eli21rocsparse_complex_numIdEEEvT5_PKS3_S5_NS_24const_host_device_scalarIT6_EEPKT4_S5_PKS7_SB_S5_SD_S8_SB_S5_SD_SB_PS3_PS7_21rocsparse_index_base_SG_SG_SG_bbb
                                        ; -- End function
	.section	.AMDGPU.csdata,"",@progbits
; Kernel info:
; codeLenInByte = 3528
; NumSgprs: 66
; NumVgprs: 38
; NumAgprs: 0
; TotalNumVgprs: 38
; ScratchSize: 40
; MemoryBound: 0
; FloatMode: 240
; IeeeMode: 1
; LDSByteSize: 0 bytes/workgroup (compile time only)
; SGPRBlocks: 8
; VGPRBlocks: 4
; NumSGPRsForWavesPerEU: 66
; NumVGPRsForWavesPerEU: 38
; AccumOffset: 40
; Occupancy: 8
; WaveLimiterHint : 1
; COMPUTE_PGM_RSRC2:SCRATCH_EN: 1
; COMPUTE_PGM_RSRC2:USER_SGPR: 8
; COMPUTE_PGM_RSRC2:TRAP_HANDLER: 0
; COMPUTE_PGM_RSRC2:TGID_X_EN: 1
; COMPUTE_PGM_RSRC2:TGID_Y_EN: 0
; COMPUTE_PGM_RSRC2:TGID_Z_EN: 0
; COMPUTE_PGM_RSRC2:TIDIG_COMP_CNT: 0
; COMPUTE_PGM_RSRC3_GFX90A:ACCUM_OFFSET: 9
; COMPUTE_PGM_RSRC3_GFX90A:TG_SPLIT: 0
	.section	.text._ZN9rocsparseL26csrgemm_fill_block_per_rowILj1024ELj64ELj4096ELj137ELj32Eli21rocsparse_complex_numIdEEEvT5_PKS3_S5_NS_24const_host_device_scalarIT6_EEPKT4_S5_PKS7_SB_S5_SD_S8_SB_S5_SD_SB_PS3_PS7_21rocsparse_index_base_SG_SG_SG_bbb,"axG",@progbits,_ZN9rocsparseL26csrgemm_fill_block_per_rowILj1024ELj64ELj4096ELj137ELj32Eli21rocsparse_complex_numIdEEEvT5_PKS3_S5_NS_24const_host_device_scalarIT6_EEPKT4_S5_PKS7_SB_S5_SD_S8_SB_S5_SD_SB_PS3_PS7_21rocsparse_index_base_SG_SG_SG_bbb,comdat
	.globl	_ZN9rocsparseL26csrgemm_fill_block_per_rowILj1024ELj64ELj4096ELj137ELj32Eli21rocsparse_complex_numIdEEEvT5_PKS3_S5_NS_24const_host_device_scalarIT6_EEPKT4_S5_PKS7_SB_S5_SD_S8_SB_S5_SD_SB_PS3_PS7_21rocsparse_index_base_SG_SG_SG_bbb ; -- Begin function _ZN9rocsparseL26csrgemm_fill_block_per_rowILj1024ELj64ELj4096ELj137ELj32Eli21rocsparse_complex_numIdEEEvT5_PKS3_S5_NS_24const_host_device_scalarIT6_EEPKT4_S5_PKS7_SB_S5_SD_S8_SB_S5_SD_SB_PS3_PS7_21rocsparse_index_base_SG_SG_SG_bbb
	.p2align	8
	.type	_ZN9rocsparseL26csrgemm_fill_block_per_rowILj1024ELj64ELj4096ELj137ELj32Eli21rocsparse_complex_numIdEEEvT5_PKS3_S5_NS_24const_host_device_scalarIT6_EEPKT4_S5_PKS7_SB_S5_SD_S8_SB_S5_SD_SB_PS3_PS7_21rocsparse_index_base_SG_SG_SG_bbb,@function
_ZN9rocsparseL26csrgemm_fill_block_per_rowILj1024ELj64ELj4096ELj137ELj32Eli21rocsparse_complex_numIdEEEvT5_PKS3_S5_NS_24const_host_device_scalarIT6_EEPKT4_S5_PKS7_SB_S5_SD_S8_SB_S5_SD_SB_PS3_PS7_21rocsparse_index_base_SG_SG_SG_bbb: ; @_ZN9rocsparseL26csrgemm_fill_block_per_rowILj1024ELj64ELj4096ELj137ELj32Eli21rocsparse_complex_numIdEEEvT5_PKS3_S5_NS_24const_host_device_scalarIT6_EEPKT4_S5_PKS7_SB_S5_SD_S8_SB_S5_SD_SB_PS3_PS7_21rocsparse_index_base_SG_SG_SG_bbb
; %bb.0:
	s_add_u32 flat_scratch_lo, s6, s9
	s_addc_u32 flat_scratch_hi, s7, 0
	s_load_dwordx4 s[12:15], s[4:5], 0x18
	s_load_dwordx4 s[28:31], s[4:5], 0x58
	s_add_u32 s0, s0, s9
	s_load_dword s9, s[4:5], 0xa8
	s_load_dwordx4 s[72:75], s[4:5], 0x98
	s_addc_u32 s1, s1, 0
	s_waitcnt lgkmcnt(0)
	v_mov_b32_e32 v1, s13
	buffer_store_dword v1, off, s[0:3], 0 offset:20
	s_bitcmp1_b32 s9, 0
	s_cselect_b64 s[36:37], -1, 0
	s_bitcmp1_b32 s9, 16
	v_mov_b32_e32 v1, s12
	s_cselect_b64 s[6:7], -1, 0
	buffer_store_dword v1, off, s[0:3], 0 offset:16
	v_mov_b32_e32 v1, s29
	buffer_store_dword v1, off, s[0:3], 0 offset:28
	v_mov_b32_e32 v1, s28
	s_xor_b64 s[10:11], s[6:7], -1
	buffer_store_dword v1, off, s[0:3], 0 offset:24
	v_pk_mov_b32 v[2:3], 0, 0
	v_cndmask_b32_e64 v1, 0, 1, s[10:11]
	s_bitcmp0_b32 s9, 0
	v_cmp_ne_u32_e64 s[10:11], 1, v1
	v_pk_mov_b32 v[6:7], v[2:3], v[2:3] op_sel:[0,1]
	v_pk_mov_b32 v[8:9], v[2:3], v[2:3] op_sel:[0,1]
	s_cbranch_scc1 .LBB249_3
; %bb.1:
	s_mov_b64 s[16:17], src_private_base
	s_and_b64 s[18:19], s[6:7], exec
	s_cselect_b32 s16, s17, s13
	v_mov_b32_e32 v1, 16
	v_mov_b32_e32 v4, s12
	v_cndmask_b32_e64 v4, v4, v1, s[6:7]
	v_mov_b32_e32 v5, s16
	flat_load_dwordx2 v[6:7], v[4:5]
	s_and_b64 vcc, exec, s[10:11]
	v_pk_mov_b32 v[8:9], s[14:15], s[14:15] op_sel:[0,1]
	s_cbranch_vccnz .LBB249_3
; %bb.2:
	v_pk_mov_b32 v[4:5], s[12:13], s[12:13] op_sel:[0,1]
	flat_load_dwordx2 v[8:9], v[4:5] offset:8
.LBB249_3:
	s_load_dwordx4 s[12:15], s[4:5], 0x88
                                        ; implicit-def: $vgpr38 : SGPR spill to VGPR lane
	s_bitcmp1_b32 s9, 8
	s_cselect_b64 s[34:35], -1, 0
	s_bfe_u32 s9, s9, 0x10008
	s_mov_b64 s[38:39], 0
	s_waitcnt lgkmcnt(0)
	v_writelane_b32 v38, s12, 0
	v_writelane_b32 v38, s13, 1
	;; [unrolled: 1-line block ×4, first 2 shown]
	s_load_dwordx8 s[12:19], s[4:5], 0x68
	s_cmp_eq_u32 s9, 0
	v_pk_mov_b32 v[4:5], v[2:3], v[2:3] op_sel:[0,1]
	s_waitcnt lgkmcnt(0)
	v_writelane_b32 v38, s12, 4
	v_writelane_b32 v38, s13, 5
	v_writelane_b32 v38, s14, 6
	v_writelane_b32 v38, s15, 7
	v_writelane_b32 v38, s16, 8
	v_writelane_b32 v38, s17, 9
	v_writelane_b32 v38, s18, 10
	v_writelane_b32 v38, s19, 11
	s_load_dwordx4 s[20:23], s[4:5], 0x48
	s_load_dwordx4 s[24:27], s[4:5], 0x8
	s_load_dwordx8 s[12:19], s[4:5], 0x28
	s_cbranch_scc1 .LBB249_6
; %bb.4:
	s_mov_b64 s[40:41], src_private_base
	s_and_b64 s[42:43], s[6:7], exec
	s_cselect_b32 s9, s41, s29
	v_mov_b32_e32 v1, 24
	v_mov_b32_e32 v2, s28
	v_cndmask_b32_e64 v2, v2, v1, s[6:7]
	v_mov_b32_e32 v3, s9
	flat_load_dwordx2 v[4:5], v[2:3]
	s_and_b64 vcc, exec, s[10:11]
	v_pk_mov_b32 v[2:3], s[30:31], s[30:31] op_sel:[0,1]
	s_cbranch_vccnz .LBB249_6
; %bb.5:
	v_pk_mov_b32 v[2:3], s[28:29], s[28:29] op_sel:[0,1]
	flat_load_dwordx2 v[2:3], v[2:3] offset:8
.LBB249_6:
	s_load_dword s33, s[4:5], 0x0
	s_mov_b32 s4, 0
	v_lshl_add_u32 v1, v0, 4, 0
	v_add_u32_e32 v1, 0x4000, v1
	v_or_b32_e32 v25, 0xfffffc00, v0
	v_lshl_add_u32 v26, v0, 2, 0
	s_mov_b32 s5, s4
	s_mov_b32 s6, s4
	;; [unrolled: 1-line block ×3, first 2 shown]
	s_waitcnt lgkmcnt(0)
	v_mov_b32_e32 v14, s33
	v_pk_mov_b32 v[10:11], s[4:5], s[4:5] op_sel:[0,1]
	v_pk_mov_b32 v[12:13], s[6:7], s[6:7] op_sel:[0,1]
	s_movk_i32 s4, 0xbff
	v_mov_b32_e32 v15, v26
	v_mov_b32_e32 v16, v25
	v_mov_b32_e32 v17, v1
.LBB249_7:                              ; =>This Inner Loop Header: Depth=1
	v_add_u32_e32 v16, 0x400, v16
	v_cmp_lt_u32_e32 vcc, s4, v16
	ds_write_b32 v15, v14
	ds_write2_b64 v17, v[10:11], v[12:13] offset1:1
	v_add_u32_e32 v17, 0x4000, v17
	s_or_b64 s[38:39], vcc, s[38:39]
	v_add_u32_e32 v15, 0x1000, v15
	s_andn2_b64 exec, exec, s[38:39]
	s_cbranch_execnz .LBB249_7
; %bb.8:
	s_or_b64 exec, exec, s[38:39]
	s_waitcnt lgkmcnt(0)
	s_barrier
	s_load_dword s4, s[24:25], 0x0
	s_mov_b32 s5, 0
	s_waitcnt lgkmcnt(0)
	s_add_i32 s4, s4, s8
	s_lshl_b64 s[4:5], s[4:5], 2
	s_add_u32 s4, s26, s4
	s_addc_u32 s5, s27, s5
	s_load_dword s4, s[4:5], 0x0
	s_and_b64 vcc, exec, s[36:37]
	s_waitcnt lgkmcnt(0)
	v_writelane_b32 v38, s4, 12
	v_writelane_b32 v38, s5, 13
	s_cbranch_vccz .LBB249_28
; %bb.9:
	v_readlane_b32 s4, v38, 12
	v_readlane_b32 s5, v38, 13
	s_mov_b32 s6, s4
	s_ashr_i32 s7, s4, 31
	v_writelane_b32 v38, s4, 12
	v_writelane_b32 v38, s5, 13
	s_lshl_b64 s[4:5], s[6:7], 3
	s_add_u32 s4, s12, s4
	s_addc_u32 s5, s13, s5
	s_load_dwordx4 s[8:11], s[4:5], 0x0
	v_lshrrev_b32_e32 v10, 6, v0
	v_subrev_co_u32_e32 v10, vcc, s72, v10
	v_subb_co_u32_e64 v11, s[6:7], 0, 0, vcc
	s_waitcnt lgkmcnt(0)
	s_sub_u32 s4, s10, s72
	v_mov_b32_e32 v12, s9
	v_add_co_u32_e32 v10, vcc, s8, v10
	s_subb_u32 s5, s11, 0
	v_addc_co_u32_e32 v11, vcc, v12, v11, vcc
	v_cmp_gt_i64_e32 vcc, s[4:5], v[10:11]
	s_and_saveexec_b64 s[6:7], vcc
	s_cbranch_execz .LBB249_27
; %bb.10:
	v_and_b32_e32 v12, 63, v0
	v_subrev_co_u32_e32 v27, vcc, s73, v12
	s_mov_b32 s10, 0
	v_subb_co_u32_e64 v28, s[8:9], 0, 0, vcc
	s_mov_b32 s40, s73
	s_mov_b64 s[8:9], 0
	v_mov_b32_e32 v29, s15
	v_mov_b32_e32 v30, s19
	;; [unrolled: 1-line block ×3, first 2 shown]
	s_movk_i32 s15, 0x89
	s_branch .LBB249_12
.LBB249_11:                             ;   in Loop: Header=BB249_12 Depth=1
	s_or_b64 exec, exec, s[10:11]
	v_add_co_u32_e32 v10, vcc, 16, v10
	v_addc_co_u32_e32 v11, vcc, 0, v11, vcc
	v_cmp_le_i64_e32 vcc, s[4:5], v[10:11]
	s_or_b64 s[8:9], vcc, s[8:9]
	s_andn2_b64 exec, exec, s[8:9]
	s_cbranch_execz .LBB249_27
.LBB249_12:                             ; =>This Loop Header: Depth=1
                                        ;     Child Loop BB249_15 Depth 2
                                        ;       Child Loop BB249_17 Depth 3
	v_lshlrev_b64 v[12:13], 2, v[10:11]
	v_add_co_u32_e32 v12, vcc, s14, v12
	v_addc_co_u32_e32 v13, vcc, v29, v13, vcc
	global_load_dword v12, v[12:13], off
	s_waitcnt vmcnt(0)
	v_subrev_u32_e32 v12, s72, v12
	v_ashrrev_i32_e32 v13, 31, v12
	v_lshlrev_b64 v[12:13], 3, v[12:13]
	v_add_co_u32_e32 v12, vcc, s18, v12
	v_addc_co_u32_e32 v13, vcc, v30, v13, vcc
	global_load_dwordx4 v[14:17], v[12:13], off
	s_waitcnt vmcnt(0)
	v_subrev_co_u32_e32 v12, vcc, s40, v16
	v_subb_co_u32_e32 v13, vcc, v17, v31, vcc
	v_add_co_u32_e32 v14, vcc, v14, v27
	v_addc_co_u32_e32 v15, vcc, v15, v28, vcc
	v_cmp_lt_i64_e32 vcc, v[14:15], v[12:13]
	s_and_saveexec_b64 s[10:11], vcc
	s_cbranch_execz .LBB249_11
; %bb.13:                               ;   in Loop: Header=BB249_12 Depth=1
	v_lshlrev_b64 v[16:17], 4, v[10:11]
	v_mov_b32_e32 v18, s17
	v_add_co_u32_e32 v16, vcc, s16, v16
	v_addc_co_u32_e32 v17, vcc, v18, v17, vcc
	global_load_dwordx4 v[20:23], v[16:17], off
	s_mov_b64 s[12:13], 0
	s_waitcnt vmcnt(0)
	v_mul_f64 v[16:17], v[22:23], -v[8:9]
	v_mul_f64 v[18:19], v[6:7], v[22:23]
	v_fmac_f64_e32 v[16:17], v[6:7], v[20:21]
	v_fmac_f64_e32 v[18:19], v[8:9], v[20:21]
	s_branch .LBB249_15
.LBB249_14:                             ;   in Loop: Header=BB249_15 Depth=2
	s_or_b64 exec, exec, s[24:25]
	v_add_co_u32_e32 v14, vcc, 64, v14
	v_addc_co_u32_e32 v15, vcc, 0, v15, vcc
	v_cmp_ge_i64_e32 vcc, v[14:15], v[12:13]
	s_or_b64 s[12:13], vcc, s[12:13]
	s_andn2_b64 exec, exec, s[12:13]
	s_cbranch_execz .LBB249_11
.LBB249_15:                             ;   Parent Loop BB249_12 Depth=1
                                        ; =>  This Loop Header: Depth=2
                                        ;       Child Loop BB249_17 Depth 3
	v_lshlrev_b64 v[20:21], 2, v[14:15]
	v_mov_b32_e32 v22, s21
	v_add_co_u32_e32 v20, vcc, s20, v20
	v_addc_co_u32_e32 v21, vcc, v22, v21, vcc
	global_load_dword v22, v[20:21], off
	v_lshlrev_b64 v[20:21], 4, v[14:15]
	v_mov_b32_e32 v23, s23
	v_add_co_u32_e32 v20, vcc, s22, v20
	v_addc_co_u32_e32 v21, vcc, v23, v21, vcc
	global_load_dwordx4 v[34:37], v[20:21], off
	s_mov_b64 s[24:25], 0
	s_waitcnt vmcnt(1)
	v_subrev_u32_e32 v32, s73, v22
	v_mul_lo_u32 v24, v32, s15
	v_and_b32_e32 v33, 0xfff, v24
	s_waitcnt vmcnt(0)
	v_mul_f64 v[20:21], v[36:37], -v[18:19]
	v_mul_f64 v[22:23], v[16:17], v[36:37]
	v_fmac_f64_e32 v[20:21], v[16:17], v[34:35]
	v_fmac_f64_e32 v[22:23], v[18:19], v[34:35]
	s_branch .LBB249_17
.LBB249_16:                             ;   in Loop: Header=BB249_17 Depth=3
	s_or_b64 exec, exec, s[26:27]
	s_xor_b64 s[26:27], s[28:29], -1
	s_and_b64 s[26:27], exec, s[26:27]
	s_or_b64 s[24:25], s[26:27], s[24:25]
	s_andn2_b64 exec, exec, s[24:25]
	s_cbranch_execz .LBB249_14
.LBB249_17:                             ;   Parent Loop BB249_12 Depth=1
                                        ;     Parent Loop BB249_15 Depth=2
                                        ; =>    This Inner Loop Header: Depth=3
	v_lshl_add_u32 v24, v33, 2, 0
	ds_read_b32 v34, v24
                                        ; implicit-def: $sgpr28_sgpr29
	s_waitcnt lgkmcnt(0)
	v_cmp_ne_u32_e32 vcc, v34, v32
	s_and_saveexec_b64 s[26:27], vcc
	s_xor_b64 s[26:27], exec, s[26:27]
	s_cbranch_execz .LBB249_25
; %bb.18:                               ;   in Loop: Header=BB249_17 Depth=3
	v_cmp_ne_u32_e32 vcc, s33, v34
                                        ; implicit-def: $sgpr28_sgpr29
	s_and_saveexec_b64 s[30:31], vcc
	s_xor_b64 s[30:31], exec, s[30:31]
; %bb.19:                               ;   in Loop: Header=BB249_17 Depth=3
	v_add_u32_e32 v24, 1, v33
	v_and_b32_e32 v33, 0xfff, v24
	s_mov_b64 s[28:29], -1
                                        ; implicit-def: $vgpr24
; %bb.20:                               ;   in Loop: Header=BB249_17 Depth=3
	s_andn2_saveexec_b64 s[30:31], s[30:31]
	s_cbranch_execz .LBB249_24
; %bb.21:                               ;   in Loop: Header=BB249_17 Depth=3
	v_mov_b32_e32 v34, s33
	ds_cmpst_rtn_b32 v34, v24, v34, v32
	s_mov_b64 s[38:39], -1
	s_waitcnt lgkmcnt(0)
	v_cmp_eq_u32_e32 vcc, s33, v34
	s_and_saveexec_b64 s[36:37], vcc
	s_cbranch_execz .LBB249_23
; %bb.22:                               ;   in Loop: Header=BB249_17 Depth=3
	v_mad_u64_u32 v[34:35], s[38:39], v33, 12, v[24:25]
	ds_add_f64 v34, v[20:21] offset:16384
	ds_add_f64 v34, v[22:23] offset:16392
	s_xor_b64 s[38:39], exec, -1
.LBB249_23:                             ;   in Loop: Header=BB249_17 Depth=3
	s_or_b64 exec, exec, s[36:37]
	s_andn2_b64 s[28:29], s[28:29], exec
	s_and_b64 s[36:37], s[38:39], exec
	s_or_b64 s[28:29], s[28:29], s[36:37]
.LBB249_24:                             ;   in Loop: Header=BB249_17 Depth=3
	s_or_b64 exec, exec, s[30:31]
	s_and_b64 s[28:29], s[28:29], exec
                                        ; implicit-def: $vgpr24
.LBB249_25:                             ;   in Loop: Header=BB249_17 Depth=3
	s_andn2_saveexec_b64 s[26:27], s[26:27]
	s_cbranch_execz .LBB249_16
; %bb.26:                               ;   in Loop: Header=BB249_17 Depth=3
	v_mad_u64_u32 v[34:35], s[30:31], v33, 12, v[24:25]
	ds_add_f64 v34, v[20:21] offset:16384
	ds_add_f64 v34, v[22:23] offset:16392
	s_andn2_b64 s[28:29], s[28:29], exec
	s_branch .LBB249_16
.LBB249_27:
	s_or_b64 exec, exec, s[6:7]
.LBB249_28:
	s_andn2_b64 vcc, exec, s[34:35]
	s_cbranch_vccnz .LBB249_45
; %bb.29:
	v_readlane_b32 s4, v38, 12
	v_readlane_b32 s5, v38, 13
	s_mov_b32 s6, s4
	s_ashr_i32 s7, s4, 31
	v_writelane_b32 v38, s4, 12
	v_writelane_b32 v38, s5, 13
	s_lshl_b64 s[4:5], s[6:7], 3
	v_readlane_b32 s8, v38, 4
	v_readlane_b32 s9, v38, 5
	s_add_u32 s4, s8, s4
	v_readlane_b32 s10, v38, 6
	v_readlane_b32 s11, v38, 7
	s_addc_u32 s5, s9, s5
	s_load_dwordx4 s[8:11], s[4:5], 0x0
	s_waitcnt vmcnt(0)
	v_subrev_co_u32_e32 v6, vcc, s75, v0
	v_subb_co_u32_e64 v7, s[4:5], 0, 0, vcc
	s_waitcnt lgkmcnt(0)
	s_sub_u32 s4, s10, s75
	v_mov_b32_e32 v8, s9
	v_add_co_u32_e32 v6, vcc, s8, v6
	s_subb_u32 s5, s11, 0
	v_addc_co_u32_e32 v7, vcc, v8, v7, vcc
	v_cmp_gt_i64_e32 vcc, s[4:5], v[6:7]
	v_readlane_b32 s12, v38, 8
	v_readlane_b32 s13, v38, 9
	;; [unrolled: 1-line block ×4, first 2 shown]
	s_and_saveexec_b64 s[6:7], vcc
	s_cbranch_execz .LBB249_44
; %bb.30:
	v_readlane_b32 s12, v38, 4
	v_readlane_b32 s13, v38, 5
	;; [unrolled: 1-line block ×8, first 2 shown]
	s_mov_b64 s[10:11], s[14:15]
	s_mov_b64 s[12:13], s[16:17]
	;; [unrolled: 1-line block ×3, first 2 shown]
	v_mov_b32_e32 v13, s11
	v_mov_b32_e32 v14, s13
	s_movk_i32 s22, 0x89
	s_mov_b64 s[14:15], s[18:19]
	s_branch .LBB249_32
.LBB249_31:                             ;   in Loop: Header=BB249_32 Depth=1
	s_or_b64 exec, exec, s[10:11]
	v_add_co_u32_e32 v6, vcc, 0x400, v6
	v_addc_co_u32_e32 v7, vcc, 0, v7, vcc
	v_cmp_le_i64_e32 vcc, s[4:5], v[6:7]
	s_or_b64 s[8:9], vcc, s[8:9]
	s_andn2_b64 exec, exec, s[8:9]
	s_cbranch_execz .LBB249_44
.LBB249_32:                             ; =>This Loop Header: Depth=1
                                        ;     Child Loop BB249_34 Depth 2
	v_readlane_b32 s12, v38, 4
	v_readlane_b32 s14, v38, 6
	v_lshlrev_b64 v[8:9], 2, v[6:7]
	s_mov_b32 s10, s14
	v_add_co_u32_e32 v8, vcc, s10, v8
	v_readlane_b32 s16, v38, 8
	v_addc_co_u32_e32 v9, vcc, v13, v9, vcc
	s_mov_b32 s12, s16
	global_load_dword v10, v[8:9], off
	v_lshlrev_b64 v[8:9], 4, v[6:7]
	v_add_co_u32_e32 v8, vcc, s12, v8
	v_addc_co_u32_e32 v9, vcc, v14, v9, vcc
	global_load_dwordx4 v[16:19], v[8:9], off
	s_mov_b64 s[10:11], 0
	v_readlane_b32 s13, v38, 5
	v_readlane_b32 s15, v38, 7
	;; [unrolled: 1-line block ×5, first 2 shown]
	s_waitcnt vmcnt(1)
	v_subrev_u32_e32 v15, s75, v10
	v_mul_lo_u32 v12, v15, s22
	s_waitcnt vmcnt(0)
	v_mul_f64 v[8:9], v[18:19], -v[2:3]
	v_mul_f64 v[10:11], v[4:5], v[18:19]
	v_fmac_f64_e32 v[8:9], v[4:5], v[16:17]
	v_fmac_f64_e32 v[10:11], v[2:3], v[16:17]
	v_and_b32_e32 v16, 0xfff, v12
	s_branch .LBB249_34
.LBB249_33:                             ;   in Loop: Header=BB249_34 Depth=2
	s_or_b64 exec, exec, s[12:13]
	s_xor_b64 s[12:13], s[14:15], -1
	s_and_b64 s[12:13], exec, s[12:13]
	s_or_b64 s[10:11], s[12:13], s[10:11]
	s_andn2_b64 exec, exec, s[10:11]
	s_cbranch_execz .LBB249_31
.LBB249_34:                             ;   Parent Loop BB249_32 Depth=1
                                        ; =>  This Inner Loop Header: Depth=2
	v_lshl_add_u32 v12, v16, 2, 0
	ds_read_b32 v17, v12
                                        ; implicit-def: $sgpr14_sgpr15
	s_waitcnt lgkmcnt(0)
	v_cmp_ne_u32_e32 vcc, v17, v15
	s_and_saveexec_b64 s[12:13], vcc
	s_xor_b64 s[12:13], exec, s[12:13]
	s_cbranch_execz .LBB249_42
; %bb.35:                               ;   in Loop: Header=BB249_34 Depth=2
	v_cmp_ne_u32_e32 vcc, s33, v17
                                        ; implicit-def: $sgpr14_sgpr15
	s_and_saveexec_b64 s[16:17], vcc
	s_xor_b64 s[16:17], exec, s[16:17]
; %bb.36:                               ;   in Loop: Header=BB249_34 Depth=2
	v_add_u32_e32 v12, 1, v16
	v_and_b32_e32 v16, 0xfff, v12
	s_mov_b64 s[14:15], -1
                                        ; implicit-def: $vgpr12
; %bb.37:                               ;   in Loop: Header=BB249_34 Depth=2
	s_andn2_saveexec_b64 s[16:17], s[16:17]
	s_cbranch_execz .LBB249_41
; %bb.38:                               ;   in Loop: Header=BB249_34 Depth=2
	v_mov_b32_e32 v17, s33
	ds_cmpst_rtn_b32 v17, v12, v17, v15
	s_mov_b64 s[20:21], -1
	s_waitcnt lgkmcnt(0)
	v_cmp_eq_u32_e32 vcc, s33, v17
	s_and_saveexec_b64 s[18:19], vcc
	s_cbranch_execz .LBB249_40
; %bb.39:                               ;   in Loop: Header=BB249_34 Depth=2
	v_mad_u64_u32 v[18:19], s[20:21], v16, 12, v[12:13]
	ds_add_f64 v18, v[8:9] offset:16384
	ds_add_f64 v18, v[10:11] offset:16392
	s_xor_b64 s[20:21], exec, -1
.LBB249_40:                             ;   in Loop: Header=BB249_34 Depth=2
	s_or_b64 exec, exec, s[18:19]
	s_andn2_b64 s[14:15], s[14:15], exec
	s_and_b64 s[18:19], s[20:21], exec
	s_or_b64 s[14:15], s[14:15], s[18:19]
.LBB249_41:                             ;   in Loop: Header=BB249_34 Depth=2
	s_or_b64 exec, exec, s[16:17]
	s_and_b64 s[14:15], s[14:15], exec
                                        ; implicit-def: $vgpr12
.LBB249_42:                             ;   in Loop: Header=BB249_34 Depth=2
	s_andn2_saveexec_b64 s[12:13], s[12:13]
	s_cbranch_execz .LBB249_33
; %bb.43:                               ;   in Loop: Header=BB249_34 Depth=2
	v_mad_u64_u32 v[18:19], s[16:17], v16, 12, v[12:13]
	ds_add_f64 v18, v[8:9] offset:16384
	ds_add_f64 v18, v[10:11] offset:16392
	s_andn2_b64 s[14:15], s[14:15], exec
	s_branch .LBB249_33
.LBB249_44:
	s_or_b64 exec, exec, s[6:7]
.LBB249_45:
	s_add_i32 s4, 0, 0x14000
	v_writelane_b32 v38, s4, 14
	s_add_i32 s64, 0, 0x14004
	v_writelane_b32 v38, s64, 15
	;; [unrolled: 2-line block ×5, first 2 shown]
	s_add_i32 s64, 0, 0x14014
	s_waitcnt vmcnt(0)
	v_lshrrev_b32_e32 v5, 3, v0
	v_writelane_b32 v38, s64, 19
	s_add_i32 s64, 0, 0x14018
	v_mbcnt_lo_u32_b32 v2, -1, 0
	v_and_b32_e32 v5, 0x7c, v5
	v_writelane_b32 v38, s64, 20
	s_add_i32 s64, 0, 0x1401c
	v_mbcnt_hi_u32_b32 v2, -1, v2
	v_add_u32_e32 v5, s4, v5
	s_movk_i32 s4, 0x3ff
	v_writelane_b32 v38, s64, 21
	s_add_i32 s64, 0, 0x14020
	v_sub_u32_e32 v2, 63, v2
	v_cmp_eq_u32_e32 vcc, s4, v0
	s_movk_i32 s4, 0x5f
	s_movk_i32 s6, 0x7f
	;; [unrolled: 1-line block ×29, first 2 shown]
	v_writelane_b32 v38, s64, 22
	s_add_i32 s64, 0, 0x14024
	v_mov_b32_e32 v4, 0
	v_lshrrev_b64 v[2:3], v2, -1
	v_cmp_lt_u32_e64 s[4:5], s4, v0
	v_cmp_lt_u32_e64 s[6:7], s6, v0
	;; [unrolled: 1-line block ×29, first 2 shown]
	v_writelane_b32 v38, s64, 23
	s_add_i32 s92, 0, 0x14028
	s_add_i32 s93, 0, 0x1402c
	s_add_i32 s94, 0, 0x14030
	s_add_i32 s95, 0, 0x14034
	s_add_i32 s96, 0, 0x14038
	s_add_i32 s97, 0, 0x1403c
	s_add_i32 s98, 0, 0x14040
	s_add_i32 s99, 0, 0x14044
	s_add_i32 s80, 0, 0x14048
	s_add_i32 s70, 0, 0x1404c
	s_add_i32 s71, 0, 0x14050
	s_add_i32 s76, 0, 0x14054
	s_add_i32 s77, 0, 0x14058
	s_add_i32 s78, 0, 0x1405c
	s_add_i32 s79, 0, 0x14060
	s_add_i32 s75, 0, 0x14064
	s_add_i32 s81, 0, 0x14068
	s_add_i32 s84, 0, 0x1406c
	s_add_i32 s85, 0, 0x14070
	s_add_i32 s86, 0, 0x14074
	s_add_i32 s87, 0, 0x14078
	s_add_i32 s88, 0, 0x1407c
	s_movk_i32 s89, 0xbff
	v_cmp_lt_u32_e64 s[64:65], 31, v0
	v_cmp_lt_u32_e64 s[66:67], 63, v0
	s_mov_b64 s[72:73], 0
	s_waitcnt lgkmcnt(0)
	s_barrier
	s_branch .LBB249_47
.LBB249_46:                             ;   in Loop: Header=BB249_47 Depth=1
	s_or_b64 exec, exec, s[68:69]
	v_mov_b32_e32 v6, s88
	s_waitcnt lgkmcnt(0)
	s_barrier
	ds_read_b32 v6, v6
	v_add_u32_e32 v25, 0x400, v25
	v_cmp_lt_u32_e64 s[68:69], s89, v25
	v_add_u32_e32 v1, 0x4000, v1
	s_or_b64 s[72:73], s[68:69], s[72:73]
	s_waitcnt lgkmcnt(0)
	v_add_u32_e32 v4, v6, v4
	v_add_u32_e32 v26, 0x1000, v26
	s_andn2_b64 exec, exec, s[72:73]
	s_cbranch_execz .LBB249_113
.LBB249_47:                             ; =>This Inner Loop Header: Depth=1
	ds_read2_b64 v[8:11], v1 offset1:1
	ds_read_b32 v7, v26
	s_waitcnt lgkmcnt(1)
	buffer_store_dword v11, off, s[0:3], 0 offset:12
	buffer_store_dword v10, off, s[0:3], 0 offset:8
	;; [unrolled: 1-line block ×3, first 2 shown]
	buffer_store_dword v8, off, s[0:3], 0
	s_waitcnt lgkmcnt(0)
	v_cmp_gt_i32_e64 s[68:69], s33, v7
	v_and_b32_e32 v8, s68, v2
	s_bcnt1_i32_b64 s82, s[68:69]
	v_and_b32_e32 v6, s69, v3
	v_bcnt_u32_b32 v8, v8, 0
	v_bcnt_u32_b32 v6, v6, v8
	v_mov_b32_e32 v8, s82
	s_barrier
	ds_write_b32 v5, v8
	s_waitcnt lgkmcnt(0)
	s_barrier
	s_and_saveexec_b64 s[82:83], s[64:65]
	s_cbranch_execnz .LBB249_80
; %bb.48:                               ;   in Loop: Header=BB249_47 Depth=1
	s_or_b64 exec, exec, s[82:83]
	s_and_saveexec_b64 s[82:83], s[66:67]
	s_cbranch_execnz .LBB249_81
.LBB249_49:                             ;   in Loop: Header=BB249_47 Depth=1
	s_or_b64 exec, exec, s[82:83]
	s_and_saveexec_b64 s[82:83], s[4:5]
	s_cbranch_execnz .LBB249_82
.LBB249_50:                             ;   in Loop: Header=BB249_47 Depth=1
	s_or_b64 exec, exec, s[82:83]
	s_and_saveexec_b64 s[82:83], s[6:7]
	s_cbranch_execnz .LBB249_83
.LBB249_51:                             ;   in Loop: Header=BB249_47 Depth=1
	s_or_b64 exec, exec, s[82:83]
	s_and_saveexec_b64 s[82:83], s[8:9]
	s_cbranch_execnz .LBB249_84
.LBB249_52:                             ;   in Loop: Header=BB249_47 Depth=1
	s_or_b64 exec, exec, s[82:83]
	s_and_saveexec_b64 s[82:83], s[10:11]
	s_cbranch_execnz .LBB249_85
.LBB249_53:                             ;   in Loop: Header=BB249_47 Depth=1
	s_or_b64 exec, exec, s[82:83]
	s_and_saveexec_b64 s[82:83], s[12:13]
	s_cbranch_execnz .LBB249_86
.LBB249_54:                             ;   in Loop: Header=BB249_47 Depth=1
	s_or_b64 exec, exec, s[82:83]
	s_and_saveexec_b64 s[82:83], s[14:15]
	s_cbranch_execnz .LBB249_87
.LBB249_55:                             ;   in Loop: Header=BB249_47 Depth=1
	s_or_b64 exec, exec, s[82:83]
	s_and_saveexec_b64 s[82:83], s[16:17]
	s_cbranch_execnz .LBB249_88
.LBB249_56:                             ;   in Loop: Header=BB249_47 Depth=1
	s_or_b64 exec, exec, s[82:83]
	s_and_saveexec_b64 s[82:83], s[18:19]
	s_cbranch_execnz .LBB249_89
.LBB249_57:                             ;   in Loop: Header=BB249_47 Depth=1
	s_or_b64 exec, exec, s[82:83]
	s_and_saveexec_b64 s[82:83], s[20:21]
	s_cbranch_execnz .LBB249_90
.LBB249_58:                             ;   in Loop: Header=BB249_47 Depth=1
	s_or_b64 exec, exec, s[82:83]
	s_and_saveexec_b64 s[82:83], s[22:23]
	s_cbranch_execnz .LBB249_91
.LBB249_59:                             ;   in Loop: Header=BB249_47 Depth=1
	s_or_b64 exec, exec, s[82:83]
	s_and_saveexec_b64 s[82:83], s[24:25]
	s_cbranch_execnz .LBB249_92
.LBB249_60:                             ;   in Loop: Header=BB249_47 Depth=1
	s_or_b64 exec, exec, s[82:83]
	s_and_saveexec_b64 s[82:83], s[26:27]
	s_cbranch_execnz .LBB249_93
.LBB249_61:                             ;   in Loop: Header=BB249_47 Depth=1
	s_or_b64 exec, exec, s[82:83]
	s_and_saveexec_b64 s[82:83], s[28:29]
	s_cbranch_execnz .LBB249_94
.LBB249_62:                             ;   in Loop: Header=BB249_47 Depth=1
	s_or_b64 exec, exec, s[82:83]
	s_and_saveexec_b64 s[82:83], s[30:31]
	s_cbranch_execnz .LBB249_95
.LBB249_63:                             ;   in Loop: Header=BB249_47 Depth=1
	s_or_b64 exec, exec, s[82:83]
	s_and_saveexec_b64 s[82:83], s[34:35]
	s_cbranch_execnz .LBB249_96
.LBB249_64:                             ;   in Loop: Header=BB249_47 Depth=1
	s_or_b64 exec, exec, s[82:83]
	s_and_saveexec_b64 s[82:83], s[36:37]
	s_cbranch_execnz .LBB249_97
.LBB249_65:                             ;   in Loop: Header=BB249_47 Depth=1
	s_or_b64 exec, exec, s[82:83]
	s_and_saveexec_b64 s[82:83], s[38:39]
	s_cbranch_execnz .LBB249_98
.LBB249_66:                             ;   in Loop: Header=BB249_47 Depth=1
	s_or_b64 exec, exec, s[82:83]
	s_and_saveexec_b64 s[82:83], s[40:41]
	s_cbranch_execnz .LBB249_99
.LBB249_67:                             ;   in Loop: Header=BB249_47 Depth=1
	s_or_b64 exec, exec, s[82:83]
	s_and_saveexec_b64 s[82:83], s[42:43]
	s_cbranch_execnz .LBB249_100
.LBB249_68:                             ;   in Loop: Header=BB249_47 Depth=1
	s_or_b64 exec, exec, s[82:83]
	s_and_saveexec_b64 s[82:83], s[44:45]
	s_cbranch_execnz .LBB249_101
.LBB249_69:                             ;   in Loop: Header=BB249_47 Depth=1
	s_or_b64 exec, exec, s[82:83]
	s_and_saveexec_b64 s[82:83], s[46:47]
	s_cbranch_execnz .LBB249_102
.LBB249_70:                             ;   in Loop: Header=BB249_47 Depth=1
	s_or_b64 exec, exec, s[82:83]
	s_and_saveexec_b64 s[82:83], s[48:49]
	s_cbranch_execnz .LBB249_103
.LBB249_71:                             ;   in Loop: Header=BB249_47 Depth=1
	s_or_b64 exec, exec, s[82:83]
	s_and_saveexec_b64 s[82:83], s[50:51]
	s_cbranch_execnz .LBB249_104
.LBB249_72:                             ;   in Loop: Header=BB249_47 Depth=1
	s_or_b64 exec, exec, s[82:83]
	s_and_saveexec_b64 s[82:83], s[52:53]
	s_cbranch_execnz .LBB249_105
.LBB249_73:                             ;   in Loop: Header=BB249_47 Depth=1
	s_or_b64 exec, exec, s[82:83]
	s_and_saveexec_b64 s[82:83], s[54:55]
	s_cbranch_execnz .LBB249_106
.LBB249_74:                             ;   in Loop: Header=BB249_47 Depth=1
	s_or_b64 exec, exec, s[82:83]
	s_and_saveexec_b64 s[82:83], s[56:57]
	s_cbranch_execnz .LBB249_107
.LBB249_75:                             ;   in Loop: Header=BB249_47 Depth=1
	s_or_b64 exec, exec, s[82:83]
	s_and_saveexec_b64 s[82:83], s[58:59]
	s_cbranch_execnz .LBB249_108
.LBB249_76:                             ;   in Loop: Header=BB249_47 Depth=1
	s_or_b64 exec, exec, s[82:83]
	s_and_saveexec_b64 s[82:83], s[60:61]
	s_cbranch_execnz .LBB249_109
.LBB249_77:                             ;   in Loop: Header=BB249_47 Depth=1
	s_or_b64 exec, exec, s[82:83]
	s_and_saveexec_b64 s[82:83], s[62:63]
	s_cbranch_execnz .LBB249_110
.LBB249_78:                             ;   in Loop: Header=BB249_47 Depth=1
	s_or_b64 exec, exec, s[82:83]
	s_and_saveexec_b64 s[82:83], s[68:69]
	s_cbranch_execnz .LBB249_111
.LBB249_79:                             ;   in Loop: Header=BB249_47 Depth=1
	s_or_b64 exec, exec, s[82:83]
	s_and_saveexec_b64 s[68:69], vcc
	s_cbranch_execz .LBB249_46
	s_branch .LBB249_112
.LBB249_80:                             ;   in Loop: Header=BB249_47 Depth=1
	v_readlane_b32 s90, v38, 14
	v_mov_b32_e32 v8, s90
	ds_read_b32 v8, v8
	s_waitcnt lgkmcnt(0)
	v_add_u32_e32 v6, v8, v6
	s_or_b64 exec, exec, s[82:83]
	s_and_saveexec_b64 s[82:83], s[66:67]
	s_cbranch_execz .LBB249_49
.LBB249_81:                             ;   in Loop: Header=BB249_47 Depth=1
	v_readlane_b32 s90, v38, 15
	v_mov_b32_e32 v8, s90
	ds_read_b32 v8, v8
	s_waitcnt lgkmcnt(0)
	v_add_u32_e32 v6, v8, v6
	s_or_b64 exec, exec, s[82:83]
	s_and_saveexec_b64 s[82:83], s[4:5]
	s_cbranch_execz .LBB249_50
.LBB249_82:                             ;   in Loop: Header=BB249_47 Depth=1
	v_readlane_b32 s90, v38, 16
	v_mov_b32_e32 v8, s90
	ds_read_b32 v8, v8
	s_waitcnt lgkmcnt(0)
	v_add_u32_e32 v6, v8, v6
	s_or_b64 exec, exec, s[82:83]
	s_and_saveexec_b64 s[82:83], s[6:7]
	s_cbranch_execz .LBB249_51
.LBB249_83:                             ;   in Loop: Header=BB249_47 Depth=1
	v_readlane_b32 s90, v38, 17
	v_mov_b32_e32 v8, s90
	ds_read_b32 v8, v8
	s_waitcnt lgkmcnt(0)
	v_add_u32_e32 v6, v8, v6
	s_or_b64 exec, exec, s[82:83]
	s_and_saveexec_b64 s[82:83], s[8:9]
	s_cbranch_execz .LBB249_52
.LBB249_84:                             ;   in Loop: Header=BB249_47 Depth=1
	v_readlane_b32 s90, v38, 18
	v_mov_b32_e32 v8, s90
	ds_read_b32 v8, v8
	s_waitcnt lgkmcnt(0)
	v_add_u32_e32 v6, v8, v6
	s_or_b64 exec, exec, s[82:83]
	s_and_saveexec_b64 s[82:83], s[10:11]
	s_cbranch_execz .LBB249_53
.LBB249_85:                             ;   in Loop: Header=BB249_47 Depth=1
	v_readlane_b32 s90, v38, 19
	v_mov_b32_e32 v8, s90
	ds_read_b32 v8, v8
	s_waitcnt lgkmcnt(0)
	v_add_u32_e32 v6, v8, v6
	s_or_b64 exec, exec, s[82:83]
	s_and_saveexec_b64 s[82:83], s[12:13]
	s_cbranch_execz .LBB249_54
.LBB249_86:                             ;   in Loop: Header=BB249_47 Depth=1
	v_readlane_b32 s90, v38, 20
	v_mov_b32_e32 v8, s90
	ds_read_b32 v8, v8
	s_waitcnt lgkmcnt(0)
	v_add_u32_e32 v6, v8, v6
	s_or_b64 exec, exec, s[82:83]
	s_and_saveexec_b64 s[82:83], s[14:15]
	s_cbranch_execz .LBB249_55
.LBB249_87:                             ;   in Loop: Header=BB249_47 Depth=1
	v_readlane_b32 s90, v38, 21
	v_mov_b32_e32 v8, s90
	ds_read_b32 v8, v8
	s_waitcnt lgkmcnt(0)
	v_add_u32_e32 v6, v8, v6
	s_or_b64 exec, exec, s[82:83]
	s_and_saveexec_b64 s[82:83], s[16:17]
	s_cbranch_execz .LBB249_56
.LBB249_88:                             ;   in Loop: Header=BB249_47 Depth=1
	v_readlane_b32 s90, v38, 22
	v_mov_b32_e32 v8, s90
	ds_read_b32 v8, v8
	s_waitcnt lgkmcnt(0)
	v_add_u32_e32 v6, v8, v6
	s_or_b64 exec, exec, s[82:83]
	s_and_saveexec_b64 s[82:83], s[18:19]
	s_cbranch_execz .LBB249_57
.LBB249_89:                             ;   in Loop: Header=BB249_47 Depth=1
	v_readlane_b32 s90, v38, 23
	v_mov_b32_e32 v8, s90
	ds_read_b32 v8, v8
	s_waitcnt lgkmcnt(0)
	v_add_u32_e32 v6, v8, v6
	s_or_b64 exec, exec, s[82:83]
	s_and_saveexec_b64 s[82:83], s[20:21]
	s_cbranch_execz .LBB249_58
.LBB249_90:                             ;   in Loop: Header=BB249_47 Depth=1
	v_mov_b32_e32 v8, s92
	ds_read_b32 v8, v8
	s_waitcnt lgkmcnt(0)
	v_add_u32_e32 v6, v8, v6
	s_or_b64 exec, exec, s[82:83]
	s_and_saveexec_b64 s[82:83], s[22:23]
	s_cbranch_execz .LBB249_59
.LBB249_91:                             ;   in Loop: Header=BB249_47 Depth=1
	v_mov_b32_e32 v8, s93
	ds_read_b32 v8, v8
	s_waitcnt lgkmcnt(0)
	v_add_u32_e32 v6, v8, v6
	s_or_b64 exec, exec, s[82:83]
	s_and_saveexec_b64 s[82:83], s[24:25]
	s_cbranch_execz .LBB249_60
.LBB249_92:                             ;   in Loop: Header=BB249_47 Depth=1
	v_mov_b32_e32 v8, s94
	ds_read_b32 v8, v8
	s_waitcnt lgkmcnt(0)
	v_add_u32_e32 v6, v8, v6
	s_or_b64 exec, exec, s[82:83]
	s_and_saveexec_b64 s[82:83], s[26:27]
	s_cbranch_execz .LBB249_61
.LBB249_93:                             ;   in Loop: Header=BB249_47 Depth=1
	v_mov_b32_e32 v8, s95
	ds_read_b32 v8, v8
	s_waitcnt lgkmcnt(0)
	v_add_u32_e32 v6, v8, v6
	s_or_b64 exec, exec, s[82:83]
	s_and_saveexec_b64 s[82:83], s[28:29]
	s_cbranch_execz .LBB249_62
.LBB249_94:                             ;   in Loop: Header=BB249_47 Depth=1
	v_mov_b32_e32 v8, s96
	ds_read_b32 v8, v8
	s_waitcnt lgkmcnt(0)
	v_add_u32_e32 v6, v8, v6
	s_or_b64 exec, exec, s[82:83]
	s_and_saveexec_b64 s[82:83], s[30:31]
	s_cbranch_execz .LBB249_63
.LBB249_95:                             ;   in Loop: Header=BB249_47 Depth=1
	v_mov_b32_e32 v8, s97
	ds_read_b32 v8, v8
	s_waitcnt lgkmcnt(0)
	v_add_u32_e32 v6, v8, v6
	s_or_b64 exec, exec, s[82:83]
	s_and_saveexec_b64 s[82:83], s[34:35]
	s_cbranch_execz .LBB249_64
.LBB249_96:                             ;   in Loop: Header=BB249_47 Depth=1
	v_mov_b32_e32 v8, s98
	ds_read_b32 v8, v8
	s_waitcnt lgkmcnt(0)
	v_add_u32_e32 v6, v8, v6
	s_or_b64 exec, exec, s[82:83]
	s_and_saveexec_b64 s[82:83], s[36:37]
	s_cbranch_execz .LBB249_65
.LBB249_97:                             ;   in Loop: Header=BB249_47 Depth=1
	v_mov_b32_e32 v8, s99
	ds_read_b32 v8, v8
	s_waitcnt lgkmcnt(0)
	v_add_u32_e32 v6, v8, v6
	s_or_b64 exec, exec, s[82:83]
	s_and_saveexec_b64 s[82:83], s[38:39]
	s_cbranch_execz .LBB249_66
.LBB249_98:                             ;   in Loop: Header=BB249_47 Depth=1
	v_mov_b32_e32 v8, s80
	ds_read_b32 v8, v8
	s_waitcnt lgkmcnt(0)
	v_add_u32_e32 v6, v8, v6
	s_or_b64 exec, exec, s[82:83]
	s_and_saveexec_b64 s[82:83], s[40:41]
	s_cbranch_execz .LBB249_67
.LBB249_99:                             ;   in Loop: Header=BB249_47 Depth=1
	v_mov_b32_e32 v8, s70
	ds_read_b32 v8, v8
	s_waitcnt lgkmcnt(0)
	v_add_u32_e32 v6, v8, v6
	s_or_b64 exec, exec, s[82:83]
	s_and_saveexec_b64 s[82:83], s[42:43]
	s_cbranch_execz .LBB249_68
.LBB249_100:                            ;   in Loop: Header=BB249_47 Depth=1
	v_mov_b32_e32 v8, s71
	ds_read_b32 v8, v8
	s_waitcnt lgkmcnt(0)
	v_add_u32_e32 v6, v8, v6
	s_or_b64 exec, exec, s[82:83]
	s_and_saveexec_b64 s[82:83], s[44:45]
	s_cbranch_execz .LBB249_69
.LBB249_101:                            ;   in Loop: Header=BB249_47 Depth=1
	v_mov_b32_e32 v8, s76
	ds_read_b32 v8, v8
	s_waitcnt lgkmcnt(0)
	v_add_u32_e32 v6, v8, v6
	s_or_b64 exec, exec, s[82:83]
	s_and_saveexec_b64 s[82:83], s[46:47]
	s_cbranch_execz .LBB249_70
.LBB249_102:                            ;   in Loop: Header=BB249_47 Depth=1
	v_mov_b32_e32 v8, s77
	ds_read_b32 v8, v8
	s_waitcnt lgkmcnt(0)
	v_add_u32_e32 v6, v8, v6
	s_or_b64 exec, exec, s[82:83]
	s_and_saveexec_b64 s[82:83], s[48:49]
	s_cbranch_execz .LBB249_71
.LBB249_103:                            ;   in Loop: Header=BB249_47 Depth=1
	v_mov_b32_e32 v8, s78
	ds_read_b32 v8, v8
	s_waitcnt lgkmcnt(0)
	v_add_u32_e32 v6, v8, v6
	s_or_b64 exec, exec, s[82:83]
	s_and_saveexec_b64 s[82:83], s[50:51]
	s_cbranch_execz .LBB249_72
.LBB249_104:                            ;   in Loop: Header=BB249_47 Depth=1
	v_mov_b32_e32 v8, s79
	ds_read_b32 v8, v8
	s_waitcnt lgkmcnt(0)
	v_add_u32_e32 v6, v8, v6
	s_or_b64 exec, exec, s[82:83]
	s_and_saveexec_b64 s[82:83], s[52:53]
	s_cbranch_execz .LBB249_73
.LBB249_105:                            ;   in Loop: Header=BB249_47 Depth=1
	v_mov_b32_e32 v8, s75
	ds_read_b32 v8, v8
	s_waitcnt lgkmcnt(0)
	v_add_u32_e32 v6, v8, v6
	s_or_b64 exec, exec, s[82:83]
	s_and_saveexec_b64 s[82:83], s[54:55]
	s_cbranch_execz .LBB249_74
.LBB249_106:                            ;   in Loop: Header=BB249_47 Depth=1
	v_mov_b32_e32 v8, s81
	ds_read_b32 v8, v8
	s_waitcnt lgkmcnt(0)
	v_add_u32_e32 v6, v8, v6
	s_or_b64 exec, exec, s[82:83]
	s_and_saveexec_b64 s[82:83], s[56:57]
	s_cbranch_execz .LBB249_75
.LBB249_107:                            ;   in Loop: Header=BB249_47 Depth=1
	v_mov_b32_e32 v8, s84
	ds_read_b32 v8, v8
	s_waitcnt lgkmcnt(0)
	v_add_u32_e32 v6, v8, v6
	s_or_b64 exec, exec, s[82:83]
	s_and_saveexec_b64 s[82:83], s[58:59]
	s_cbranch_execz .LBB249_76
.LBB249_108:                            ;   in Loop: Header=BB249_47 Depth=1
	v_mov_b32_e32 v8, s85
	ds_read_b32 v8, v8
	s_waitcnt lgkmcnt(0)
	v_add_u32_e32 v6, v8, v6
	s_or_b64 exec, exec, s[82:83]
	s_and_saveexec_b64 s[82:83], s[60:61]
	s_cbranch_execz .LBB249_77
.LBB249_109:                            ;   in Loop: Header=BB249_47 Depth=1
	v_mov_b32_e32 v8, s86
	ds_read_b32 v8, v8
	s_waitcnt lgkmcnt(0)
	v_add_u32_e32 v6, v8, v6
	s_or_b64 exec, exec, s[82:83]
	s_and_saveexec_b64 s[82:83], s[62:63]
	s_cbranch_execz .LBB249_78
.LBB249_110:                            ;   in Loop: Header=BB249_47 Depth=1
	v_mov_b32_e32 v8, s87
	ds_read_b32 v8, v8
	s_waitcnt lgkmcnt(0)
	v_add_u32_e32 v6, v8, v6
	s_or_b64 exec, exec, s[82:83]
	s_and_saveexec_b64 s[82:83], s[68:69]
	s_cbranch_execz .LBB249_79
.LBB249_111:                            ;   in Loop: Header=BB249_47 Depth=1
	buffer_load_dword v8, off, s[0:3], 0
	buffer_load_dword v9, off, s[0:3], 0 offset:4
	buffer_load_dword v10, off, s[0:3], 0 offset:8
	;; [unrolled: 1-line block ×3, first 2 shown]
	v_add3_u32 v12, v4, -1, v6
	v_lshl_add_u32 v13, v12, 2, 0
	v_lshl_add_u32 v12, v12, 4, 0
	v_add_u32_e32 v12, 0x4000, v12
	ds_write_b32 v13, v7
	s_waitcnt vmcnt(0)
	ds_write2_b64 v12, v[8:9], v[10:11] offset1:1
	s_or_b64 exec, exec, s[82:83]
	s_and_saveexec_b64 s[68:69], vcc
	s_cbranch_execz .LBB249_46
.LBB249_112:                            ;   in Loop: Header=BB249_47 Depth=1
	v_mov_b32_e32 v7, s88
	ds_write_b32 v7, v6
	s_branch .LBB249_46
.LBB249_113:
	s_or_b64 exec, exec, s[72:73]
	v_readlane_b32 s4, v38, 12
	v_readlane_b32 s5, v38, 13
	;; [unrolled: 1-line block ×3, first 2 shown]
	s_ashr_i32 s5, s4, 31
	v_readlane_b32 s10, v38, 6
	v_readlane_b32 s11, v38, 7
	;; [unrolled: 1-line block ×4, first 2 shown]
	s_lshl_b64 s[4:5], s[4:5], 3
	s_mov_b64 s[10:11], s[14:15]
	s_add_u32 s4, s10, s4
	s_addc_u32 s5, s11, s5
	s_load_dwordx4 s[4:7], s[4:5], 0x0
	v_readlane_b32 s12, v38, 8
	v_readlane_b32 s9, v38, 5
	;; [unrolled: 1-line block ×3, first 2 shown]
	s_waitcnt lgkmcnt(0)
	s_sub_i32 s12, s6, s4
	v_cmp_gt_i32_e32 vcc, s12, v0
	s_and_saveexec_b64 s[8:9], vcc
	s_cbranch_execz .LBB249_123
; %bb.114:
	s_sub_u32 s8, s4, s74
	s_subb_u32 s9, s5, 0
	s_and_b32 s13, s12, 7
	s_sub_i32 s4, s4, s6
	s_cmp_lt_u32 s4, -7
	s_cselect_b64 s[4:5], -1, 0
	s_and_b32 s14, s12, -8
	s_cmp_lg_u32 s13, 0
	v_cndmask_b32_e64 v1, 0, 1, s[4:5]
	s_cselect_b64 s[6:7], -1, 0
	v_readlane_b32 s16, v38, 0
	v_cmp_ne_u32_e64 s[4:5], 1, v1
	v_cndmask_b32_e64 v1, 0, 1, s[6:7]
	v_readlane_b32 s17, v38, 1
	s_mov_b64 s[10:11], 0
	s_movk_i32 s15, 0x4000
	v_cmp_ne_u32_e64 s[6:7], 1, v1
	v_mov_b32_e32 v1, s17
	v_readlane_b32 s18, v38, 2
	v_readlane_b32 s19, v38, 3
	s_branch .LBB249_116
.LBB249_115:                            ;   in Loop: Header=BB249_116 Depth=1
	v_mul_lo_u32 v6, v0, 12
	v_add3_u32 v8, v4, v6, s15
	s_waitcnt lgkmcnt(0)
	v_add_u32_e32 v6, s74, v5
	v_lshlrev_b64 v[4:5], 2, v[2:3]
	v_readlane_b32 s16, v38, 0
	v_add_co_u32_e32 v4, vcc, s16, v4
	v_addc_co_u32_e32 v5, vcc, v1, v5, vcc
	v_readlane_b32 s18, v38, 2
	v_readlane_b32 s19, v38, 3
	global_store_dword v[4:5], v6, off
	v_lshlrev_b64 v[6:7], 4, v[2:3]
	ds_read2_b64 v[2:5], v8 offset1:1
	v_mov_b32_e32 v9, s19
	v_add_co_u32_e32 v6, vcc, s18, v6
	v_addc_co_u32_e32 v7, vcc, v9, v7, vcc
	v_add_u32_e32 v0, 0x400, v0
	v_cmp_le_i32_e32 vcc, s12, v0
	s_or_b64 s[10:11], vcc, s[10:11]
	v_readlane_b32 s17, v38, 1
	s_waitcnt lgkmcnt(0)
	global_store_dwordx4 v[6:7], v[2:5], off
	s_andn2_b64 exec, exec, s[10:11]
	s_cbranch_execz .LBB249_123
.LBB249_116:                            ; =>This Loop Header: Depth=1
                                        ;     Child Loop BB249_118 Depth 2
                                        ;     Child Loop BB249_122 Depth 2
	v_lshl_add_u32 v4, v0, 2, 0
	ds_read_b32 v5, v4
	s_and_b64 vcc, exec, s[4:5]
	v_pk_mov_b32 v[2:3], s[8:9], s[8:9] op_sel:[0,1]
	s_mov_b32 s16, 0
	s_cbranch_vccnz .LBB249_120
; %bb.117:                              ;   in Loop: Header=BB249_116 Depth=1
	s_mov_b32 s17, 0
	v_pk_mov_b32 v[2:3], s[8:9], s[8:9] op_sel:[0,1]
.LBB249_118:                            ;   Parent Loop BB249_116 Depth=1
                                        ; =>  This Inner Loop Header: Depth=2
	v_mov_b32_e32 v12, s17
	ds_read2_b32 v[6:7], v12 offset1:1
	ds_read2_b32 v[8:9], v12 offset0:2 offset1:3
	ds_read2_b32 v[10:11], v12 offset0:4 offset1:5
	;; [unrolled: 1-line block ×3, first 2 shown]
	s_add_i32 s16, s16, 8
	s_waitcnt lgkmcnt(3)
	v_cmp_gt_i32_e32 vcc, v5, v6
	v_cndmask_b32_e64 v6, 0, 1, vcc
	v_cmp_gt_i32_e32 vcc, v5, v7
	v_cndmask_b32_e64 v7, 0, 1, vcc
	s_waitcnt lgkmcnt(2)
	v_cmp_gt_i32_e32 vcc, v5, v8
	v_cndmask_b32_e64 v8, 0, 1, vcc
	v_cmp_gt_i32_e32 vcc, v5, v9
	v_cndmask_b32_e64 v9, 0, 1, vcc
	;; [unrolled: 5-line block ×4, first 2 shown]
	v_add_co_u32_e32 v2, vcc, v2, v6
	v_addc_co_u32_e32 v3, vcc, 0, v3, vcc
	v_add_co_u32_e32 v2, vcc, v2, v7
	v_addc_co_u32_e32 v3, vcc, 0, v3, vcc
	;; [unrolled: 2-line block ×7, first 2 shown]
	s_add_i32 s17, s17, 32
	v_add_co_u32_e32 v2, vcc, v2, v13
	s_cmp_eq_u32 s14, s16
	v_addc_co_u32_e32 v3, vcc, 0, v3, vcc
	s_cbranch_scc0 .LBB249_118
; %bb.119:                              ;   in Loop: Header=BB249_116 Depth=1
	s_mov_b32 s16, s14
.LBB249_120:                            ;   in Loop: Header=BB249_116 Depth=1
	s_and_b64 vcc, exec, s[6:7]
	s_cbranch_vccnz .LBB249_115
; %bb.121:                              ;   in Loop: Header=BB249_116 Depth=1
	s_lshl_b32 s16, s16, 2
	s_add_i32 s16, s16, 0
	s_mov_b32 s17, s13
.LBB249_122:                            ;   Parent Loop BB249_116 Depth=1
                                        ; =>  This Inner Loop Header: Depth=2
	v_mov_b32_e32 v6, s16
	ds_read_b32 v6, v6
	s_add_i32 s16, s16, 4
	s_add_i32 s17, s17, -1
	s_cmp_lg_u32 s17, 0
	s_waitcnt lgkmcnt(0)
	v_cmp_gt_i32_e32 vcc, v5, v6
	v_cndmask_b32_e64 v6, 0, 1, vcc
	v_add_co_u32_e32 v2, vcc, v2, v6
	v_addc_co_u32_e32 v3, vcc, 0, v3, vcc
	s_cbranch_scc1 .LBB249_122
	s_branch .LBB249_115
.LBB249_123:
	s_endpgm
	.section	.rodata,"a",@progbits
	.p2align	6, 0x0
	.amdhsa_kernel _ZN9rocsparseL26csrgemm_fill_block_per_rowILj1024ELj64ELj4096ELj137ELj32Eli21rocsparse_complex_numIdEEEvT5_PKS3_S5_NS_24const_host_device_scalarIT6_EEPKT4_S5_PKS7_SB_S5_SD_S8_SB_S5_SD_SB_PS3_PS7_21rocsparse_index_base_SG_SG_SG_bbb
		.amdhsa_group_segment_fixed_size 0
		.amdhsa_private_segment_fixed_size 40
		.amdhsa_kernarg_size 172
		.amdhsa_user_sgpr_count 8
		.amdhsa_user_sgpr_private_segment_buffer 1
		.amdhsa_user_sgpr_dispatch_ptr 0
		.amdhsa_user_sgpr_queue_ptr 0
		.amdhsa_user_sgpr_kernarg_segment_ptr 1
		.amdhsa_user_sgpr_dispatch_id 0
		.amdhsa_user_sgpr_flat_scratch_init 1
		.amdhsa_user_sgpr_kernarg_preload_length 0
		.amdhsa_user_sgpr_kernarg_preload_offset 0
		.amdhsa_user_sgpr_private_segment_size 0
		.amdhsa_uses_dynamic_stack 0
		.amdhsa_system_sgpr_private_segment_wavefront_offset 1
		.amdhsa_system_sgpr_workgroup_id_x 1
		.amdhsa_system_sgpr_workgroup_id_y 0
		.amdhsa_system_sgpr_workgroup_id_z 0
		.amdhsa_system_sgpr_workgroup_info 0
		.amdhsa_system_vgpr_workitem_id 0
		.amdhsa_next_free_vgpr 39
		.amdhsa_next_free_sgpr 100
		.amdhsa_accum_offset 40
		.amdhsa_reserve_vcc 1
		.amdhsa_reserve_flat_scratch 1
		.amdhsa_float_round_mode_32 0
		.amdhsa_float_round_mode_16_64 0
		.amdhsa_float_denorm_mode_32 3
		.amdhsa_float_denorm_mode_16_64 3
		.amdhsa_dx10_clamp 1
		.amdhsa_ieee_mode 1
		.amdhsa_fp16_overflow 0
		.amdhsa_tg_split 0
		.amdhsa_exception_fp_ieee_invalid_op 0
		.amdhsa_exception_fp_denorm_src 0
		.amdhsa_exception_fp_ieee_div_zero 0
		.amdhsa_exception_fp_ieee_overflow 0
		.amdhsa_exception_fp_ieee_underflow 0
		.amdhsa_exception_fp_ieee_inexact 0
		.amdhsa_exception_int_div_zero 0
	.end_amdhsa_kernel
	.section	.text._ZN9rocsparseL26csrgemm_fill_block_per_rowILj1024ELj64ELj4096ELj137ELj32Eli21rocsparse_complex_numIdEEEvT5_PKS3_S5_NS_24const_host_device_scalarIT6_EEPKT4_S5_PKS7_SB_S5_SD_S8_SB_S5_SD_SB_PS3_PS7_21rocsparse_index_base_SG_SG_SG_bbb,"axG",@progbits,_ZN9rocsparseL26csrgemm_fill_block_per_rowILj1024ELj64ELj4096ELj137ELj32Eli21rocsparse_complex_numIdEEEvT5_PKS3_S5_NS_24const_host_device_scalarIT6_EEPKT4_S5_PKS7_SB_S5_SD_S8_SB_S5_SD_SB_PS3_PS7_21rocsparse_index_base_SG_SG_SG_bbb,comdat
.Lfunc_end249:
	.size	_ZN9rocsparseL26csrgemm_fill_block_per_rowILj1024ELj64ELj4096ELj137ELj32Eli21rocsparse_complex_numIdEEEvT5_PKS3_S5_NS_24const_host_device_scalarIT6_EEPKT4_S5_PKS7_SB_S5_SD_S8_SB_S5_SD_SB_PS3_PS7_21rocsparse_index_base_SG_SG_SG_bbb, .Lfunc_end249-_ZN9rocsparseL26csrgemm_fill_block_per_rowILj1024ELj64ELj4096ELj137ELj32Eli21rocsparse_complex_numIdEEEvT5_PKS3_S5_NS_24const_host_device_scalarIT6_EEPKT4_S5_PKS7_SB_S5_SD_S8_SB_S5_SD_SB_PS3_PS7_21rocsparse_index_base_SG_SG_SG_bbb
                                        ; -- End function
	.section	.AMDGPU.csdata,"",@progbits
; Kernel info:
; codeLenInByte = 5456
; NumSgprs: 106
; NumVgprs: 39
; NumAgprs: 0
; TotalNumVgprs: 39
; ScratchSize: 40
; MemoryBound: 0
; FloatMode: 240
; IeeeMode: 1
; LDSByteSize: 0 bytes/workgroup (compile time only)
; SGPRBlocks: 13
; VGPRBlocks: 4
; NumSGPRsForWavesPerEU: 106
; NumVGPRsForWavesPerEU: 39
; AccumOffset: 40
; Occupancy: 7
; WaveLimiterHint : 1
; COMPUTE_PGM_RSRC2:SCRATCH_EN: 1
; COMPUTE_PGM_RSRC2:USER_SGPR: 8
; COMPUTE_PGM_RSRC2:TRAP_HANDLER: 0
; COMPUTE_PGM_RSRC2:TGID_X_EN: 1
; COMPUTE_PGM_RSRC2:TGID_Y_EN: 0
; COMPUTE_PGM_RSRC2:TGID_Z_EN: 0
; COMPUTE_PGM_RSRC2:TIDIG_COMP_CNT: 0
; COMPUTE_PGM_RSRC3_GFX90A:ACCUM_OFFSET: 9
; COMPUTE_PGM_RSRC3_GFX90A:TG_SPLIT: 0
	.section	.text._ZN9rocsparseL26csrgemm_fill_block_per_rowILj1024ELj64ELj4096ELj137ELj64Eli21rocsparse_complex_numIdEEEvT5_PKS3_S5_NS_24const_host_device_scalarIT6_EEPKT4_S5_PKS7_SB_S5_SD_S8_SB_S5_SD_SB_PS3_PS7_21rocsparse_index_base_SG_SG_SG_bbb,"axG",@progbits,_ZN9rocsparseL26csrgemm_fill_block_per_rowILj1024ELj64ELj4096ELj137ELj64Eli21rocsparse_complex_numIdEEEvT5_PKS3_S5_NS_24const_host_device_scalarIT6_EEPKT4_S5_PKS7_SB_S5_SD_S8_SB_S5_SD_SB_PS3_PS7_21rocsparse_index_base_SG_SG_SG_bbb,comdat
	.globl	_ZN9rocsparseL26csrgemm_fill_block_per_rowILj1024ELj64ELj4096ELj137ELj64Eli21rocsparse_complex_numIdEEEvT5_PKS3_S5_NS_24const_host_device_scalarIT6_EEPKT4_S5_PKS7_SB_S5_SD_S8_SB_S5_SD_SB_PS3_PS7_21rocsparse_index_base_SG_SG_SG_bbb ; -- Begin function _ZN9rocsparseL26csrgemm_fill_block_per_rowILj1024ELj64ELj4096ELj137ELj64Eli21rocsparse_complex_numIdEEEvT5_PKS3_S5_NS_24const_host_device_scalarIT6_EEPKT4_S5_PKS7_SB_S5_SD_S8_SB_S5_SD_SB_PS3_PS7_21rocsparse_index_base_SG_SG_SG_bbb
	.p2align	8
	.type	_ZN9rocsparseL26csrgemm_fill_block_per_rowILj1024ELj64ELj4096ELj137ELj64Eli21rocsparse_complex_numIdEEEvT5_PKS3_S5_NS_24const_host_device_scalarIT6_EEPKT4_S5_PKS7_SB_S5_SD_S8_SB_S5_SD_SB_PS3_PS7_21rocsparse_index_base_SG_SG_SG_bbb,@function
_ZN9rocsparseL26csrgemm_fill_block_per_rowILj1024ELj64ELj4096ELj137ELj64Eli21rocsparse_complex_numIdEEEvT5_PKS3_S5_NS_24const_host_device_scalarIT6_EEPKT4_S5_PKS7_SB_S5_SD_S8_SB_S5_SD_SB_PS3_PS7_21rocsparse_index_base_SG_SG_SG_bbb: ; @_ZN9rocsparseL26csrgemm_fill_block_per_rowILj1024ELj64ELj4096ELj137ELj64Eli21rocsparse_complex_numIdEEEvT5_PKS3_S5_NS_24const_host_device_scalarIT6_EEPKT4_S5_PKS7_SB_S5_SD_S8_SB_S5_SD_SB_PS3_PS7_21rocsparse_index_base_SG_SG_SG_bbb
; %bb.0:
	s_add_u32 flat_scratch_lo, s6, s9
	s_addc_u32 flat_scratch_hi, s7, 0
	s_load_dwordx4 s[12:15], s[4:5], 0x18
	s_load_dwordx4 s[28:31], s[4:5], 0x58
	s_add_u32 s0, s0, s9
	s_load_dword s9, s[4:5], 0xa8
	s_load_dwordx4 s[44:47], s[4:5], 0x98
	s_addc_u32 s1, s1, 0
	s_waitcnt lgkmcnt(0)
	v_mov_b32_e32 v1, s13
	buffer_store_dword v1, off, s[0:3], 0 offset:20
	s_bitcmp1_b32 s9, 0
	s_cselect_b64 s[54:55], -1, 0
	s_bitcmp1_b32 s9, 16
	v_mov_b32_e32 v1, s12
	s_cselect_b64 s[6:7], -1, 0
	buffer_store_dword v1, off, s[0:3], 0 offset:16
	v_mov_b32_e32 v1, s29
	buffer_store_dword v1, off, s[0:3], 0 offset:28
	v_mov_b32_e32 v1, s28
	s_xor_b64 s[10:11], s[6:7], -1
	buffer_store_dword v1, off, s[0:3], 0 offset:24
	v_pk_mov_b32 v[2:3], 0, 0
	v_cndmask_b32_e64 v1, 0, 1, s[10:11]
	s_bitcmp0_b32 s9, 0
	v_cmp_ne_u32_e64 s[10:11], 1, v1
	v_pk_mov_b32 v[6:7], v[2:3], v[2:3] op_sel:[0,1]
	v_pk_mov_b32 v[8:9], v[2:3], v[2:3] op_sel:[0,1]
	s_cbranch_scc1 .LBB250_3
; %bb.1:
	s_mov_b64 s[16:17], src_private_base
	s_and_b64 s[18:19], s[6:7], exec
	s_cselect_b32 s16, s17, s13
	v_mov_b32_e32 v1, 16
	v_mov_b32_e32 v4, s12
	v_cndmask_b32_e64 v4, v4, v1, s[6:7]
	v_mov_b32_e32 v5, s16
	flat_load_dwordx2 v[6:7], v[4:5]
	s_and_b64 vcc, exec, s[10:11]
	v_pk_mov_b32 v[8:9], s[14:15], s[14:15] op_sel:[0,1]
	s_cbranch_vccnz .LBB250_3
; %bb.2:
	v_pk_mov_b32 v[4:5], s[12:13], s[12:13] op_sel:[0,1]
	flat_load_dwordx2 v[8:9], v[4:5] offset:8
.LBB250_3:
	s_load_dwordx4 s[48:51], s[4:5], 0x88
	s_load_dwordx8 s[36:43], s[4:5], 0x68
	s_load_dwordx4 s[20:23], s[4:5], 0x48
	s_load_dwordx4 s[24:27], s[4:5], 0x8
	s_load_dwordx8 s[12:19], s[4:5], 0x28
	s_bitcmp1_b32 s9, 8
	s_cselect_b64 s[34:35], -1, 0
	s_bfe_u32 s9, s9, 0x10008
	s_mov_b64 s[52:53], 0
	s_cmp_eq_u32 s9, 0
	v_pk_mov_b32 v[4:5], v[2:3], v[2:3] op_sel:[0,1]
	s_cbranch_scc1 .LBB250_6
; %bb.4:
	s_mov_b64 s[56:57], src_private_base
	s_and_b64 s[58:59], s[6:7], exec
	s_cselect_b32 s9, s57, s29
	v_mov_b32_e32 v1, 24
	v_mov_b32_e32 v2, s28
	v_cndmask_b32_e64 v2, v2, v1, s[6:7]
	v_mov_b32_e32 v3, s9
	flat_load_dwordx2 v[4:5], v[2:3]
	s_and_b64 vcc, exec, s[10:11]
	v_pk_mov_b32 v[2:3], s[30:31], s[30:31] op_sel:[0,1]
	s_cbranch_vccnz .LBB250_6
; %bb.5:
	v_pk_mov_b32 v[2:3], s[28:29], s[28:29] op_sel:[0,1]
	flat_load_dwordx2 v[2:3], v[2:3] offset:8
.LBB250_6:
	s_load_dword s33, s[4:5], 0x0
	s_mov_b32 s4, 0
	v_lshl_add_u32 v1, v0, 4, 0
	v_add_u32_e32 v1, 0x4000, v1
	v_or_b32_e32 v25, 0xfffffc00, v0
	v_lshl_add_u32 v26, v0, 2, 0
	s_mov_b32 s5, s4
	s_mov_b32 s6, s4
	s_mov_b32 s7, s4
	s_waitcnt lgkmcnt(0)
	v_mov_b32_e32 v14, s33
	v_pk_mov_b32 v[10:11], s[4:5], s[4:5] op_sel:[0,1]
	v_pk_mov_b32 v[12:13], s[6:7], s[6:7] op_sel:[0,1]
	s_movk_i32 s4, 0xbff
	v_mov_b32_e32 v15, v26
	v_mov_b32_e32 v16, v25
	;; [unrolled: 1-line block ×3, first 2 shown]
.LBB250_7:                              ; =>This Inner Loop Header: Depth=1
	v_add_u32_e32 v16, 0x400, v16
	v_cmp_lt_u32_e32 vcc, s4, v16
	ds_write_b32 v15, v14
	ds_write2_b64 v17, v[10:11], v[12:13] offset1:1
	v_add_u32_e32 v17, 0x4000, v17
	s_or_b64 s[52:53], vcc, s[52:53]
	v_add_u32_e32 v15, 0x1000, v15
	s_andn2_b64 exec, exec, s[52:53]
	s_cbranch_execnz .LBB250_7
; %bb.8:
	s_or_b64 exec, exec, s[52:53]
	s_waitcnt lgkmcnt(0)
	s_barrier
	s_load_dword s4, s[24:25], 0x0
	s_mov_b32 s5, 0
	v_lshrrev_b32_e32 v27, 6, v0
	s_waitcnt lgkmcnt(0)
	s_add_i32 s4, s4, s8
	s_lshl_b64 s[4:5], s[4:5], 2
	s_add_u32 s4, s26, s4
	s_addc_u32 s5, s27, s5
	s_load_dword s52, s[4:5], 0x0
	s_and_b64 vcc, exec, s[54:55]
	s_cbranch_vccz .LBB250_28
; %bb.9:
	s_waitcnt lgkmcnt(0)
	s_ashr_i32 s53, s52, 31
	s_lshl_b64 s[4:5], s[52:53], 3
	s_add_u32 s4, s12, s4
	s_addc_u32 s5, s13, s5
	s_load_dwordx4 s[8:11], s[4:5], 0x0
	v_subrev_co_u32_e32 v10, vcc, s44, v27
	v_subb_co_u32_e64 v11, s[4:5], 0, 0, vcc
	s_waitcnt lgkmcnt(0)
	s_sub_u32 s4, s10, s44
	v_mov_b32_e32 v12, s9
	v_add_co_u32_e32 v10, vcc, s8, v10
	s_subb_u32 s5, s11, 0
	v_addc_co_u32_e32 v11, vcc, v12, v11, vcc
	v_cmp_gt_i64_e32 vcc, s[4:5], v[10:11]
	s_and_saveexec_b64 s[6:7], vcc
	s_cbranch_execz .LBB250_27
; %bb.10:
	v_and_b32_e32 v12, 63, v0
	v_subrev_co_u32_e32 v28, vcc, s45, v12
	s_mov_b32 s10, 0
	v_subb_co_u32_e64 v29, s[8:9], 0, 0, vcc
	s_mov_b32 s53, s45
	s_mov_b64 s[8:9], 0
	v_mov_b32_e32 v30, s15
	v_mov_b32_e32 v31, s19
	;; [unrolled: 1-line block ×3, first 2 shown]
	s_movk_i32 s15, 0x89
	s_branch .LBB250_12
.LBB250_11:                             ;   in Loop: Header=BB250_12 Depth=1
	s_or_b64 exec, exec, s[10:11]
	v_add_co_u32_e32 v10, vcc, 16, v10
	v_addc_co_u32_e32 v11, vcc, 0, v11, vcc
	v_cmp_le_i64_e32 vcc, s[4:5], v[10:11]
	s_or_b64 s[8:9], vcc, s[8:9]
	s_andn2_b64 exec, exec, s[8:9]
	s_cbranch_execz .LBB250_27
.LBB250_12:                             ; =>This Loop Header: Depth=1
                                        ;     Child Loop BB250_15 Depth 2
                                        ;       Child Loop BB250_17 Depth 3
	v_lshlrev_b64 v[12:13], 2, v[10:11]
	v_add_co_u32_e32 v12, vcc, s14, v12
	v_addc_co_u32_e32 v13, vcc, v30, v13, vcc
	global_load_dword v12, v[12:13], off
	s_waitcnt vmcnt(0)
	v_subrev_u32_e32 v12, s44, v12
	v_ashrrev_i32_e32 v13, 31, v12
	v_lshlrev_b64 v[12:13], 3, v[12:13]
	v_add_co_u32_e32 v12, vcc, s18, v12
	v_addc_co_u32_e32 v13, vcc, v31, v13, vcc
	global_load_dwordx4 v[14:17], v[12:13], off
	s_waitcnt vmcnt(0)
	v_subrev_co_u32_e32 v12, vcc, s53, v16
	v_subb_co_u32_e32 v13, vcc, v17, v32, vcc
	v_add_co_u32_e32 v14, vcc, v14, v28
	v_addc_co_u32_e32 v15, vcc, v15, v29, vcc
	v_cmp_lt_i64_e32 vcc, v[14:15], v[12:13]
	s_and_saveexec_b64 s[10:11], vcc
	s_cbranch_execz .LBB250_11
; %bb.13:                               ;   in Loop: Header=BB250_12 Depth=1
	v_lshlrev_b64 v[16:17], 4, v[10:11]
	v_mov_b32_e32 v18, s17
	v_add_co_u32_e32 v16, vcc, s16, v16
	v_addc_co_u32_e32 v17, vcc, v18, v17, vcc
	global_load_dwordx4 v[20:23], v[16:17], off
	s_mov_b64 s[12:13], 0
	s_waitcnt vmcnt(0)
	v_mul_f64 v[16:17], v[22:23], -v[8:9]
	v_mul_f64 v[18:19], v[6:7], v[22:23]
	v_fmac_f64_e32 v[16:17], v[6:7], v[20:21]
	v_fmac_f64_e32 v[18:19], v[8:9], v[20:21]
	s_branch .LBB250_15
.LBB250_14:                             ;   in Loop: Header=BB250_15 Depth=2
	s_or_b64 exec, exec, s[24:25]
	v_add_co_u32_e32 v14, vcc, 64, v14
	v_addc_co_u32_e32 v15, vcc, 0, v15, vcc
	v_cmp_ge_i64_e32 vcc, v[14:15], v[12:13]
	s_or_b64 s[12:13], vcc, s[12:13]
	s_andn2_b64 exec, exec, s[12:13]
	s_cbranch_execz .LBB250_11
.LBB250_15:                             ;   Parent Loop BB250_12 Depth=1
                                        ; =>  This Loop Header: Depth=2
                                        ;       Child Loop BB250_17 Depth 3
	v_lshlrev_b64 v[20:21], 2, v[14:15]
	v_mov_b32_e32 v22, s21
	v_add_co_u32_e32 v20, vcc, s20, v20
	v_addc_co_u32_e32 v21, vcc, v22, v21, vcc
	global_load_dword v22, v[20:21], off
	v_lshlrev_b64 v[20:21], 4, v[14:15]
	v_mov_b32_e32 v23, s23
	v_add_co_u32_e32 v20, vcc, s22, v20
	v_addc_co_u32_e32 v21, vcc, v23, v21, vcc
	global_load_dwordx4 v[34:37], v[20:21], off
	s_mov_b64 s[24:25], 0
	s_waitcnt vmcnt(1)
	v_subrev_u32_e32 v33, s45, v22
	v_mul_lo_u32 v24, v33, s15
	s_waitcnt vmcnt(0)
	v_mul_f64 v[20:21], v[36:37], -v[18:19]
	v_mul_f64 v[22:23], v[16:17], v[36:37]
	v_fmac_f64_e32 v[20:21], v[16:17], v[34:35]
	v_fmac_f64_e32 v[22:23], v[18:19], v[34:35]
	v_and_b32_e32 v34, 0xfff, v24
	s_branch .LBB250_17
.LBB250_16:                             ;   in Loop: Header=BB250_17 Depth=3
	s_or_b64 exec, exec, s[26:27]
	s_xor_b64 s[26:27], s[28:29], -1
	s_and_b64 s[26:27], exec, s[26:27]
	s_or_b64 s[24:25], s[26:27], s[24:25]
	s_andn2_b64 exec, exec, s[24:25]
	s_cbranch_execz .LBB250_14
.LBB250_17:                             ;   Parent Loop BB250_12 Depth=1
                                        ;     Parent Loop BB250_15 Depth=2
                                        ; =>    This Inner Loop Header: Depth=3
	v_lshl_add_u32 v24, v34, 2, 0
	ds_read_b32 v35, v24
                                        ; implicit-def: $sgpr28_sgpr29
	s_waitcnt lgkmcnt(0)
	v_cmp_ne_u32_e32 vcc, v35, v33
	s_and_saveexec_b64 s[26:27], vcc
	s_xor_b64 s[26:27], exec, s[26:27]
	s_cbranch_execz .LBB250_25
; %bb.18:                               ;   in Loop: Header=BB250_17 Depth=3
	v_cmp_ne_u32_e32 vcc, s33, v35
                                        ; implicit-def: $sgpr28_sgpr29
	s_and_saveexec_b64 s[30:31], vcc
	s_xor_b64 s[30:31], exec, s[30:31]
; %bb.19:                               ;   in Loop: Header=BB250_17 Depth=3
	v_add_u32_e32 v24, 1, v34
	v_and_b32_e32 v34, 0xfff, v24
	s_mov_b64 s[28:29], -1
                                        ; implicit-def: $vgpr24
; %bb.20:                               ;   in Loop: Header=BB250_17 Depth=3
	s_andn2_saveexec_b64 s[30:31], s[30:31]
	s_cbranch_execz .LBB250_24
; %bb.21:                               ;   in Loop: Header=BB250_17 Depth=3
	v_mov_b32_e32 v35, s33
	ds_cmpst_rtn_b32 v35, v24, v35, v33
	s_mov_b64 s[56:57], -1
	s_waitcnt lgkmcnt(0)
	v_cmp_eq_u32_e32 vcc, s33, v35
	s_and_saveexec_b64 s[54:55], vcc
	s_cbranch_execz .LBB250_23
; %bb.22:                               ;   in Loop: Header=BB250_17 Depth=3
	v_mad_u64_u32 v[36:37], s[56:57], v34, 12, v[24:25]
	ds_add_f64 v36, v[20:21] offset:16384
	ds_add_f64 v36, v[22:23] offset:16392
	s_xor_b64 s[56:57], exec, -1
.LBB250_23:                             ;   in Loop: Header=BB250_17 Depth=3
	s_or_b64 exec, exec, s[54:55]
	s_andn2_b64 s[28:29], s[28:29], exec
	s_and_b64 s[54:55], s[56:57], exec
	s_or_b64 s[28:29], s[28:29], s[54:55]
.LBB250_24:                             ;   in Loop: Header=BB250_17 Depth=3
	s_or_b64 exec, exec, s[30:31]
	s_and_b64 s[28:29], s[28:29], exec
                                        ; implicit-def: $vgpr24
.LBB250_25:                             ;   in Loop: Header=BB250_17 Depth=3
	s_andn2_saveexec_b64 s[26:27], s[26:27]
	s_cbranch_execz .LBB250_16
; %bb.26:                               ;   in Loop: Header=BB250_17 Depth=3
	v_mad_u64_u32 v[36:37], s[30:31], v34, 12, v[24:25]
	ds_add_f64 v36, v[20:21] offset:16384
	ds_add_f64 v36, v[22:23] offset:16392
	s_andn2_b64 s[28:29], s[28:29], exec
	s_branch .LBB250_16
.LBB250_27:
	s_or_b64 exec, exec, s[6:7]
.LBB250_28:
	s_andn2_b64 vcc, exec, s[34:35]
	s_cbranch_vccnz .LBB250_45
; %bb.29:
	s_waitcnt lgkmcnt(0)
	s_ashr_i32 s53, s52, 31
	s_lshl_b64 s[4:5], s[52:53], 3
	s_add_u32 s4, s36, s4
	s_addc_u32 s5, s37, s5
	s_load_dwordx4 s[8:11], s[4:5], 0x0
	s_waitcnt vmcnt(0)
	v_subrev_co_u32_e32 v6, vcc, s47, v0
	v_subb_co_u32_e64 v7, s[4:5], 0, 0, vcc
	s_waitcnt lgkmcnt(0)
	s_sub_u32 s4, s10, s47
	v_mov_b32_e32 v8, s9
	v_add_co_u32_e32 v6, vcc, s8, v6
	s_subb_u32 s5, s11, 0
	v_addc_co_u32_e32 v7, vcc, v8, v7, vcc
	v_cmp_gt_i64_e32 vcc, s[4:5], v[6:7]
	s_and_saveexec_b64 s[6:7], vcc
	s_cbranch_execz .LBB250_44
; %bb.30:
	s_mov_b64 s[8:9], 0
	v_mov_b32_e32 v13, s39
	v_mov_b32_e32 v14, s41
	s_movk_i32 s22, 0x89
	s_branch .LBB250_32
.LBB250_31:                             ;   in Loop: Header=BB250_32 Depth=1
	s_or_b64 exec, exec, s[10:11]
	v_add_co_u32_e32 v6, vcc, 0x400, v6
	v_addc_co_u32_e32 v7, vcc, 0, v7, vcc
	v_cmp_le_i64_e32 vcc, s[4:5], v[6:7]
	s_or_b64 s[8:9], vcc, s[8:9]
	s_andn2_b64 exec, exec, s[8:9]
	s_cbranch_execz .LBB250_44
.LBB250_32:                             ; =>This Loop Header: Depth=1
                                        ;     Child Loop BB250_34 Depth 2
	v_lshlrev_b64 v[8:9], 2, v[6:7]
	v_add_co_u32_e32 v8, vcc, s38, v8
	v_addc_co_u32_e32 v9, vcc, v13, v9, vcc
	global_load_dword v10, v[8:9], off
	v_lshlrev_b64 v[8:9], 4, v[6:7]
	v_add_co_u32_e32 v8, vcc, s40, v8
	v_addc_co_u32_e32 v9, vcc, v14, v9, vcc
	global_load_dwordx4 v[16:19], v[8:9], off
	s_mov_b64 s[10:11], 0
	s_waitcnt vmcnt(1)
	v_subrev_u32_e32 v15, s47, v10
	v_mul_lo_u32 v12, v15, s22
	s_waitcnt vmcnt(0)
	v_mul_f64 v[8:9], v[18:19], -v[2:3]
	v_mul_f64 v[10:11], v[4:5], v[18:19]
	v_fmac_f64_e32 v[8:9], v[4:5], v[16:17]
	v_fmac_f64_e32 v[10:11], v[2:3], v[16:17]
	v_and_b32_e32 v16, 0xfff, v12
	s_branch .LBB250_34
.LBB250_33:                             ;   in Loop: Header=BB250_34 Depth=2
	s_or_b64 exec, exec, s[12:13]
	s_xor_b64 s[12:13], s[14:15], -1
	s_and_b64 s[12:13], exec, s[12:13]
	s_or_b64 s[10:11], s[12:13], s[10:11]
	s_andn2_b64 exec, exec, s[10:11]
	s_cbranch_execz .LBB250_31
.LBB250_34:                             ;   Parent Loop BB250_32 Depth=1
                                        ; =>  This Inner Loop Header: Depth=2
	v_lshl_add_u32 v12, v16, 2, 0
	ds_read_b32 v17, v12
                                        ; implicit-def: $sgpr14_sgpr15
	s_waitcnt lgkmcnt(0)
	v_cmp_ne_u32_e32 vcc, v17, v15
	s_and_saveexec_b64 s[12:13], vcc
	s_xor_b64 s[12:13], exec, s[12:13]
	s_cbranch_execz .LBB250_42
; %bb.35:                               ;   in Loop: Header=BB250_34 Depth=2
	v_cmp_ne_u32_e32 vcc, s33, v17
                                        ; implicit-def: $sgpr14_sgpr15
	s_and_saveexec_b64 s[16:17], vcc
	s_xor_b64 s[16:17], exec, s[16:17]
; %bb.36:                               ;   in Loop: Header=BB250_34 Depth=2
	v_add_u32_e32 v12, 1, v16
	v_and_b32_e32 v16, 0xfff, v12
	s_mov_b64 s[14:15], -1
                                        ; implicit-def: $vgpr12
; %bb.37:                               ;   in Loop: Header=BB250_34 Depth=2
	s_andn2_saveexec_b64 s[16:17], s[16:17]
	s_cbranch_execz .LBB250_41
; %bb.38:                               ;   in Loop: Header=BB250_34 Depth=2
	v_mov_b32_e32 v17, s33
	ds_cmpst_rtn_b32 v17, v12, v17, v15
	s_mov_b64 s[20:21], -1
	s_waitcnt lgkmcnt(0)
	v_cmp_eq_u32_e32 vcc, s33, v17
	s_and_saveexec_b64 s[18:19], vcc
	s_cbranch_execz .LBB250_40
; %bb.39:                               ;   in Loop: Header=BB250_34 Depth=2
	v_mad_u64_u32 v[18:19], s[20:21], v16, 12, v[12:13]
	ds_add_f64 v18, v[8:9] offset:16384
	ds_add_f64 v18, v[10:11] offset:16392
	s_xor_b64 s[20:21], exec, -1
.LBB250_40:                             ;   in Loop: Header=BB250_34 Depth=2
	s_or_b64 exec, exec, s[18:19]
	s_andn2_b64 s[14:15], s[14:15], exec
	s_and_b64 s[18:19], s[20:21], exec
	s_or_b64 s[14:15], s[14:15], s[18:19]
.LBB250_41:                             ;   in Loop: Header=BB250_34 Depth=2
	s_or_b64 exec, exec, s[16:17]
	s_and_b64 s[14:15], s[14:15], exec
                                        ; implicit-def: $vgpr12
.LBB250_42:                             ;   in Loop: Header=BB250_34 Depth=2
	s_andn2_saveexec_b64 s[12:13], s[12:13]
	s_cbranch_execz .LBB250_33
; %bb.43:                               ;   in Loop: Header=BB250_34 Depth=2
	v_mad_u64_u32 v[18:19], s[16:17], v16, 12, v[12:13]
	ds_add_f64 v18, v[8:9] offset:16384
	ds_add_f64 v18, v[10:11] offset:16392
	s_andn2_b64 s[14:15], s[14:15], exec
	s_branch .LBB250_33
.LBB250_44:
	s_or_b64 exec, exec, s[6:7]
.LBB250_45:
	s_waitcnt vmcnt(0)
	v_mbcnt_lo_u32_b32 v2, -1, 0
	v_mbcnt_hi_u32_b32 v2, -1, v2
	v_sub_u32_e32 v2, 63, v2
	s_add_i32 s44, 0, 0x14000
	s_movk_i32 s4, 0x3ff
	s_movk_i32 s6, 0x7f
	;; [unrolled: 1-line block ×15, first 2 shown]
	s_add_i32 s65, 0, 0x1403c
	v_mov_b32_e32 v4, 0
	v_lshrrev_b64 v[2:3], v2, -1
	v_lshl_add_u32 v5, v27, 2, s44
	v_cmp_eq_u32_e32 vcc, s4, v0
	v_cmp_lt_u32_e64 s[4:5], 63, v0
	v_cmp_lt_u32_e64 s[6:7], s6, v0
	;; [unrolled: 1-line block ×15, first 2 shown]
	s_mov_b64 s[38:39], 0
	s_add_i32 s45, 0, 0x14004
	s_add_i32 s47, 0, 0x14008
	;; [unrolled: 1-line block ×14, first 2 shown]
	v_mov_b32_e32 v6, s65
	s_movk_i32 s66, 0xbff
	s_waitcnt lgkmcnt(0)
	s_barrier
	s_branch .LBB250_47
.LBB250_46:                             ;   in Loop: Header=BB250_47 Depth=1
	s_or_b64 exec, exec, s[36:37]
	s_waitcnt lgkmcnt(0)
	s_barrier
	ds_read_b32 v7, v6
	v_add_u32_e32 v25, 0x400, v25
	v_cmp_lt_u32_e64 s[36:37], s66, v25
	v_add_u32_e32 v1, 0x4000, v1
	s_or_b64 s[38:39], s[36:37], s[38:39]
	s_waitcnt lgkmcnt(0)
	v_add_u32_e32 v4, v7, v4
	v_add_u32_e32 v26, 0x1000, v26
	s_andn2_b64 exec, exec, s[38:39]
	s_cbranch_execz .LBB250_81
.LBB250_47:                             ; =>This Inner Loop Header: Depth=1
	ds_read2_b64 v[10:13], v1 offset1:1
	ds_read_b32 v8, v26
	s_waitcnt lgkmcnt(1)
	buffer_store_dword v13, off, s[0:3], 0 offset:12
	buffer_store_dword v12, off, s[0:3], 0 offset:8
	;; [unrolled: 1-line block ×3, first 2 shown]
	buffer_store_dword v10, off, s[0:3], 0
	s_waitcnt lgkmcnt(0)
	v_cmp_gt_i32_e64 s[36:37], s33, v8
	v_and_b32_e32 v9, s36, v2
	s_bcnt1_i32_b64 s40, s[36:37]
	v_and_b32_e32 v7, s37, v3
	v_bcnt_u32_b32 v9, v9, 0
	v_bcnt_u32_b32 v7, v7, v9
	v_mov_b32_e32 v9, s40
	s_barrier
	ds_write_b32 v5, v9
	s_waitcnt lgkmcnt(0)
	s_barrier
	s_and_saveexec_b64 s[40:41], s[4:5]
	s_cbranch_execnz .LBB250_64
; %bb.48:                               ;   in Loop: Header=BB250_47 Depth=1
	s_or_b64 exec, exec, s[40:41]
	s_and_saveexec_b64 s[40:41], s[6:7]
	s_cbranch_execnz .LBB250_65
.LBB250_49:                             ;   in Loop: Header=BB250_47 Depth=1
	s_or_b64 exec, exec, s[40:41]
	s_and_saveexec_b64 s[40:41], s[8:9]
	s_cbranch_execnz .LBB250_66
.LBB250_50:                             ;   in Loop: Header=BB250_47 Depth=1
	s_or_b64 exec, exec, s[40:41]
	s_and_saveexec_b64 s[40:41], s[10:11]
	s_cbranch_execnz .LBB250_67
.LBB250_51:                             ;   in Loop: Header=BB250_47 Depth=1
	s_or_b64 exec, exec, s[40:41]
	s_and_saveexec_b64 s[40:41], s[12:13]
	s_cbranch_execnz .LBB250_68
.LBB250_52:                             ;   in Loop: Header=BB250_47 Depth=1
	s_or_b64 exec, exec, s[40:41]
	s_and_saveexec_b64 s[40:41], s[14:15]
	s_cbranch_execnz .LBB250_69
.LBB250_53:                             ;   in Loop: Header=BB250_47 Depth=1
	s_or_b64 exec, exec, s[40:41]
	s_and_saveexec_b64 s[40:41], s[16:17]
	s_cbranch_execnz .LBB250_70
.LBB250_54:                             ;   in Loop: Header=BB250_47 Depth=1
	s_or_b64 exec, exec, s[40:41]
	s_and_saveexec_b64 s[40:41], s[18:19]
	s_cbranch_execnz .LBB250_71
.LBB250_55:                             ;   in Loop: Header=BB250_47 Depth=1
	s_or_b64 exec, exec, s[40:41]
	s_and_saveexec_b64 s[40:41], s[20:21]
	s_cbranch_execnz .LBB250_72
.LBB250_56:                             ;   in Loop: Header=BB250_47 Depth=1
	s_or_b64 exec, exec, s[40:41]
	s_and_saveexec_b64 s[40:41], s[22:23]
	s_cbranch_execnz .LBB250_73
.LBB250_57:                             ;   in Loop: Header=BB250_47 Depth=1
	s_or_b64 exec, exec, s[40:41]
	s_and_saveexec_b64 s[40:41], s[24:25]
	s_cbranch_execnz .LBB250_74
.LBB250_58:                             ;   in Loop: Header=BB250_47 Depth=1
	s_or_b64 exec, exec, s[40:41]
	s_and_saveexec_b64 s[40:41], s[26:27]
	s_cbranch_execnz .LBB250_75
.LBB250_59:                             ;   in Loop: Header=BB250_47 Depth=1
	s_or_b64 exec, exec, s[40:41]
	s_and_saveexec_b64 s[40:41], s[28:29]
	s_cbranch_execnz .LBB250_76
.LBB250_60:                             ;   in Loop: Header=BB250_47 Depth=1
	s_or_b64 exec, exec, s[40:41]
	s_and_saveexec_b64 s[40:41], s[30:31]
	s_cbranch_execnz .LBB250_77
.LBB250_61:                             ;   in Loop: Header=BB250_47 Depth=1
	s_or_b64 exec, exec, s[40:41]
	s_and_saveexec_b64 s[40:41], s[34:35]
	s_cbranch_execnz .LBB250_78
.LBB250_62:                             ;   in Loop: Header=BB250_47 Depth=1
	s_or_b64 exec, exec, s[40:41]
	s_and_saveexec_b64 s[40:41], s[36:37]
	s_cbranch_execnz .LBB250_79
.LBB250_63:                             ;   in Loop: Header=BB250_47 Depth=1
	s_or_b64 exec, exec, s[40:41]
	s_and_saveexec_b64 s[36:37], vcc
	s_cbranch_execz .LBB250_46
	s_branch .LBB250_80
.LBB250_64:                             ;   in Loop: Header=BB250_47 Depth=1
	v_mov_b32_e32 v9, s44
	ds_read_b32 v9, v9
	s_waitcnt lgkmcnt(0)
	v_add_u32_e32 v7, v9, v7
	s_or_b64 exec, exec, s[40:41]
	s_and_saveexec_b64 s[40:41], s[6:7]
	s_cbranch_execz .LBB250_49
.LBB250_65:                             ;   in Loop: Header=BB250_47 Depth=1
	v_mov_b32_e32 v9, s45
	ds_read_b32 v9, v9
	s_waitcnt lgkmcnt(0)
	v_add_u32_e32 v7, v9, v7
	s_or_b64 exec, exec, s[40:41]
	s_and_saveexec_b64 s[40:41], s[8:9]
	s_cbranch_execz .LBB250_50
.LBB250_66:                             ;   in Loop: Header=BB250_47 Depth=1
	v_mov_b32_e32 v9, s47
	ds_read_b32 v9, v9
	s_waitcnt lgkmcnt(0)
	v_add_u32_e32 v7, v9, v7
	s_or_b64 exec, exec, s[40:41]
	s_and_saveexec_b64 s[40:41], s[10:11]
	s_cbranch_execz .LBB250_51
.LBB250_67:                             ;   in Loop: Header=BB250_47 Depth=1
	v_mov_b32_e32 v9, s53
	ds_read_b32 v9, v9
	s_waitcnt lgkmcnt(0)
	v_add_u32_e32 v7, v9, v7
	s_or_b64 exec, exec, s[40:41]
	s_and_saveexec_b64 s[40:41], s[12:13]
	s_cbranch_execz .LBB250_52
.LBB250_68:                             ;   in Loop: Header=BB250_47 Depth=1
	v_mov_b32_e32 v9, s54
	ds_read_b32 v9, v9
	s_waitcnt lgkmcnt(0)
	v_add_u32_e32 v7, v9, v7
	s_or_b64 exec, exec, s[40:41]
	s_and_saveexec_b64 s[40:41], s[14:15]
	s_cbranch_execz .LBB250_53
.LBB250_69:                             ;   in Loop: Header=BB250_47 Depth=1
	v_mov_b32_e32 v9, s55
	ds_read_b32 v9, v9
	s_waitcnt lgkmcnt(0)
	v_add_u32_e32 v7, v9, v7
	s_or_b64 exec, exec, s[40:41]
	s_and_saveexec_b64 s[40:41], s[16:17]
	s_cbranch_execz .LBB250_54
.LBB250_70:                             ;   in Loop: Header=BB250_47 Depth=1
	v_mov_b32_e32 v9, s56
	ds_read_b32 v9, v9
	s_waitcnt lgkmcnt(0)
	v_add_u32_e32 v7, v9, v7
	s_or_b64 exec, exec, s[40:41]
	s_and_saveexec_b64 s[40:41], s[18:19]
	s_cbranch_execz .LBB250_55
.LBB250_71:                             ;   in Loop: Header=BB250_47 Depth=1
	v_mov_b32_e32 v9, s57
	ds_read_b32 v9, v9
	s_waitcnt lgkmcnt(0)
	v_add_u32_e32 v7, v9, v7
	s_or_b64 exec, exec, s[40:41]
	s_and_saveexec_b64 s[40:41], s[20:21]
	s_cbranch_execz .LBB250_56
.LBB250_72:                             ;   in Loop: Header=BB250_47 Depth=1
	v_mov_b32_e32 v9, s58
	ds_read_b32 v9, v9
	s_waitcnt lgkmcnt(0)
	v_add_u32_e32 v7, v9, v7
	s_or_b64 exec, exec, s[40:41]
	s_and_saveexec_b64 s[40:41], s[22:23]
	s_cbranch_execz .LBB250_57
.LBB250_73:                             ;   in Loop: Header=BB250_47 Depth=1
	v_mov_b32_e32 v9, s59
	ds_read_b32 v9, v9
	s_waitcnt lgkmcnt(0)
	v_add_u32_e32 v7, v9, v7
	s_or_b64 exec, exec, s[40:41]
	s_and_saveexec_b64 s[40:41], s[24:25]
	s_cbranch_execz .LBB250_58
.LBB250_74:                             ;   in Loop: Header=BB250_47 Depth=1
	v_mov_b32_e32 v9, s60
	ds_read_b32 v9, v9
	s_waitcnt lgkmcnt(0)
	v_add_u32_e32 v7, v9, v7
	s_or_b64 exec, exec, s[40:41]
	s_and_saveexec_b64 s[40:41], s[26:27]
	s_cbranch_execz .LBB250_59
.LBB250_75:                             ;   in Loop: Header=BB250_47 Depth=1
	v_mov_b32_e32 v9, s61
	ds_read_b32 v9, v9
	s_waitcnt lgkmcnt(0)
	v_add_u32_e32 v7, v9, v7
	s_or_b64 exec, exec, s[40:41]
	s_and_saveexec_b64 s[40:41], s[28:29]
	s_cbranch_execz .LBB250_60
.LBB250_76:                             ;   in Loop: Header=BB250_47 Depth=1
	v_mov_b32_e32 v9, s62
	ds_read_b32 v9, v9
	s_waitcnt lgkmcnt(0)
	v_add_u32_e32 v7, v9, v7
	s_or_b64 exec, exec, s[40:41]
	s_and_saveexec_b64 s[40:41], s[30:31]
	s_cbranch_execz .LBB250_61
.LBB250_77:                             ;   in Loop: Header=BB250_47 Depth=1
	v_mov_b32_e32 v9, s63
	ds_read_b32 v9, v9
	s_waitcnt lgkmcnt(0)
	v_add_u32_e32 v7, v9, v7
	s_or_b64 exec, exec, s[40:41]
	s_and_saveexec_b64 s[40:41], s[34:35]
	s_cbranch_execz .LBB250_62
.LBB250_78:                             ;   in Loop: Header=BB250_47 Depth=1
	v_mov_b32_e32 v9, s64
	ds_read_b32 v9, v9
	s_waitcnt lgkmcnt(0)
	v_add_u32_e32 v7, v9, v7
	s_or_b64 exec, exec, s[40:41]
	s_and_saveexec_b64 s[40:41], s[36:37]
	s_cbranch_execz .LBB250_63
.LBB250_79:                             ;   in Loop: Header=BB250_47 Depth=1
	buffer_load_dword v10, off, s[0:3], 0
	buffer_load_dword v11, off, s[0:3], 0 offset:4
	buffer_load_dword v12, off, s[0:3], 0 offset:8
	;; [unrolled: 1-line block ×3, first 2 shown]
	v_add3_u32 v9, v4, -1, v7
	v_lshl_add_u32 v14, v9, 2, 0
	v_lshl_add_u32 v9, v9, 4, 0
	v_add_u32_e32 v9, 0x4000, v9
	ds_write_b32 v14, v8
	s_waitcnt vmcnt(0)
	ds_write2_b64 v9, v[10:11], v[12:13] offset1:1
	s_or_b64 exec, exec, s[40:41]
	s_and_saveexec_b64 s[36:37], vcc
	s_cbranch_execz .LBB250_46
.LBB250_80:                             ;   in Loop: Header=BB250_47 Depth=1
	v_mov_b32_e32 v8, s65
	ds_write_b32 v8, v7
	s_branch .LBB250_46
.LBB250_81:
	s_or_b64 exec, exec, s[38:39]
	s_ashr_i32 s53, s52, 31
	s_lshl_b64 s[4:5], s[52:53], 3
	s_add_u32 s4, s42, s4
	s_addc_u32 s5, s43, s5
	s_load_dwordx4 s[4:7], s[4:5], 0x0
	s_waitcnt lgkmcnt(0)
	s_sub_i32 s12, s6, s4
	v_cmp_gt_i32_e32 vcc, s12, v0
	s_and_saveexec_b64 s[8:9], vcc
	s_cbranch_execz .LBB250_91
; %bb.82:
	s_sub_u32 s8, s4, s46
	s_subb_u32 s9, s5, 0
	s_and_b32 s13, s12, 7
	s_sub_i32 s4, s4, s6
	s_cmp_lt_u32 s4, -7
	s_cselect_b64 s[4:5], -1, 0
	s_and_b32 s14, s12, -8
	s_cmp_lg_u32 s13, 0
	v_cndmask_b32_e64 v1, 0, 1, s[4:5]
	s_cselect_b64 s[6:7], -1, 0
	v_cmp_ne_u32_e64 s[4:5], 1, v1
	v_cndmask_b32_e64 v1, 0, 1, s[6:7]
	s_mov_b64 s[10:11], 0
	s_movk_i32 s15, 0x4000
	v_cmp_ne_u32_e64 s[6:7], 1, v1
	v_mov_b32_e32 v1, s49
	s_branch .LBB250_84
.LBB250_83:                             ;   in Loop: Header=BB250_84 Depth=1
	v_mul_lo_u32 v6, v0, 12
	v_add3_u32 v8, v4, v6, s15
	s_waitcnt lgkmcnt(0)
	v_add_u32_e32 v6, s46, v5
	v_lshlrev_b64 v[4:5], 2, v[2:3]
	v_add_co_u32_e32 v4, vcc, s48, v4
	v_addc_co_u32_e32 v5, vcc, v1, v5, vcc
	global_store_dword v[4:5], v6, off
	v_lshlrev_b64 v[6:7], 4, v[2:3]
	ds_read2_b64 v[2:5], v8 offset1:1
	v_mov_b32_e32 v9, s51
	v_add_co_u32_e32 v6, vcc, s50, v6
	v_addc_co_u32_e32 v7, vcc, v9, v7, vcc
	v_add_u32_e32 v0, 0x400, v0
	v_cmp_le_i32_e32 vcc, s12, v0
	s_or_b64 s[10:11], vcc, s[10:11]
	s_waitcnt lgkmcnt(0)
	global_store_dwordx4 v[6:7], v[2:5], off
	s_andn2_b64 exec, exec, s[10:11]
	s_cbranch_execz .LBB250_91
.LBB250_84:                             ; =>This Loop Header: Depth=1
                                        ;     Child Loop BB250_86 Depth 2
                                        ;     Child Loop BB250_90 Depth 2
	v_lshl_add_u32 v4, v0, 2, 0
	ds_read_b32 v5, v4
	s_and_b64 vcc, exec, s[4:5]
	v_pk_mov_b32 v[2:3], s[8:9], s[8:9] op_sel:[0,1]
	s_mov_b32 s16, 0
	s_cbranch_vccnz .LBB250_88
; %bb.85:                               ;   in Loop: Header=BB250_84 Depth=1
	s_mov_b32 s17, 0
	v_pk_mov_b32 v[2:3], s[8:9], s[8:9] op_sel:[0,1]
.LBB250_86:                             ;   Parent Loop BB250_84 Depth=1
                                        ; =>  This Inner Loop Header: Depth=2
	v_mov_b32_e32 v12, s17
	ds_read2_b32 v[6:7], v12 offset1:1
	ds_read2_b32 v[8:9], v12 offset0:2 offset1:3
	ds_read2_b32 v[10:11], v12 offset0:4 offset1:5
	;; [unrolled: 1-line block ×3, first 2 shown]
	s_add_i32 s16, s16, 8
	s_waitcnt lgkmcnt(3)
	v_cmp_gt_i32_e32 vcc, v5, v6
	v_cndmask_b32_e64 v6, 0, 1, vcc
	v_cmp_gt_i32_e32 vcc, v5, v7
	v_cndmask_b32_e64 v7, 0, 1, vcc
	s_waitcnt lgkmcnt(2)
	v_cmp_gt_i32_e32 vcc, v5, v8
	v_cndmask_b32_e64 v8, 0, 1, vcc
	v_cmp_gt_i32_e32 vcc, v5, v9
	v_cndmask_b32_e64 v9, 0, 1, vcc
	;; [unrolled: 5-line block ×4, first 2 shown]
	v_add_co_u32_e32 v2, vcc, v2, v6
	v_addc_co_u32_e32 v3, vcc, 0, v3, vcc
	v_add_co_u32_e32 v2, vcc, v2, v7
	v_addc_co_u32_e32 v3, vcc, 0, v3, vcc
	v_add_co_u32_e32 v2, vcc, v2, v8
	v_addc_co_u32_e32 v3, vcc, 0, v3, vcc
	v_add_co_u32_e32 v2, vcc, v2, v9
	v_addc_co_u32_e32 v3, vcc, 0, v3, vcc
	v_add_co_u32_e32 v2, vcc, v2, v10
	v_addc_co_u32_e32 v3, vcc, 0, v3, vcc
	v_add_co_u32_e32 v2, vcc, v2, v11
	v_addc_co_u32_e32 v3, vcc, 0, v3, vcc
	v_add_co_u32_e32 v2, vcc, v2, v12
	v_addc_co_u32_e32 v3, vcc, 0, v3, vcc
	s_add_i32 s17, s17, 32
	v_add_co_u32_e32 v2, vcc, v2, v13
	s_cmp_eq_u32 s14, s16
	v_addc_co_u32_e32 v3, vcc, 0, v3, vcc
	s_cbranch_scc0 .LBB250_86
; %bb.87:                               ;   in Loop: Header=BB250_84 Depth=1
	s_mov_b32 s16, s14
.LBB250_88:                             ;   in Loop: Header=BB250_84 Depth=1
	s_and_b64 vcc, exec, s[6:7]
	s_cbranch_vccnz .LBB250_83
; %bb.89:                               ;   in Loop: Header=BB250_84 Depth=1
	s_lshl_b32 s16, s16, 2
	s_add_i32 s16, s16, 0
	s_mov_b32 s17, s13
.LBB250_90:                             ;   Parent Loop BB250_84 Depth=1
                                        ; =>  This Inner Loop Header: Depth=2
	v_mov_b32_e32 v6, s16
	ds_read_b32 v6, v6
	s_add_i32 s16, s16, 4
	s_add_i32 s17, s17, -1
	s_cmp_lg_u32 s17, 0
	s_waitcnt lgkmcnt(0)
	v_cmp_gt_i32_e32 vcc, v5, v6
	v_cndmask_b32_e64 v6, 0, 1, vcc
	v_add_co_u32_e32 v2, vcc, v2, v6
	v_addc_co_u32_e32 v3, vcc, 0, v3, vcc
	s_cbranch_scc1 .LBB250_90
	s_branch .LBB250_83
.LBB250_91:
	s_endpgm
	.section	.rodata,"a",@progbits
	.p2align	6, 0x0
	.amdhsa_kernel _ZN9rocsparseL26csrgemm_fill_block_per_rowILj1024ELj64ELj4096ELj137ELj64Eli21rocsparse_complex_numIdEEEvT5_PKS3_S5_NS_24const_host_device_scalarIT6_EEPKT4_S5_PKS7_SB_S5_SD_S8_SB_S5_SD_SB_PS3_PS7_21rocsparse_index_base_SG_SG_SG_bbb
		.amdhsa_group_segment_fixed_size 0
		.amdhsa_private_segment_fixed_size 40
		.amdhsa_kernarg_size 172
		.amdhsa_user_sgpr_count 8
		.amdhsa_user_sgpr_private_segment_buffer 1
		.amdhsa_user_sgpr_dispatch_ptr 0
		.amdhsa_user_sgpr_queue_ptr 0
		.amdhsa_user_sgpr_kernarg_segment_ptr 1
		.amdhsa_user_sgpr_dispatch_id 0
		.amdhsa_user_sgpr_flat_scratch_init 1
		.amdhsa_user_sgpr_kernarg_preload_length 0
		.amdhsa_user_sgpr_kernarg_preload_offset 0
		.amdhsa_user_sgpr_private_segment_size 0
		.amdhsa_uses_dynamic_stack 0
		.amdhsa_system_sgpr_private_segment_wavefront_offset 1
		.amdhsa_system_sgpr_workgroup_id_x 1
		.amdhsa_system_sgpr_workgroup_id_y 0
		.amdhsa_system_sgpr_workgroup_id_z 0
		.amdhsa_system_sgpr_workgroup_info 0
		.amdhsa_system_vgpr_workitem_id 0
		.amdhsa_next_free_vgpr 38
		.amdhsa_next_free_sgpr 67
		.amdhsa_accum_offset 40
		.amdhsa_reserve_vcc 1
		.amdhsa_reserve_flat_scratch 1
		.amdhsa_float_round_mode_32 0
		.amdhsa_float_round_mode_16_64 0
		.amdhsa_float_denorm_mode_32 3
		.amdhsa_float_denorm_mode_16_64 3
		.amdhsa_dx10_clamp 1
		.amdhsa_ieee_mode 1
		.amdhsa_fp16_overflow 0
		.amdhsa_tg_split 0
		.amdhsa_exception_fp_ieee_invalid_op 0
		.amdhsa_exception_fp_denorm_src 0
		.amdhsa_exception_fp_ieee_div_zero 0
		.amdhsa_exception_fp_ieee_overflow 0
		.amdhsa_exception_fp_ieee_underflow 0
		.amdhsa_exception_fp_ieee_inexact 0
		.amdhsa_exception_int_div_zero 0
	.end_amdhsa_kernel
	.section	.text._ZN9rocsparseL26csrgemm_fill_block_per_rowILj1024ELj64ELj4096ELj137ELj64Eli21rocsparse_complex_numIdEEEvT5_PKS3_S5_NS_24const_host_device_scalarIT6_EEPKT4_S5_PKS7_SB_S5_SD_S8_SB_S5_SD_SB_PS3_PS7_21rocsparse_index_base_SG_SG_SG_bbb,"axG",@progbits,_ZN9rocsparseL26csrgemm_fill_block_per_rowILj1024ELj64ELj4096ELj137ELj64Eli21rocsparse_complex_numIdEEEvT5_PKS3_S5_NS_24const_host_device_scalarIT6_EEPKT4_S5_PKS7_SB_S5_SD_S8_SB_S5_SD_SB_PS3_PS7_21rocsparse_index_base_SG_SG_SG_bbb,comdat
.Lfunc_end250:
	.size	_ZN9rocsparseL26csrgemm_fill_block_per_rowILj1024ELj64ELj4096ELj137ELj64Eli21rocsparse_complex_numIdEEEvT5_PKS3_S5_NS_24const_host_device_scalarIT6_EEPKT4_S5_PKS7_SB_S5_SD_S8_SB_S5_SD_SB_PS3_PS7_21rocsparse_index_base_SG_SG_SG_bbb, .Lfunc_end250-_ZN9rocsparseL26csrgemm_fill_block_per_rowILj1024ELj64ELj4096ELj137ELj64Eli21rocsparse_complex_numIdEEEvT5_PKS3_S5_NS_24const_host_device_scalarIT6_EEPKT4_S5_PKS7_SB_S5_SD_S8_SB_S5_SD_SB_PS3_PS7_21rocsparse_index_base_SG_SG_SG_bbb
                                        ; -- End function
	.section	.AMDGPU.csdata,"",@progbits
; Kernel info:
; codeLenInByte = 3720
; NumSgprs: 73
; NumVgprs: 38
; NumAgprs: 0
; TotalNumVgprs: 38
; ScratchSize: 40
; MemoryBound: 0
; FloatMode: 240
; IeeeMode: 1
; LDSByteSize: 0 bytes/workgroup (compile time only)
; SGPRBlocks: 9
; VGPRBlocks: 4
; NumSGPRsForWavesPerEU: 73
; NumVGPRsForWavesPerEU: 38
; AccumOffset: 40
; Occupancy: 8
; WaveLimiterHint : 1
; COMPUTE_PGM_RSRC2:SCRATCH_EN: 1
; COMPUTE_PGM_RSRC2:USER_SGPR: 8
; COMPUTE_PGM_RSRC2:TRAP_HANDLER: 0
; COMPUTE_PGM_RSRC2:TGID_X_EN: 1
; COMPUTE_PGM_RSRC2:TGID_Y_EN: 0
; COMPUTE_PGM_RSRC2:TGID_Z_EN: 0
; COMPUTE_PGM_RSRC2:TIDIG_COMP_CNT: 0
; COMPUTE_PGM_RSRC3_GFX90A:ACCUM_OFFSET: 9
; COMPUTE_PGM_RSRC3_GFX90A:TG_SPLIT: 0
	.section	.text._ZN9rocsparseL26csrgemm_fill_block_per_rowILj1024ELj64ELj8192ELj137ELj32Eli21rocsparse_complex_numIdEEEvT5_PKS3_S5_NS_24const_host_device_scalarIT6_EEPKT4_S5_PKS7_SB_S5_SD_S8_SB_S5_SD_SB_PS3_PS7_21rocsparse_index_base_SG_SG_SG_bbb,"axG",@progbits,_ZN9rocsparseL26csrgemm_fill_block_per_rowILj1024ELj64ELj8192ELj137ELj32Eli21rocsparse_complex_numIdEEEvT5_PKS3_S5_NS_24const_host_device_scalarIT6_EEPKT4_S5_PKS7_SB_S5_SD_S8_SB_S5_SD_SB_PS3_PS7_21rocsparse_index_base_SG_SG_SG_bbb,comdat
	.globl	_ZN9rocsparseL26csrgemm_fill_block_per_rowILj1024ELj64ELj8192ELj137ELj32Eli21rocsparse_complex_numIdEEEvT5_PKS3_S5_NS_24const_host_device_scalarIT6_EEPKT4_S5_PKS7_SB_S5_SD_S8_SB_S5_SD_SB_PS3_PS7_21rocsparse_index_base_SG_SG_SG_bbb ; -- Begin function _ZN9rocsparseL26csrgemm_fill_block_per_rowILj1024ELj64ELj8192ELj137ELj32Eli21rocsparse_complex_numIdEEEvT5_PKS3_S5_NS_24const_host_device_scalarIT6_EEPKT4_S5_PKS7_SB_S5_SD_S8_SB_S5_SD_SB_PS3_PS7_21rocsparse_index_base_SG_SG_SG_bbb
	.p2align	8
	.type	_ZN9rocsparseL26csrgemm_fill_block_per_rowILj1024ELj64ELj8192ELj137ELj32Eli21rocsparse_complex_numIdEEEvT5_PKS3_S5_NS_24const_host_device_scalarIT6_EEPKT4_S5_PKS7_SB_S5_SD_S8_SB_S5_SD_SB_PS3_PS7_21rocsparse_index_base_SG_SG_SG_bbb,@function
_ZN9rocsparseL26csrgemm_fill_block_per_rowILj1024ELj64ELj8192ELj137ELj32Eli21rocsparse_complex_numIdEEEvT5_PKS3_S5_NS_24const_host_device_scalarIT6_EEPKT4_S5_PKS7_SB_S5_SD_S8_SB_S5_SD_SB_PS3_PS7_21rocsparse_index_base_SG_SG_SG_bbb: ; @_ZN9rocsparseL26csrgemm_fill_block_per_rowILj1024ELj64ELj8192ELj137ELj32Eli21rocsparse_complex_numIdEEEvT5_PKS3_S5_NS_24const_host_device_scalarIT6_EEPKT4_S5_PKS7_SB_S5_SD_S8_SB_S5_SD_SB_PS3_PS7_21rocsparse_index_base_SG_SG_SG_bbb
; %bb.0:
	s_add_u32 flat_scratch_lo, s6, s9
	s_addc_u32 flat_scratch_hi, s7, 0
	s_add_u32 s0, s0, s9
	s_load_dword s9, s[4:5], 0xa8
	s_load_dwordx8 s[12:19], s[4:5], 0x8
	s_load_dwordx4 s[68:71], s[4:5], 0x98
	s_load_dwordx4 s[20:23], s[4:5], 0x58
	s_addc_u32 s1, s1, 0
	v_pk_mov_b32 v[2:3], 0, 0
	s_waitcnt lgkmcnt(0)
	s_bitcmp1_b32 s9, 0
	v_mov_b32_e32 v1, s17
	s_cselect_b64 s[24:25], -1, 0
	s_bitcmp1_b32 s9, 16
	buffer_store_dword v1, off, s[0:3], 0 offset:20
	v_mov_b32_e32 v1, s16
	s_cselect_b64 s[6:7], -1, 0
	buffer_store_dword v1, off, s[0:3], 0 offset:16
	v_mov_b32_e32 v1, s21
	buffer_store_dword v1, off, s[0:3], 0 offset:28
	v_mov_b32_e32 v1, s20
	s_xor_b64 s[10:11], s[6:7], -1
	buffer_store_dword v1, off, s[0:3], 0 offset:24
	v_cndmask_b32_e64 v1, 0, 1, s[10:11]
	s_bitcmp0_b32 s9, 0
	v_cmp_ne_u32_e64 s[10:11], 1, v1
	v_pk_mov_b32 v[6:7], v[2:3], v[2:3] op_sel:[0,1]
	v_pk_mov_b32 v[8:9], v[2:3], v[2:3] op_sel:[0,1]
	s_cbranch_scc1 .LBB251_3
; %bb.1:
	s_mov_b64 s[26:27], src_private_base
	s_and_b64 s[28:29], s[6:7], exec
	s_cselect_b32 s26, s27, s17
	v_mov_b32_e32 v1, 16
	v_mov_b32_e32 v4, s16
	v_cndmask_b32_e64 v4, v4, v1, s[6:7]
	v_mov_b32_e32 v5, s26
	flat_load_dwordx2 v[6:7], v[4:5]
	s_and_b64 vcc, exec, s[10:11]
	v_pk_mov_b32 v[8:9], s[18:19], s[18:19] op_sel:[0,1]
	s_cbranch_vccnz .LBB251_3
; %bb.2:
	v_pk_mov_b32 v[4:5], s[16:17], s[16:17] op_sel:[0,1]
	flat_load_dwordx2 v[8:9], v[4:5] offset:8
.LBB251_3:
	s_bitcmp1_b32 s9, 8
	s_cselect_b64 s[16:17], -1, 0
	s_bfe_u32 s9, s9, 0x10008
	s_cmp_eq_u32 s9, 0
	v_pk_mov_b32 v[4:5], v[2:3], v[2:3] op_sel:[0,1]
	s_cbranch_scc1 .LBB251_6
; %bb.4:
	s_mov_b64 s[18:19], src_private_base
	s_and_b64 s[26:27], s[6:7], exec
	s_cselect_b32 s9, s19, s21
	v_mov_b32_e32 v1, 24
	v_mov_b32_e32 v2, s20
	v_cndmask_b32_e64 v2, v2, v1, s[6:7]
	v_mov_b32_e32 v3, s9
	flat_load_dwordx2 v[4:5], v[2:3]
	s_and_b64 vcc, exec, s[10:11]
	v_pk_mov_b32 v[2:3], s[22:23], s[22:23] op_sel:[0,1]
	s_cbranch_vccnz .LBB251_6
; %bb.5:
	v_pk_mov_b32 v[2:3], s[20:21], s[20:21] op_sel:[0,1]
	flat_load_dwordx2 v[2:3], v[2:3] offset:8
.LBB251_6:
	s_load_dword s33, s[4:5], 0x0
	s_mov_b32 s6, 0
	v_lshl_add_u32 v1, v0, 2, 0
	s_mov_b32 s7, s6
	v_mad_u32_u24 v14, v0, 12, v1
	s_waitcnt lgkmcnt(0)
	v_mov_b32_e32 v10, s33
	ds_write_b32 v1, v10
	v_pk_mov_b32 v[10:11], s[6:7], s[6:7] op_sel:[0,1]
	s_add_i32 s7, 0, 0x8000
	s_mov_b32 s10, s6
	s_mov_b32 s11, s6
	v_lshl_add_u32 v16, v0, 4, s7
	v_add_u32_e32 v15, 0x8000, v14
	v_pk_mov_b32 v[12:13], s[10:11], s[10:11] op_sel:[0,1]
	v_add_u32_e32 v17, 0x4000, v16
	ds_write2_b64 v15, v[10:11], v[12:13] offset1:1
	v_mad_i32_i24 v14, v0, -12, v14
	v_mov_b32_e32 v15, s33
	ds_write2_b64 v17, v[10:11], v[12:13] offset1:1
	v_mov_b32_e32 v17, s33
	ds_write2st64_b32 v14, v15, v17 offset0:16 offset1:32
	v_add_u32_e32 v15, 0x8000, v16
	v_add_u32_e32 v17, 0xc000, v16
	ds_write2_b64 v15, v[10:11], v[12:13] offset1:1
	v_mov_b32_e32 v15, s33
	ds_write2_b64 v17, v[10:11], v[12:13] offset1:1
	v_mov_b32_e32 v17, s33
	ds_write2st64_b32 v14, v15, v17 offset0:48 offset1:64
	v_add_u32_e32 v15, 0x10000, v16
	v_add_u32_e32 v17, 0x14000, v16
	ds_write2_b64 v15, v[10:11], v[12:13] offset1:1
	v_mov_b32_e32 v15, s33
	ds_write2_b64 v17, v[10:11], v[12:13] offset1:1
	v_mov_b32_e32 v17, s33
	ds_write2st64_b32 v14, v15, v17 offset0:80 offset1:96
	v_add_u32_e32 v15, 0x18000, v16
	ds_write2_b64 v15, v[10:11], v[12:13] offset1:1
	v_mov_b32_e32 v15, s33
	ds_write_b32 v14, v15 offset:28672
	v_add_u32_e32 v14, 0x1c000, v16
	ds_write2_b64 v14, v[10:11], v[12:13] offset1:1
	s_waitcnt lgkmcnt(0)
	s_barrier
	s_load_dword s7, s[12:13], 0x0
	s_mov_b32 s9, s6
	s_waitcnt lgkmcnt(0)
	s_add_i32 s8, s7, s8
	s_lshl_b64 s[6:7], s[8:9], 2
	s_add_u32 s6, s14, s6
	s_addc_u32 s7, s15, s7
	s_load_dword s46, s[6:7], 0x0
	s_andn2_b64 vcc, exec, s[24:25]
	s_cbranch_vccnz .LBB251_26
; %bb.7:
	s_load_dwordx2 s[6:7], s[4:5], 0x28
	s_waitcnt lgkmcnt(0)
	s_ashr_i32 s47, s46, 31
	s_lshl_b64 s[8:9], s[46:47], 3
	v_lshrrev_b32_e32 v10, 6, v0
	v_subrev_co_u32_e32 v10, vcc, s68, v10
	s_add_u32 s6, s6, s8
	s_addc_u32 s7, s7, s9
	s_load_dwordx4 s[8:11], s[6:7], 0x0
	v_subb_co_u32_e64 v11, s[6:7], 0, 0, vcc
	s_waitcnt lgkmcnt(0)
	s_sub_u32 s6, s10, s68
	v_mov_b32_e32 v12, s9
	v_add_co_u32_e32 v10, vcc, s8, v10
	s_subb_u32 s7, s11, 0
	v_addc_co_u32_e32 v11, vcc, v12, v11, vcc
	v_cmp_gt_i64_e32 vcc, s[6:7], v[10:11]
	s_and_saveexec_b64 s[18:19], vcc
	s_cbranch_execz .LBB251_25
; %bb.8:
	s_load_dwordx2 s[20:21], s[4:5], 0x50
	s_load_dwordx8 s[8:15], s[4:5], 0x30
	v_and_b32_e32 v12, 63, v0
	v_subrev_co_u32_e32 v25, vcc, s69, v12
	s_mov_b32 s24, 0
	v_subb_co_u32_e64 v26, s[22:23], 0, 0, vcc
	s_mov_b32 s42, s69
	s_mov_b64 s[22:23], 0
	s_waitcnt lgkmcnt(0)
	v_mov_b32_e32 v27, s9
	v_mov_b32_e32 v28, s13
	;; [unrolled: 1-line block ×3, first 2 shown]
	s_movk_i32 s9, 0x89
	s_branch .LBB251_10
.LBB251_9:                              ;   in Loop: Header=BB251_10 Depth=1
	s_or_b64 exec, exec, s[24:25]
	v_add_co_u32_e32 v10, vcc, 16, v10
	v_addc_co_u32_e32 v11, vcc, 0, v11, vcc
	v_cmp_le_i64_e32 vcc, s[6:7], v[10:11]
	s_or_b64 s[22:23], vcc, s[22:23]
	s_andn2_b64 exec, exec, s[22:23]
	s_cbranch_execz .LBB251_25
.LBB251_10:                             ; =>This Loop Header: Depth=1
                                        ;     Child Loop BB251_13 Depth 2
                                        ;       Child Loop BB251_15 Depth 3
	v_lshlrev_b64 v[12:13], 2, v[10:11]
	v_add_co_u32_e32 v12, vcc, s8, v12
	v_addc_co_u32_e32 v13, vcc, v27, v13, vcc
	global_load_dword v12, v[12:13], off
	s_waitcnt vmcnt(0)
	v_subrev_u32_e32 v12, s68, v12
	v_ashrrev_i32_e32 v13, 31, v12
	v_lshlrev_b64 v[12:13], 3, v[12:13]
	v_add_co_u32_e32 v12, vcc, s12, v12
	v_addc_co_u32_e32 v13, vcc, v28, v13, vcc
	global_load_dwordx4 v[14:17], v[12:13], off
	s_waitcnt vmcnt(0)
	v_subrev_co_u32_e32 v12, vcc, s42, v16
	v_subb_co_u32_e32 v13, vcc, v17, v29, vcc
	v_add_co_u32_e32 v14, vcc, v14, v25
	v_addc_co_u32_e32 v15, vcc, v15, v26, vcc
	v_cmp_lt_i64_e32 vcc, v[14:15], v[12:13]
	s_and_saveexec_b64 s[24:25], vcc
	s_cbranch_execz .LBB251_9
; %bb.11:                               ;   in Loop: Header=BB251_10 Depth=1
	v_lshlrev_b64 v[16:17], 4, v[10:11]
	v_mov_b32_e32 v18, s11
	v_add_co_u32_e32 v16, vcc, s10, v16
	v_addc_co_u32_e32 v17, vcc, v18, v17, vcc
	global_load_dwordx4 v[20:23], v[16:17], off
	s_mov_b64 s[26:27], 0
	s_waitcnt vmcnt(0)
	v_mul_f64 v[16:17], v[22:23], -v[8:9]
	v_mul_f64 v[18:19], v[6:7], v[22:23]
	v_fmac_f64_e32 v[16:17], v[6:7], v[20:21]
	v_fmac_f64_e32 v[18:19], v[8:9], v[20:21]
	s_branch .LBB251_13
.LBB251_12:                             ;   in Loop: Header=BB251_13 Depth=2
	s_or_b64 exec, exec, s[28:29]
	v_add_co_u32_e32 v14, vcc, 64, v14
	v_addc_co_u32_e32 v15, vcc, 0, v15, vcc
	v_cmp_ge_i64_e32 vcc, v[14:15], v[12:13]
	s_or_b64 s[26:27], vcc, s[26:27]
	s_andn2_b64 exec, exec, s[26:27]
	s_cbranch_execz .LBB251_9
.LBB251_13:                             ;   Parent Loop BB251_10 Depth=1
                                        ; =>  This Loop Header: Depth=2
                                        ;       Child Loop BB251_15 Depth 3
	v_lshlrev_b64 v[20:21], 2, v[14:15]
	v_mov_b32_e32 v22, s15
	v_add_co_u32_e32 v20, vcc, s14, v20
	v_addc_co_u32_e32 v21, vcc, v22, v21, vcc
	global_load_dword v22, v[20:21], off
	v_lshlrev_b64 v[20:21], 4, v[14:15]
	v_mov_b32_e32 v23, s21
	v_add_co_u32_e32 v20, vcc, s20, v20
	v_addc_co_u32_e32 v21, vcc, v23, v21, vcc
	global_load_dwordx4 v[32:35], v[20:21], off
	s_mov_b64 s[28:29], 0
	s_waitcnt vmcnt(1)
	v_subrev_u32_e32 v30, s69, v22
	v_mul_lo_u32 v24, v30, s9
	v_and_b32_e32 v31, 0x1fff, v24
	s_waitcnt vmcnt(0)
	v_mul_f64 v[20:21], v[34:35], -v[18:19]
	v_mul_f64 v[22:23], v[16:17], v[34:35]
	v_fmac_f64_e32 v[20:21], v[16:17], v[32:33]
	v_fmac_f64_e32 v[22:23], v[18:19], v[32:33]
	s_branch .LBB251_15
.LBB251_14:                             ;   in Loop: Header=BB251_15 Depth=3
	s_or_b64 exec, exec, s[30:31]
	s_xor_b64 s[30:31], s[34:35], -1
	s_and_b64 s[30:31], exec, s[30:31]
	s_or_b64 s[28:29], s[30:31], s[28:29]
	s_andn2_b64 exec, exec, s[28:29]
	s_cbranch_execz .LBB251_12
.LBB251_15:                             ;   Parent Loop BB251_10 Depth=1
                                        ;     Parent Loop BB251_13 Depth=2
                                        ; =>    This Inner Loop Header: Depth=3
	v_lshl_add_u32 v24, v31, 2, 0
	ds_read_b32 v32, v24
                                        ; implicit-def: $sgpr34_sgpr35
	s_waitcnt lgkmcnt(0)
	v_cmp_ne_u32_e32 vcc, v32, v30
	s_and_saveexec_b64 s[30:31], vcc
	s_xor_b64 s[30:31], exec, s[30:31]
	s_cbranch_execz .LBB251_23
; %bb.16:                               ;   in Loop: Header=BB251_15 Depth=3
	v_cmp_ne_u32_e32 vcc, s33, v32
                                        ; implicit-def: $sgpr34_sgpr35
	s_and_saveexec_b64 s[36:37], vcc
	s_xor_b64 s[36:37], exec, s[36:37]
; %bb.17:                               ;   in Loop: Header=BB251_15 Depth=3
	v_add_u32_e32 v24, 1, v31
	v_and_b32_e32 v31, 0x1fff, v24
	s_mov_b64 s[34:35], -1
                                        ; implicit-def: $vgpr24
; %bb.18:                               ;   in Loop: Header=BB251_15 Depth=3
	s_andn2_saveexec_b64 s[36:37], s[36:37]
	s_cbranch_execz .LBB251_22
; %bb.19:                               ;   in Loop: Header=BB251_15 Depth=3
	v_mov_b32_e32 v32, s33
	ds_cmpst_rtn_b32 v32, v24, v32, v30
	s_mov_b64 s[40:41], -1
	s_waitcnt lgkmcnt(0)
	v_cmp_eq_u32_e32 vcc, s33, v32
	s_and_saveexec_b64 s[38:39], vcc
	s_cbranch_execz .LBB251_21
; %bb.20:                               ;   in Loop: Header=BB251_15 Depth=3
	v_mad_u64_u32 v[32:33], s[40:41], v31, 12, v[24:25]
	ds_add_f64 v32, v[20:21] offset:32768
	ds_add_f64 v32, v[22:23] offset:32776
	s_xor_b64 s[40:41], exec, -1
.LBB251_21:                             ;   in Loop: Header=BB251_15 Depth=3
	s_or_b64 exec, exec, s[38:39]
	s_andn2_b64 s[34:35], s[34:35], exec
	s_and_b64 s[38:39], s[40:41], exec
	s_or_b64 s[34:35], s[34:35], s[38:39]
.LBB251_22:                             ;   in Loop: Header=BB251_15 Depth=3
	s_or_b64 exec, exec, s[36:37]
	s_and_b64 s[34:35], s[34:35], exec
                                        ; implicit-def: $vgpr24
.LBB251_23:                             ;   in Loop: Header=BB251_15 Depth=3
	s_andn2_saveexec_b64 s[30:31], s[30:31]
	s_cbranch_execz .LBB251_14
; %bb.24:                               ;   in Loop: Header=BB251_15 Depth=3
	v_mad_u64_u32 v[32:33], s[36:37], v31, 12, v[24:25]
	ds_add_f64 v32, v[20:21] offset:32768
	ds_add_f64 v32, v[22:23] offset:32776
	s_andn2_b64 s[34:35], s[34:35], exec
	s_branch .LBB251_14
.LBB251_25:
	s_or_b64 exec, exec, s[18:19]
.LBB251_26:
	s_load_dwordx2 s[28:29], s[4:5], 0x90
	s_load_dwordx4 s[8:11], s[4:5], 0x80
                                        ; implicit-def: $vgpr36 : SGPR spill to VGPR lane
	s_andn2_b64 vcc, exec, s[16:17]
	s_waitcnt lgkmcnt(0)
	v_writelane_b32 v36, s8, 0
	v_writelane_b32 v36, s9, 1
	;; [unrolled: 1-line block ×4, first 2 shown]
	s_cbranch_vccnz .LBB251_43
; %bb.27:
	s_load_dwordx2 s[6:7], s[4:5], 0x68
	s_ashr_i32 s47, s46, 31
	s_lshl_b64 s[8:9], s[46:47], 3
	s_waitcnt vmcnt(0)
	v_subrev_co_u32_e32 v6, vcc, s71, v0
	s_waitcnt lgkmcnt(0)
	s_add_u32 s6, s6, s8
	s_addc_u32 s7, s7, s9
	s_load_dwordx4 s[12:15], s[6:7], 0x0
	v_subb_co_u32_e64 v7, s[6:7], 0, 0, vcc
	s_waitcnt lgkmcnt(0)
	s_sub_u32 s8, s14, s71
	v_mov_b32_e32 v8, s13
	v_add_co_u32_e32 v6, vcc, s12, v6
	s_subb_u32 s9, s15, 0
	v_addc_co_u32_e32 v7, vcc, v8, v7, vcc
	v_cmp_gt_i64_e32 vcc, s[8:9], v[6:7]
	s_and_saveexec_b64 s[10:11], vcc
	s_cbranch_execz .LBB251_42
; %bb.28:
	s_load_dwordx4 s[4:7], s[4:5], 0x70
	s_mov_b64 s[12:13], 0
	s_waitcnt lgkmcnt(0)
	v_mov_b32_e32 v13, s5
	v_mov_b32_e32 v14, s7
	s_movk_i32 s5, 0x89
	s_branch .LBB251_30
.LBB251_29:                             ;   in Loop: Header=BB251_30 Depth=1
	s_or_b64 exec, exec, s[14:15]
	v_add_co_u32_e32 v6, vcc, 0x400, v6
	v_addc_co_u32_e32 v7, vcc, 0, v7, vcc
	v_cmp_le_i64_e32 vcc, s[8:9], v[6:7]
	s_or_b64 s[12:13], vcc, s[12:13]
	s_andn2_b64 exec, exec, s[12:13]
	s_cbranch_execz .LBB251_42
.LBB251_30:                             ; =>This Loop Header: Depth=1
                                        ;     Child Loop BB251_32 Depth 2
	v_lshlrev_b64 v[8:9], 2, v[6:7]
	v_add_co_u32_e32 v8, vcc, s4, v8
	v_addc_co_u32_e32 v9, vcc, v13, v9, vcc
	global_load_dword v10, v[8:9], off
	v_lshlrev_b64 v[8:9], 4, v[6:7]
	v_add_co_u32_e32 v8, vcc, s6, v8
	v_addc_co_u32_e32 v9, vcc, v14, v9, vcc
	global_load_dwordx4 v[16:19], v[8:9], off
	s_mov_b64 s[14:15], 0
	s_waitcnt vmcnt(1)
	v_subrev_u32_e32 v15, s71, v10
	v_mul_lo_u32 v12, v15, s5
	s_waitcnt vmcnt(0)
	v_mul_f64 v[8:9], v[18:19], -v[2:3]
	v_mul_f64 v[10:11], v[4:5], v[18:19]
	v_fmac_f64_e32 v[8:9], v[4:5], v[16:17]
	v_fmac_f64_e32 v[10:11], v[2:3], v[16:17]
	v_and_b32_e32 v16, 0x1fff, v12
	s_branch .LBB251_32
.LBB251_31:                             ;   in Loop: Header=BB251_32 Depth=2
	s_or_b64 exec, exec, s[16:17]
	s_xor_b64 s[16:17], s[18:19], -1
	s_and_b64 s[16:17], exec, s[16:17]
	s_or_b64 s[14:15], s[16:17], s[14:15]
	s_andn2_b64 exec, exec, s[14:15]
	s_cbranch_execz .LBB251_29
.LBB251_32:                             ;   Parent Loop BB251_30 Depth=1
                                        ; =>  This Inner Loop Header: Depth=2
	v_lshl_add_u32 v12, v16, 2, 0
	ds_read_b32 v17, v12
                                        ; implicit-def: $sgpr18_sgpr19
	s_waitcnt lgkmcnt(0)
	v_cmp_ne_u32_e32 vcc, v17, v15
	s_and_saveexec_b64 s[16:17], vcc
	s_xor_b64 s[16:17], exec, s[16:17]
	s_cbranch_execz .LBB251_40
; %bb.33:                               ;   in Loop: Header=BB251_32 Depth=2
	v_cmp_ne_u32_e32 vcc, s33, v17
                                        ; implicit-def: $sgpr18_sgpr19
	s_and_saveexec_b64 s[20:21], vcc
	s_xor_b64 s[20:21], exec, s[20:21]
; %bb.34:                               ;   in Loop: Header=BB251_32 Depth=2
	v_add_u32_e32 v12, 1, v16
	v_and_b32_e32 v16, 0x1fff, v12
	s_mov_b64 s[18:19], -1
                                        ; implicit-def: $vgpr12
; %bb.35:                               ;   in Loop: Header=BB251_32 Depth=2
	s_andn2_saveexec_b64 s[20:21], s[20:21]
	s_cbranch_execz .LBB251_39
; %bb.36:                               ;   in Loop: Header=BB251_32 Depth=2
	v_mov_b32_e32 v17, s33
	ds_cmpst_rtn_b32 v17, v12, v17, v15
	s_mov_b64 s[24:25], -1
	s_waitcnt lgkmcnt(0)
	v_cmp_eq_u32_e32 vcc, s33, v17
	s_and_saveexec_b64 s[22:23], vcc
	s_cbranch_execz .LBB251_38
; %bb.37:                               ;   in Loop: Header=BB251_32 Depth=2
	v_mad_u64_u32 v[18:19], s[24:25], v16, 12, v[12:13]
	ds_add_f64 v18, v[8:9] offset:32768
	ds_add_f64 v18, v[10:11] offset:32776
	s_xor_b64 s[24:25], exec, -1
.LBB251_38:                             ;   in Loop: Header=BB251_32 Depth=2
	s_or_b64 exec, exec, s[22:23]
	s_andn2_b64 s[18:19], s[18:19], exec
	s_and_b64 s[22:23], s[24:25], exec
	s_or_b64 s[18:19], s[18:19], s[22:23]
.LBB251_39:                             ;   in Loop: Header=BB251_32 Depth=2
	s_or_b64 exec, exec, s[20:21]
	s_and_b64 s[18:19], s[18:19], exec
                                        ; implicit-def: $vgpr12
.LBB251_40:                             ;   in Loop: Header=BB251_32 Depth=2
	s_andn2_saveexec_b64 s[16:17], s[16:17]
	s_cbranch_execz .LBB251_31
; %bb.41:                               ;   in Loop: Header=BB251_32 Depth=2
	v_mad_u64_u32 v[18:19], s[20:21], v16, 12, v[12:13]
	ds_add_f64 v18, v[8:9] offset:32768
	ds_add_f64 v18, v[10:11] offset:32776
	s_andn2_b64 s[18:19], s[18:19], exec
	s_branch .LBB251_31
.LBB251_42:
	s_or_b64 exec, exec, s[10:11]
.LBB251_43:
	v_writelane_b32 v36, s28, 4
	v_writelane_b32 v36, s29, 5
	;; [unrolled: 1-line block ×4, first 2 shown]
	s_add_i32 s4, 0, 0x28000
	v_writelane_b32 v36, s4, 8
	s_add_i32 s64, 0, 0x28004
	v_writelane_b32 v36, s64, 9
	s_add_i32 s64, 0, 0x28008
	v_writelane_b32 v36, s64, 10
	s_add_i32 s64, 0, 0x2800c
	v_writelane_b32 v36, s64, 11
	s_add_i32 s64, 0, 0x28010
	v_writelane_b32 v36, s64, 12
	s_add_i32 s64, 0, 0x28014
	s_waitcnt vmcnt(0)
	v_lshrrev_b32_e32 v5, 3, v0
	v_writelane_b32 v36, s64, 13
	s_add_i32 s64, 0, 0x28018
	v_mbcnt_lo_u32_b32 v2, -1, 0
	v_and_b32_e32 v5, 0x7c, v5
	v_writelane_b32 v36, s64, 14
	s_add_i32 s64, 0, 0x2801c
	v_mbcnt_hi_u32_b32 v2, -1, v2
	v_add_u32_e32 v5, s4, v5
	s_movk_i32 s4, 0x3ff
	v_writelane_b32 v36, s64, 15
	s_add_i32 s64, 0, 0x28020
	v_sub_u32_e32 v2, 63, v2
	v_cmp_eq_u32_e32 vcc, s4, v0
	s_movk_i32 s4, 0x5f
	s_movk_i32 s6, 0x7f
	;; [unrolled: 1-line block ×29, first 2 shown]
	v_lshl_add_u32 v6, v0, 4, 0
	v_writelane_b32 v36, s64, 16
	s_add_i32 s64, 0, 0x28024
	v_mov_b32_e32 v4, 0
	v_lshrrev_b64 v[2:3], v2, -1
	v_cmp_lt_u32_e64 s[4:5], s4, v0
	v_cmp_lt_u32_e64 s[6:7], s6, v0
	;; [unrolled: 1-line block ×29, first 2 shown]
	v_add_u32_e32 v6, 0x8000, v6
	v_or_b32_e32 v7, 0xfffffc00, v0
	v_writelane_b32 v36, s64, 17
	s_add_i32 s92, 0, 0x28028
	s_add_i32 s93, 0, 0x2802c
	;; [unrolled: 1-line block ×22, first 2 shown]
	s_movk_i32 s89, 0x1bff
	v_cmp_lt_u32_e64 s[64:65], 31, v0
	v_cmp_lt_u32_e64 s[66:67], 63, v0
	s_mov_b64 s[80:81], 0
	s_waitcnt lgkmcnt(0)
	s_barrier
	s_branch .LBB251_45
.LBB251_44:                             ;   in Loop: Header=BB251_45 Depth=1
	s_or_b64 exec, exec, s[68:69]
	v_mov_b32_e32 v8, s88
	s_waitcnt lgkmcnt(0)
	s_barrier
	ds_read_b32 v8, v8
	v_add_u32_e32 v7, 0x400, v7
	v_cmp_lt_u32_e64 s[68:69], s89, v7
	v_add_u32_e32 v6, 0x4000, v6
	s_or_b64 s[80:81], s[68:69], s[80:81]
	s_waitcnt lgkmcnt(0)
	v_add_u32_e32 v4, v8, v4
	v_add_u32_e32 v1, 0x1000, v1
	s_andn2_b64 exec, exec, s[80:81]
	s_cbranch_execz .LBB251_111
.LBB251_45:                             ; =>This Inner Loop Header: Depth=1
	ds_read2_b64 v[10:13], v6 offset1:1
	ds_read_b32 v9, v1
	s_waitcnt lgkmcnt(1)
	buffer_store_dword v13, off, s[0:3], 0 offset:12
	buffer_store_dword v12, off, s[0:3], 0 offset:8
	;; [unrolled: 1-line block ×3, first 2 shown]
	buffer_store_dword v10, off, s[0:3], 0
	s_waitcnt lgkmcnt(0)
	v_cmp_gt_i32_e64 s[68:69], s33, v9
	v_and_b32_e32 v10, s68, v2
	s_bcnt1_i32_b64 s82, s[68:69]
	v_and_b32_e32 v8, s69, v3
	v_bcnt_u32_b32 v10, v10, 0
	v_bcnt_u32_b32 v8, v8, v10
	v_mov_b32_e32 v10, s82
	s_barrier
	ds_write_b32 v5, v10
	s_waitcnt lgkmcnt(0)
	s_barrier
	s_and_saveexec_b64 s[82:83], s[64:65]
	s_cbranch_execnz .LBB251_78
; %bb.46:                               ;   in Loop: Header=BB251_45 Depth=1
	s_or_b64 exec, exec, s[82:83]
	s_and_saveexec_b64 s[82:83], s[66:67]
	s_cbranch_execnz .LBB251_79
.LBB251_47:                             ;   in Loop: Header=BB251_45 Depth=1
	s_or_b64 exec, exec, s[82:83]
	s_and_saveexec_b64 s[82:83], s[4:5]
	s_cbranch_execnz .LBB251_80
.LBB251_48:                             ;   in Loop: Header=BB251_45 Depth=1
	s_or_b64 exec, exec, s[82:83]
	s_and_saveexec_b64 s[82:83], s[6:7]
	s_cbranch_execnz .LBB251_81
.LBB251_49:                             ;   in Loop: Header=BB251_45 Depth=1
	s_or_b64 exec, exec, s[82:83]
	s_and_saveexec_b64 s[82:83], s[8:9]
	s_cbranch_execnz .LBB251_82
.LBB251_50:                             ;   in Loop: Header=BB251_45 Depth=1
	s_or_b64 exec, exec, s[82:83]
	s_and_saveexec_b64 s[82:83], s[10:11]
	s_cbranch_execnz .LBB251_83
.LBB251_51:                             ;   in Loop: Header=BB251_45 Depth=1
	s_or_b64 exec, exec, s[82:83]
	s_and_saveexec_b64 s[82:83], s[12:13]
	s_cbranch_execnz .LBB251_84
.LBB251_52:                             ;   in Loop: Header=BB251_45 Depth=1
	s_or_b64 exec, exec, s[82:83]
	s_and_saveexec_b64 s[82:83], s[14:15]
	s_cbranch_execnz .LBB251_85
.LBB251_53:                             ;   in Loop: Header=BB251_45 Depth=1
	s_or_b64 exec, exec, s[82:83]
	s_and_saveexec_b64 s[82:83], s[16:17]
	s_cbranch_execnz .LBB251_86
.LBB251_54:                             ;   in Loop: Header=BB251_45 Depth=1
	s_or_b64 exec, exec, s[82:83]
	s_and_saveexec_b64 s[82:83], s[18:19]
	s_cbranch_execnz .LBB251_87
.LBB251_55:                             ;   in Loop: Header=BB251_45 Depth=1
	s_or_b64 exec, exec, s[82:83]
	s_and_saveexec_b64 s[82:83], s[20:21]
	s_cbranch_execnz .LBB251_88
.LBB251_56:                             ;   in Loop: Header=BB251_45 Depth=1
	s_or_b64 exec, exec, s[82:83]
	s_and_saveexec_b64 s[82:83], s[22:23]
	s_cbranch_execnz .LBB251_89
.LBB251_57:                             ;   in Loop: Header=BB251_45 Depth=1
	s_or_b64 exec, exec, s[82:83]
	s_and_saveexec_b64 s[82:83], s[24:25]
	s_cbranch_execnz .LBB251_90
.LBB251_58:                             ;   in Loop: Header=BB251_45 Depth=1
	s_or_b64 exec, exec, s[82:83]
	s_and_saveexec_b64 s[82:83], s[26:27]
	s_cbranch_execnz .LBB251_91
.LBB251_59:                             ;   in Loop: Header=BB251_45 Depth=1
	s_or_b64 exec, exec, s[82:83]
	s_and_saveexec_b64 s[82:83], s[28:29]
	s_cbranch_execnz .LBB251_92
.LBB251_60:                             ;   in Loop: Header=BB251_45 Depth=1
	s_or_b64 exec, exec, s[82:83]
	s_and_saveexec_b64 s[82:83], s[30:31]
	s_cbranch_execnz .LBB251_93
.LBB251_61:                             ;   in Loop: Header=BB251_45 Depth=1
	s_or_b64 exec, exec, s[82:83]
	s_and_saveexec_b64 s[82:83], s[34:35]
	s_cbranch_execnz .LBB251_94
.LBB251_62:                             ;   in Loop: Header=BB251_45 Depth=1
	s_or_b64 exec, exec, s[82:83]
	s_and_saveexec_b64 s[82:83], s[36:37]
	s_cbranch_execnz .LBB251_95
.LBB251_63:                             ;   in Loop: Header=BB251_45 Depth=1
	s_or_b64 exec, exec, s[82:83]
	s_and_saveexec_b64 s[82:83], s[38:39]
	s_cbranch_execnz .LBB251_96
.LBB251_64:                             ;   in Loop: Header=BB251_45 Depth=1
	s_or_b64 exec, exec, s[82:83]
	s_and_saveexec_b64 s[82:83], s[40:41]
	s_cbranch_execnz .LBB251_97
.LBB251_65:                             ;   in Loop: Header=BB251_45 Depth=1
	s_or_b64 exec, exec, s[82:83]
	s_and_saveexec_b64 s[82:83], s[42:43]
	s_cbranch_execnz .LBB251_98
.LBB251_66:                             ;   in Loop: Header=BB251_45 Depth=1
	s_or_b64 exec, exec, s[82:83]
	s_and_saveexec_b64 s[82:83], s[44:45]
	s_cbranch_execnz .LBB251_99
.LBB251_67:                             ;   in Loop: Header=BB251_45 Depth=1
	s_or_b64 exec, exec, s[82:83]
	s_and_saveexec_b64 s[82:83], s[46:47]
	s_cbranch_execnz .LBB251_100
.LBB251_68:                             ;   in Loop: Header=BB251_45 Depth=1
	s_or_b64 exec, exec, s[82:83]
	s_and_saveexec_b64 s[82:83], s[48:49]
	s_cbranch_execnz .LBB251_101
.LBB251_69:                             ;   in Loop: Header=BB251_45 Depth=1
	s_or_b64 exec, exec, s[82:83]
	s_and_saveexec_b64 s[82:83], s[50:51]
	s_cbranch_execnz .LBB251_102
.LBB251_70:                             ;   in Loop: Header=BB251_45 Depth=1
	s_or_b64 exec, exec, s[82:83]
	s_and_saveexec_b64 s[82:83], s[52:53]
	s_cbranch_execnz .LBB251_103
.LBB251_71:                             ;   in Loop: Header=BB251_45 Depth=1
	s_or_b64 exec, exec, s[82:83]
	s_and_saveexec_b64 s[82:83], s[54:55]
	s_cbranch_execnz .LBB251_104
.LBB251_72:                             ;   in Loop: Header=BB251_45 Depth=1
	s_or_b64 exec, exec, s[82:83]
	s_and_saveexec_b64 s[82:83], s[56:57]
	s_cbranch_execnz .LBB251_105
.LBB251_73:                             ;   in Loop: Header=BB251_45 Depth=1
	s_or_b64 exec, exec, s[82:83]
	s_and_saveexec_b64 s[82:83], s[58:59]
	s_cbranch_execnz .LBB251_106
.LBB251_74:                             ;   in Loop: Header=BB251_45 Depth=1
	s_or_b64 exec, exec, s[82:83]
	s_and_saveexec_b64 s[82:83], s[60:61]
	s_cbranch_execnz .LBB251_107
.LBB251_75:                             ;   in Loop: Header=BB251_45 Depth=1
	s_or_b64 exec, exec, s[82:83]
	s_and_saveexec_b64 s[82:83], s[62:63]
	s_cbranch_execnz .LBB251_108
.LBB251_76:                             ;   in Loop: Header=BB251_45 Depth=1
	s_or_b64 exec, exec, s[82:83]
	s_and_saveexec_b64 s[82:83], s[68:69]
	s_cbranch_execnz .LBB251_109
.LBB251_77:                             ;   in Loop: Header=BB251_45 Depth=1
	s_or_b64 exec, exec, s[82:83]
	s_and_saveexec_b64 s[68:69], vcc
	s_cbranch_execz .LBB251_44
	s_branch .LBB251_110
.LBB251_78:                             ;   in Loop: Header=BB251_45 Depth=1
	v_readlane_b32 s90, v36, 8
	v_mov_b32_e32 v10, s90
	ds_read_b32 v10, v10
	s_waitcnt lgkmcnt(0)
	v_add_u32_e32 v8, v10, v8
	s_or_b64 exec, exec, s[82:83]
	s_and_saveexec_b64 s[82:83], s[66:67]
	s_cbranch_execz .LBB251_47
.LBB251_79:                             ;   in Loop: Header=BB251_45 Depth=1
	v_readlane_b32 s90, v36, 9
	v_mov_b32_e32 v10, s90
	ds_read_b32 v10, v10
	s_waitcnt lgkmcnt(0)
	v_add_u32_e32 v8, v10, v8
	s_or_b64 exec, exec, s[82:83]
	s_and_saveexec_b64 s[82:83], s[4:5]
	s_cbranch_execz .LBB251_48
.LBB251_80:                             ;   in Loop: Header=BB251_45 Depth=1
	v_readlane_b32 s90, v36, 10
	v_mov_b32_e32 v10, s90
	ds_read_b32 v10, v10
	s_waitcnt lgkmcnt(0)
	v_add_u32_e32 v8, v10, v8
	s_or_b64 exec, exec, s[82:83]
	s_and_saveexec_b64 s[82:83], s[6:7]
	s_cbranch_execz .LBB251_49
.LBB251_81:                             ;   in Loop: Header=BB251_45 Depth=1
	v_readlane_b32 s90, v36, 11
	v_mov_b32_e32 v10, s90
	ds_read_b32 v10, v10
	s_waitcnt lgkmcnt(0)
	v_add_u32_e32 v8, v10, v8
	s_or_b64 exec, exec, s[82:83]
	s_and_saveexec_b64 s[82:83], s[8:9]
	s_cbranch_execz .LBB251_50
.LBB251_82:                             ;   in Loop: Header=BB251_45 Depth=1
	v_readlane_b32 s90, v36, 12
	v_mov_b32_e32 v10, s90
	ds_read_b32 v10, v10
	s_waitcnt lgkmcnt(0)
	v_add_u32_e32 v8, v10, v8
	s_or_b64 exec, exec, s[82:83]
	s_and_saveexec_b64 s[82:83], s[10:11]
	s_cbranch_execz .LBB251_51
.LBB251_83:                             ;   in Loop: Header=BB251_45 Depth=1
	v_readlane_b32 s90, v36, 13
	v_mov_b32_e32 v10, s90
	ds_read_b32 v10, v10
	s_waitcnt lgkmcnt(0)
	v_add_u32_e32 v8, v10, v8
	s_or_b64 exec, exec, s[82:83]
	s_and_saveexec_b64 s[82:83], s[12:13]
	s_cbranch_execz .LBB251_52
.LBB251_84:                             ;   in Loop: Header=BB251_45 Depth=1
	v_readlane_b32 s90, v36, 14
	v_mov_b32_e32 v10, s90
	ds_read_b32 v10, v10
	s_waitcnt lgkmcnt(0)
	v_add_u32_e32 v8, v10, v8
	s_or_b64 exec, exec, s[82:83]
	s_and_saveexec_b64 s[82:83], s[14:15]
	s_cbranch_execz .LBB251_53
.LBB251_85:                             ;   in Loop: Header=BB251_45 Depth=1
	v_readlane_b32 s90, v36, 15
	v_mov_b32_e32 v10, s90
	ds_read_b32 v10, v10
	s_waitcnt lgkmcnt(0)
	v_add_u32_e32 v8, v10, v8
	s_or_b64 exec, exec, s[82:83]
	s_and_saveexec_b64 s[82:83], s[16:17]
	s_cbranch_execz .LBB251_54
.LBB251_86:                             ;   in Loop: Header=BB251_45 Depth=1
	v_readlane_b32 s90, v36, 16
	v_mov_b32_e32 v10, s90
	ds_read_b32 v10, v10
	s_waitcnt lgkmcnt(0)
	v_add_u32_e32 v8, v10, v8
	s_or_b64 exec, exec, s[82:83]
	s_and_saveexec_b64 s[82:83], s[18:19]
	s_cbranch_execz .LBB251_55
.LBB251_87:                             ;   in Loop: Header=BB251_45 Depth=1
	v_readlane_b32 s90, v36, 17
	v_mov_b32_e32 v10, s90
	ds_read_b32 v10, v10
	s_waitcnt lgkmcnt(0)
	v_add_u32_e32 v8, v10, v8
	s_or_b64 exec, exec, s[82:83]
	s_and_saveexec_b64 s[82:83], s[20:21]
	s_cbranch_execz .LBB251_56
.LBB251_88:                             ;   in Loop: Header=BB251_45 Depth=1
	v_mov_b32_e32 v10, s92
	ds_read_b32 v10, v10
	s_waitcnt lgkmcnt(0)
	v_add_u32_e32 v8, v10, v8
	s_or_b64 exec, exec, s[82:83]
	s_and_saveexec_b64 s[82:83], s[22:23]
	s_cbranch_execz .LBB251_57
.LBB251_89:                             ;   in Loop: Header=BB251_45 Depth=1
	v_mov_b32_e32 v10, s93
	ds_read_b32 v10, v10
	s_waitcnt lgkmcnt(0)
	v_add_u32_e32 v8, v10, v8
	s_or_b64 exec, exec, s[82:83]
	s_and_saveexec_b64 s[82:83], s[24:25]
	s_cbranch_execz .LBB251_58
.LBB251_90:                             ;   in Loop: Header=BB251_45 Depth=1
	v_mov_b32_e32 v10, s94
	ds_read_b32 v10, v10
	s_waitcnt lgkmcnt(0)
	v_add_u32_e32 v8, v10, v8
	s_or_b64 exec, exec, s[82:83]
	s_and_saveexec_b64 s[82:83], s[26:27]
	s_cbranch_execz .LBB251_59
.LBB251_91:                             ;   in Loop: Header=BB251_45 Depth=1
	v_mov_b32_e32 v10, s95
	ds_read_b32 v10, v10
	s_waitcnt lgkmcnt(0)
	v_add_u32_e32 v8, v10, v8
	s_or_b64 exec, exec, s[82:83]
	s_and_saveexec_b64 s[82:83], s[28:29]
	s_cbranch_execz .LBB251_60
.LBB251_92:                             ;   in Loop: Header=BB251_45 Depth=1
	v_mov_b32_e32 v10, s96
	ds_read_b32 v10, v10
	s_waitcnt lgkmcnt(0)
	v_add_u32_e32 v8, v10, v8
	s_or_b64 exec, exec, s[82:83]
	s_and_saveexec_b64 s[82:83], s[30:31]
	s_cbranch_execz .LBB251_61
.LBB251_93:                             ;   in Loop: Header=BB251_45 Depth=1
	v_mov_b32_e32 v10, s97
	ds_read_b32 v10, v10
	s_waitcnt lgkmcnt(0)
	v_add_u32_e32 v8, v10, v8
	s_or_b64 exec, exec, s[82:83]
	s_and_saveexec_b64 s[82:83], s[34:35]
	s_cbranch_execz .LBB251_62
.LBB251_94:                             ;   in Loop: Header=BB251_45 Depth=1
	v_mov_b32_e32 v10, s98
	ds_read_b32 v10, v10
	s_waitcnt lgkmcnt(0)
	v_add_u32_e32 v8, v10, v8
	s_or_b64 exec, exec, s[82:83]
	s_and_saveexec_b64 s[82:83], s[36:37]
	s_cbranch_execz .LBB251_63
.LBB251_95:                             ;   in Loop: Header=BB251_45 Depth=1
	v_mov_b32_e32 v10, s99
	ds_read_b32 v10, v10
	s_waitcnt lgkmcnt(0)
	v_add_u32_e32 v8, v10, v8
	s_or_b64 exec, exec, s[82:83]
	s_and_saveexec_b64 s[82:83], s[38:39]
	s_cbranch_execz .LBB251_64
.LBB251_96:                             ;   in Loop: Header=BB251_45 Depth=1
	v_mov_b32_e32 v10, s76
	ds_read_b32 v10, v10
	s_waitcnt lgkmcnt(0)
	v_add_u32_e32 v8, v10, v8
	s_or_b64 exec, exec, s[82:83]
	s_and_saveexec_b64 s[82:83], s[40:41]
	s_cbranch_execz .LBB251_65
.LBB251_97:                             ;   in Loop: Header=BB251_45 Depth=1
	v_mov_b32_e32 v10, s72
	ds_read_b32 v10, v10
	s_waitcnt lgkmcnt(0)
	v_add_u32_e32 v8, v10, v8
	s_or_b64 exec, exec, s[82:83]
	s_and_saveexec_b64 s[82:83], s[42:43]
	s_cbranch_execz .LBB251_66
.LBB251_98:                             ;   in Loop: Header=BB251_45 Depth=1
	v_mov_b32_e32 v10, s73
	ds_read_b32 v10, v10
	s_waitcnt lgkmcnt(0)
	v_add_u32_e32 v8, v10, v8
	s_or_b64 exec, exec, s[82:83]
	s_and_saveexec_b64 s[82:83], s[44:45]
	s_cbranch_execz .LBB251_67
.LBB251_99:                             ;   in Loop: Header=BB251_45 Depth=1
	v_mov_b32_e32 v10, s74
	ds_read_b32 v10, v10
	s_waitcnt lgkmcnt(0)
	v_add_u32_e32 v8, v10, v8
	s_or_b64 exec, exec, s[82:83]
	s_and_saveexec_b64 s[82:83], s[46:47]
	s_cbranch_execz .LBB251_68
.LBB251_100:                            ;   in Loop: Header=BB251_45 Depth=1
	v_mov_b32_e32 v10, s75
	ds_read_b32 v10, v10
	s_waitcnt lgkmcnt(0)
	v_add_u32_e32 v8, v10, v8
	s_or_b64 exec, exec, s[82:83]
	s_and_saveexec_b64 s[82:83], s[48:49]
	s_cbranch_execz .LBB251_69
.LBB251_101:                            ;   in Loop: Header=BB251_45 Depth=1
	v_mov_b32_e32 v10, s78
	ds_read_b32 v10, v10
	s_waitcnt lgkmcnt(0)
	v_add_u32_e32 v8, v10, v8
	s_or_b64 exec, exec, s[82:83]
	s_and_saveexec_b64 s[82:83], s[50:51]
	s_cbranch_execz .LBB251_70
.LBB251_102:                            ;   in Loop: Header=BB251_45 Depth=1
	v_mov_b32_e32 v10, s79
	ds_read_b32 v10, v10
	s_waitcnt lgkmcnt(0)
	v_add_u32_e32 v8, v10, v8
	s_or_b64 exec, exec, s[82:83]
	s_and_saveexec_b64 s[82:83], s[52:53]
	s_cbranch_execz .LBB251_71
.LBB251_103:                            ;   in Loop: Header=BB251_45 Depth=1
	v_mov_b32_e32 v10, s71
	ds_read_b32 v10, v10
	s_waitcnt lgkmcnt(0)
	v_add_u32_e32 v8, v10, v8
	s_or_b64 exec, exec, s[82:83]
	s_and_saveexec_b64 s[82:83], s[54:55]
	s_cbranch_execz .LBB251_72
.LBB251_104:                            ;   in Loop: Header=BB251_45 Depth=1
	v_mov_b32_e32 v10, s77
	ds_read_b32 v10, v10
	s_waitcnt lgkmcnt(0)
	v_add_u32_e32 v8, v10, v8
	s_or_b64 exec, exec, s[82:83]
	s_and_saveexec_b64 s[82:83], s[56:57]
	s_cbranch_execz .LBB251_73
.LBB251_105:                            ;   in Loop: Header=BB251_45 Depth=1
	v_mov_b32_e32 v10, s84
	ds_read_b32 v10, v10
	s_waitcnt lgkmcnt(0)
	v_add_u32_e32 v8, v10, v8
	s_or_b64 exec, exec, s[82:83]
	s_and_saveexec_b64 s[82:83], s[58:59]
	s_cbranch_execz .LBB251_74
.LBB251_106:                            ;   in Loop: Header=BB251_45 Depth=1
	v_mov_b32_e32 v10, s85
	ds_read_b32 v10, v10
	s_waitcnt lgkmcnt(0)
	v_add_u32_e32 v8, v10, v8
	s_or_b64 exec, exec, s[82:83]
	s_and_saveexec_b64 s[82:83], s[60:61]
	s_cbranch_execz .LBB251_75
.LBB251_107:                            ;   in Loop: Header=BB251_45 Depth=1
	v_mov_b32_e32 v10, s86
	ds_read_b32 v10, v10
	s_waitcnt lgkmcnt(0)
	v_add_u32_e32 v8, v10, v8
	s_or_b64 exec, exec, s[82:83]
	s_and_saveexec_b64 s[82:83], s[62:63]
	s_cbranch_execz .LBB251_76
.LBB251_108:                            ;   in Loop: Header=BB251_45 Depth=1
	v_mov_b32_e32 v10, s87
	ds_read_b32 v10, v10
	s_waitcnt lgkmcnt(0)
	v_add_u32_e32 v8, v10, v8
	s_or_b64 exec, exec, s[82:83]
	s_and_saveexec_b64 s[82:83], s[68:69]
	s_cbranch_execz .LBB251_77
.LBB251_109:                            ;   in Loop: Header=BB251_45 Depth=1
	buffer_load_dword v10, off, s[0:3], 0
	buffer_load_dword v11, off, s[0:3], 0 offset:4
	buffer_load_dword v12, off, s[0:3], 0 offset:8
	;; [unrolled: 1-line block ×3, first 2 shown]
	v_add3_u32 v14, v4, -1, v8
	v_lshl_add_u32 v15, v14, 2, 0
	v_lshl_add_u32 v14, v14, 4, 0
	v_add_u32_e32 v14, 0x8000, v14
	ds_write_b32 v15, v9
	s_waitcnt vmcnt(0)
	ds_write2_b64 v14, v[10:11], v[12:13] offset1:1
	s_or_b64 exec, exec, s[82:83]
	s_and_saveexec_b64 s[68:69], vcc
	s_cbranch_execz .LBB251_44
.LBB251_110:                            ;   in Loop: Header=BB251_45 Depth=1
	v_mov_b32_e32 v9, s88
	ds_write_b32 v9, v8
	s_branch .LBB251_44
.LBB251_111:
	s_or_b64 exec, exec, s[80:81]
	v_readlane_b32 s4, v36, 6
	v_readlane_b32 s5, v36, 7
	s_ashr_i32 s5, s4, 31
	s_lshl_b64 s[4:5], s[4:5], 3
	v_readlane_b32 s8, v36, 0
	v_readlane_b32 s9, v36, 1
	s_add_u32 s4, s8, s4
	s_addc_u32 s5, s9, s5
	s_load_dwordx4 s[4:7], s[4:5], 0x0
	v_readlane_b32 s10, v36, 2
	v_readlane_b32 s11, v36, 3
	s_waitcnt lgkmcnt(0)
	s_sub_i32 s12, s6, s4
	v_cmp_gt_i32_e32 vcc, s12, v0
	s_and_saveexec_b64 s[8:9], vcc
	v_readlane_b32 s18, v36, 4
	v_readlane_b32 s19, v36, 5
	s_cbranch_execz .LBB251_121
; %bb.112:
	s_sub_u32 s8, s4, s70
	s_subb_u32 s9, s5, 0
	s_and_b32 s13, s12, 7
	s_sub_i32 s4, s4, s6
	s_cmp_lt_u32 s4, -7
	s_cselect_b64 s[4:5], -1, 0
	s_and_b32 s14, s12, -8
	s_cmp_lg_u32 s13, 0
	v_cndmask_b32_e64 v1, 0, 1, s[4:5]
	s_cselect_b64 s[6:7], -1, 0
	v_readlane_b32 s20, v36, 0
	v_cmp_ne_u32_e64 s[4:5], 1, v1
	v_cndmask_b32_e64 v1, 0, 1, s[6:7]
	v_readlane_b32 s23, v36, 3
	s_mov_b64 s[10:11], 0
	s_mov_b32 s15, 0x8000
	v_cmp_ne_u32_e64 s[6:7], 1, v1
	v_mov_b32_e32 v1, s23
	v_readlane_b32 s21, v36, 1
	v_readlane_b32 s22, v36, 2
	s_branch .LBB251_114
.LBB251_113:                            ;   in Loop: Header=BB251_114 Depth=1
	v_mul_lo_u32 v6, v0, 12
	v_readlane_b32 s20, v36, 0
	v_add3_u32 v8, v4, v6, s15
	s_waitcnt lgkmcnt(0)
	v_add_u32_e32 v6, s70, v5
	v_lshlrev_b64 v[4:5], 2, v[2:3]
	v_readlane_b32 s22, v36, 2
	v_add_co_u32_e32 v4, vcc, s22, v4
	v_addc_co_u32_e32 v5, vcc, v1, v5, vcc
	global_store_dword v[4:5], v6, off
	v_lshlrev_b64 v[6:7], 4, v[2:3]
	ds_read2_b64 v[2:5], v8 offset1:1
	v_mov_b32_e32 v9, s19
	v_add_co_u32_e32 v6, vcc, s18, v6
	v_addc_co_u32_e32 v7, vcc, v9, v7, vcc
	v_add_u32_e32 v0, 0x400, v0
	v_cmp_le_i32_e32 vcc, s12, v0
	s_or_b64 s[10:11], vcc, s[10:11]
	v_readlane_b32 s21, v36, 1
	v_readlane_b32 s23, v36, 3
	s_waitcnt lgkmcnt(0)
	global_store_dwordx4 v[6:7], v[2:5], off
	s_andn2_b64 exec, exec, s[10:11]
	s_cbranch_execz .LBB251_121
.LBB251_114:                            ; =>This Loop Header: Depth=1
                                        ;     Child Loop BB251_116 Depth 2
                                        ;     Child Loop BB251_120 Depth 2
	v_lshl_add_u32 v4, v0, 2, 0
	ds_read_b32 v5, v4
	s_and_b64 vcc, exec, s[4:5]
	v_pk_mov_b32 v[2:3], s[8:9], s[8:9] op_sel:[0,1]
	s_mov_b32 s16, 0
	s_cbranch_vccnz .LBB251_118
; %bb.115:                              ;   in Loop: Header=BB251_114 Depth=1
	s_mov_b32 s17, 0
	v_pk_mov_b32 v[2:3], s[8:9], s[8:9] op_sel:[0,1]
.LBB251_116:                            ;   Parent Loop BB251_114 Depth=1
                                        ; =>  This Inner Loop Header: Depth=2
	v_mov_b32_e32 v12, s17
	ds_read2_b32 v[6:7], v12 offset1:1
	ds_read2_b32 v[8:9], v12 offset0:2 offset1:3
	ds_read2_b32 v[10:11], v12 offset0:4 offset1:5
	;; [unrolled: 1-line block ×3, first 2 shown]
	s_add_i32 s16, s16, 8
	s_waitcnt lgkmcnt(3)
	v_cmp_gt_i32_e32 vcc, v5, v6
	v_cndmask_b32_e64 v6, 0, 1, vcc
	v_cmp_gt_i32_e32 vcc, v5, v7
	v_cndmask_b32_e64 v7, 0, 1, vcc
	s_waitcnt lgkmcnt(2)
	v_cmp_gt_i32_e32 vcc, v5, v8
	v_cndmask_b32_e64 v8, 0, 1, vcc
	v_cmp_gt_i32_e32 vcc, v5, v9
	v_cndmask_b32_e64 v9, 0, 1, vcc
	;; [unrolled: 5-line block ×4, first 2 shown]
	v_add_co_u32_e32 v2, vcc, v2, v6
	v_addc_co_u32_e32 v3, vcc, 0, v3, vcc
	v_add_co_u32_e32 v2, vcc, v2, v7
	v_addc_co_u32_e32 v3, vcc, 0, v3, vcc
	;; [unrolled: 2-line block ×7, first 2 shown]
	s_add_i32 s17, s17, 32
	v_add_co_u32_e32 v2, vcc, v2, v13
	s_cmp_eq_u32 s14, s16
	v_addc_co_u32_e32 v3, vcc, 0, v3, vcc
	s_cbranch_scc0 .LBB251_116
; %bb.117:                              ;   in Loop: Header=BB251_114 Depth=1
	s_mov_b32 s16, s14
.LBB251_118:                            ;   in Loop: Header=BB251_114 Depth=1
	s_and_b64 vcc, exec, s[6:7]
	s_cbranch_vccnz .LBB251_113
; %bb.119:                              ;   in Loop: Header=BB251_114 Depth=1
	s_lshl_b32 s16, s16, 2
	s_add_i32 s16, s16, 0
	s_mov_b32 s17, s13
.LBB251_120:                            ;   Parent Loop BB251_114 Depth=1
                                        ; =>  This Inner Loop Header: Depth=2
	v_mov_b32_e32 v6, s16
	ds_read_b32 v6, v6
	s_add_i32 s16, s16, 4
	s_add_i32 s17, s17, -1
	s_cmp_lg_u32 s17, 0
	s_waitcnt lgkmcnt(0)
	v_cmp_gt_i32_e32 vcc, v5, v6
	v_cndmask_b32_e64 v6, 0, 1, vcc
	v_add_co_u32_e32 v2, vcc, v2, v6
	v_addc_co_u32_e32 v3, vcc, 0, v3, vcc
	s_cbranch_scc1 .LBB251_120
	s_branch .LBB251_113
.LBB251_121:
	s_endpgm
	.section	.rodata,"a",@progbits
	.p2align	6, 0x0
	.amdhsa_kernel _ZN9rocsparseL26csrgemm_fill_block_per_rowILj1024ELj64ELj8192ELj137ELj32Eli21rocsparse_complex_numIdEEEvT5_PKS3_S5_NS_24const_host_device_scalarIT6_EEPKT4_S5_PKS7_SB_S5_SD_S8_SB_S5_SD_SB_PS3_PS7_21rocsparse_index_base_SG_SG_SG_bbb
		.amdhsa_group_segment_fixed_size 0
		.amdhsa_private_segment_fixed_size 40
		.amdhsa_kernarg_size 172
		.amdhsa_user_sgpr_count 8
		.amdhsa_user_sgpr_private_segment_buffer 1
		.amdhsa_user_sgpr_dispatch_ptr 0
		.amdhsa_user_sgpr_queue_ptr 0
		.amdhsa_user_sgpr_kernarg_segment_ptr 1
		.amdhsa_user_sgpr_dispatch_id 0
		.amdhsa_user_sgpr_flat_scratch_init 1
		.amdhsa_user_sgpr_kernarg_preload_length 0
		.amdhsa_user_sgpr_kernarg_preload_offset 0
		.amdhsa_user_sgpr_private_segment_size 0
		.amdhsa_uses_dynamic_stack 0
		.amdhsa_system_sgpr_private_segment_wavefront_offset 1
		.amdhsa_system_sgpr_workgroup_id_x 1
		.amdhsa_system_sgpr_workgroup_id_y 0
		.amdhsa_system_sgpr_workgroup_id_z 0
		.amdhsa_system_sgpr_workgroup_info 0
		.amdhsa_system_vgpr_workitem_id 0
		.amdhsa_next_free_vgpr 37
		.amdhsa_next_free_sgpr 100
		.amdhsa_accum_offset 40
		.amdhsa_reserve_vcc 1
		.amdhsa_reserve_flat_scratch 1
		.amdhsa_float_round_mode_32 0
		.amdhsa_float_round_mode_16_64 0
		.amdhsa_float_denorm_mode_32 3
		.amdhsa_float_denorm_mode_16_64 3
		.amdhsa_dx10_clamp 1
		.amdhsa_ieee_mode 1
		.amdhsa_fp16_overflow 0
		.amdhsa_tg_split 0
		.amdhsa_exception_fp_ieee_invalid_op 0
		.amdhsa_exception_fp_denorm_src 0
		.amdhsa_exception_fp_ieee_div_zero 0
		.amdhsa_exception_fp_ieee_overflow 0
		.amdhsa_exception_fp_ieee_underflow 0
		.amdhsa_exception_fp_ieee_inexact 0
		.amdhsa_exception_int_div_zero 0
	.end_amdhsa_kernel
	.section	.text._ZN9rocsparseL26csrgemm_fill_block_per_rowILj1024ELj64ELj8192ELj137ELj32Eli21rocsparse_complex_numIdEEEvT5_PKS3_S5_NS_24const_host_device_scalarIT6_EEPKT4_S5_PKS7_SB_S5_SD_S8_SB_S5_SD_SB_PS3_PS7_21rocsparse_index_base_SG_SG_SG_bbb,"axG",@progbits,_ZN9rocsparseL26csrgemm_fill_block_per_rowILj1024ELj64ELj8192ELj137ELj32Eli21rocsparse_complex_numIdEEEvT5_PKS3_S5_NS_24const_host_device_scalarIT6_EEPKT4_S5_PKS7_SB_S5_SD_S8_SB_S5_SD_SB_PS3_PS7_21rocsparse_index_base_SG_SG_SG_bbb,comdat
.Lfunc_end251:
	.size	_ZN9rocsparseL26csrgemm_fill_block_per_rowILj1024ELj64ELj8192ELj137ELj32Eli21rocsparse_complex_numIdEEEvT5_PKS3_S5_NS_24const_host_device_scalarIT6_EEPKT4_S5_PKS7_SB_S5_SD_S8_SB_S5_SD_SB_PS3_PS7_21rocsparse_index_base_SG_SG_SG_bbb, .Lfunc_end251-_ZN9rocsparseL26csrgemm_fill_block_per_rowILj1024ELj64ELj8192ELj137ELj32Eli21rocsparse_complex_numIdEEEvT5_PKS3_S5_NS_24const_host_device_scalarIT6_EEPKT4_S5_PKS7_SB_S5_SD_S8_SB_S5_SD_SB_PS3_PS7_21rocsparse_index_base_SG_SG_SG_bbb
                                        ; -- End function
	.section	.AMDGPU.csdata,"",@progbits
; Kernel info:
; codeLenInByte = 5280
; NumSgprs: 106
; NumVgprs: 37
; NumAgprs: 0
; TotalNumVgprs: 37
; ScratchSize: 40
; MemoryBound: 0
; FloatMode: 240
; IeeeMode: 1
; LDSByteSize: 0 bytes/workgroup (compile time only)
; SGPRBlocks: 13
; VGPRBlocks: 4
; NumSGPRsForWavesPerEU: 106
; NumVGPRsForWavesPerEU: 37
; AccumOffset: 40
; Occupancy: 7
; WaveLimiterHint : 1
; COMPUTE_PGM_RSRC2:SCRATCH_EN: 1
; COMPUTE_PGM_RSRC2:USER_SGPR: 8
; COMPUTE_PGM_RSRC2:TRAP_HANDLER: 0
; COMPUTE_PGM_RSRC2:TGID_X_EN: 1
; COMPUTE_PGM_RSRC2:TGID_Y_EN: 0
; COMPUTE_PGM_RSRC2:TGID_Z_EN: 0
; COMPUTE_PGM_RSRC2:TIDIG_COMP_CNT: 0
; COMPUTE_PGM_RSRC3_GFX90A:ACCUM_OFFSET: 9
; COMPUTE_PGM_RSRC3_GFX90A:TG_SPLIT: 0
	.section	.text._ZN9rocsparseL26csrgemm_fill_block_per_rowILj1024ELj64ELj8192ELj137ELj64Eli21rocsparse_complex_numIdEEEvT5_PKS3_S5_NS_24const_host_device_scalarIT6_EEPKT4_S5_PKS7_SB_S5_SD_S8_SB_S5_SD_SB_PS3_PS7_21rocsparse_index_base_SG_SG_SG_bbb,"axG",@progbits,_ZN9rocsparseL26csrgemm_fill_block_per_rowILj1024ELj64ELj8192ELj137ELj64Eli21rocsparse_complex_numIdEEEvT5_PKS3_S5_NS_24const_host_device_scalarIT6_EEPKT4_S5_PKS7_SB_S5_SD_S8_SB_S5_SD_SB_PS3_PS7_21rocsparse_index_base_SG_SG_SG_bbb,comdat
	.globl	_ZN9rocsparseL26csrgemm_fill_block_per_rowILj1024ELj64ELj8192ELj137ELj64Eli21rocsparse_complex_numIdEEEvT5_PKS3_S5_NS_24const_host_device_scalarIT6_EEPKT4_S5_PKS7_SB_S5_SD_S8_SB_S5_SD_SB_PS3_PS7_21rocsparse_index_base_SG_SG_SG_bbb ; -- Begin function _ZN9rocsparseL26csrgemm_fill_block_per_rowILj1024ELj64ELj8192ELj137ELj64Eli21rocsparse_complex_numIdEEEvT5_PKS3_S5_NS_24const_host_device_scalarIT6_EEPKT4_S5_PKS7_SB_S5_SD_S8_SB_S5_SD_SB_PS3_PS7_21rocsparse_index_base_SG_SG_SG_bbb
	.p2align	8
	.type	_ZN9rocsparseL26csrgemm_fill_block_per_rowILj1024ELj64ELj8192ELj137ELj64Eli21rocsparse_complex_numIdEEEvT5_PKS3_S5_NS_24const_host_device_scalarIT6_EEPKT4_S5_PKS7_SB_S5_SD_S8_SB_S5_SD_SB_PS3_PS7_21rocsparse_index_base_SG_SG_SG_bbb,@function
_ZN9rocsparseL26csrgemm_fill_block_per_rowILj1024ELj64ELj8192ELj137ELj64Eli21rocsparse_complex_numIdEEEvT5_PKS3_S5_NS_24const_host_device_scalarIT6_EEPKT4_S5_PKS7_SB_S5_SD_S8_SB_S5_SD_SB_PS3_PS7_21rocsparse_index_base_SG_SG_SG_bbb: ; @_ZN9rocsparseL26csrgemm_fill_block_per_rowILj1024ELj64ELj8192ELj137ELj64Eli21rocsparse_complex_numIdEEEvT5_PKS3_S5_NS_24const_host_device_scalarIT6_EEPKT4_S5_PKS7_SB_S5_SD_S8_SB_S5_SD_SB_PS3_PS7_21rocsparse_index_base_SG_SG_SG_bbb
; %bb.0:
	s_add_u32 flat_scratch_lo, s6, s9
	s_addc_u32 flat_scratch_hi, s7, 0
	s_add_u32 s0, s0, s9
	s_load_dword s9, s[4:5], 0xa8
	s_load_dwordx8 s[12:19], s[4:5], 0x8
	s_load_dwordx4 s[36:39], s[4:5], 0x98
	s_load_dwordx4 s[20:23], s[4:5], 0x58
	s_addc_u32 s1, s1, 0
	v_pk_mov_b32 v[2:3], 0, 0
	s_waitcnt lgkmcnt(0)
	s_bitcmp1_b32 s9, 0
	v_mov_b32_e32 v1, s17
	s_cselect_b64 s[24:25], -1, 0
	s_bitcmp1_b32 s9, 16
	buffer_store_dword v1, off, s[0:3], 0 offset:20
	v_mov_b32_e32 v1, s16
	s_cselect_b64 s[6:7], -1, 0
	buffer_store_dword v1, off, s[0:3], 0 offset:16
	v_mov_b32_e32 v1, s21
	buffer_store_dword v1, off, s[0:3], 0 offset:28
	v_mov_b32_e32 v1, s20
	s_xor_b64 s[10:11], s[6:7], -1
	buffer_store_dword v1, off, s[0:3], 0 offset:24
	v_cndmask_b32_e64 v1, 0, 1, s[10:11]
	s_bitcmp0_b32 s9, 0
	v_cmp_ne_u32_e64 s[10:11], 1, v1
	v_pk_mov_b32 v[6:7], v[2:3], v[2:3] op_sel:[0,1]
	v_pk_mov_b32 v[8:9], v[2:3], v[2:3] op_sel:[0,1]
	s_cbranch_scc1 .LBB252_3
; %bb.1:
	s_mov_b64 s[26:27], src_private_base
	s_and_b64 s[28:29], s[6:7], exec
	s_cselect_b32 s26, s27, s17
	v_mov_b32_e32 v1, 16
	v_mov_b32_e32 v4, s16
	v_cndmask_b32_e64 v4, v4, v1, s[6:7]
	v_mov_b32_e32 v5, s26
	flat_load_dwordx2 v[6:7], v[4:5]
	s_and_b64 vcc, exec, s[10:11]
	v_pk_mov_b32 v[8:9], s[18:19], s[18:19] op_sel:[0,1]
	s_cbranch_vccnz .LBB252_3
; %bb.2:
	v_pk_mov_b32 v[4:5], s[16:17], s[16:17] op_sel:[0,1]
	flat_load_dwordx2 v[8:9], v[4:5] offset:8
.LBB252_3:
	s_bitcmp1_b32 s9, 8
	s_cselect_b64 s[16:17], -1, 0
	s_bfe_u32 s9, s9, 0x10008
	s_cmp_eq_u32 s9, 0
	v_pk_mov_b32 v[4:5], v[2:3], v[2:3] op_sel:[0,1]
	s_cbranch_scc1 .LBB252_6
; %bb.4:
	s_mov_b64 s[18:19], src_private_base
	s_and_b64 s[26:27], s[6:7], exec
	s_cselect_b32 s9, s19, s21
	v_mov_b32_e32 v1, 24
	v_mov_b32_e32 v2, s20
	v_cndmask_b32_e64 v2, v2, v1, s[6:7]
	v_mov_b32_e32 v3, s9
	flat_load_dwordx2 v[4:5], v[2:3]
	s_and_b64 vcc, exec, s[10:11]
	v_pk_mov_b32 v[2:3], s[22:23], s[22:23] op_sel:[0,1]
	s_cbranch_vccnz .LBB252_6
; %bb.5:
	v_pk_mov_b32 v[2:3], s[20:21], s[20:21] op_sel:[0,1]
	flat_load_dwordx2 v[2:3], v[2:3] offset:8
.LBB252_6:
	s_load_dword s33, s[4:5], 0x0
	s_mov_b32 s6, 0
	v_lshl_add_u32 v1, v0, 2, 0
	s_mov_b32 s7, s6
	v_mad_u32_u24 v14, v0, 12, v1
	s_waitcnt lgkmcnt(0)
	v_mov_b32_e32 v10, s33
	ds_write_b32 v1, v10
	v_pk_mov_b32 v[10:11], s[6:7], s[6:7] op_sel:[0,1]
	s_add_i32 s7, 0, 0x8000
	s_mov_b32 s10, s6
	s_mov_b32 s11, s6
	v_lshl_add_u32 v16, v0, 4, s7
	v_add_u32_e32 v15, 0x8000, v14
	v_pk_mov_b32 v[12:13], s[10:11], s[10:11] op_sel:[0,1]
	v_add_u32_e32 v17, 0x4000, v16
	ds_write2_b64 v15, v[10:11], v[12:13] offset1:1
	v_mad_i32_i24 v14, v0, -12, v14
	v_mov_b32_e32 v15, s33
	ds_write2_b64 v17, v[10:11], v[12:13] offset1:1
	v_mov_b32_e32 v17, s33
	ds_write2st64_b32 v14, v15, v17 offset0:16 offset1:32
	v_add_u32_e32 v15, 0x8000, v16
	v_add_u32_e32 v17, 0xc000, v16
	ds_write2_b64 v15, v[10:11], v[12:13] offset1:1
	v_mov_b32_e32 v15, s33
	ds_write2_b64 v17, v[10:11], v[12:13] offset1:1
	v_mov_b32_e32 v17, s33
	ds_write2st64_b32 v14, v15, v17 offset0:48 offset1:64
	v_add_u32_e32 v15, 0x10000, v16
	v_add_u32_e32 v17, 0x14000, v16
	ds_write2_b64 v15, v[10:11], v[12:13] offset1:1
	v_mov_b32_e32 v15, s33
	ds_write2_b64 v17, v[10:11], v[12:13] offset1:1
	v_mov_b32_e32 v17, s33
	ds_write2st64_b32 v14, v15, v17 offset0:80 offset1:96
	v_add_u32_e32 v15, 0x18000, v16
	ds_write2_b64 v15, v[10:11], v[12:13] offset1:1
	v_mov_b32_e32 v15, s33
	ds_write_b32 v14, v15 offset:28672
	v_add_u32_e32 v14, 0x1c000, v16
	ds_write2_b64 v14, v[10:11], v[12:13] offset1:1
	s_waitcnt lgkmcnt(0)
	s_barrier
	s_load_dword s7, s[12:13], 0x0
	s_mov_b32 s9, s6
	v_lshrrev_b32_e32 v25, 6, v0
	s_waitcnt lgkmcnt(0)
	s_add_i32 s8, s7, s8
	s_lshl_b64 s[6:7], s[8:9], 2
	s_add_u32 s6, s14, s6
	s_addc_u32 s7, s15, s7
	s_load_dword s44, s[6:7], 0x0
	s_andn2_b64 vcc, exec, s[24:25]
	s_cbranch_vccnz .LBB252_26
; %bb.7:
	s_load_dwordx2 s[6:7], s[4:5], 0x28
	s_waitcnt lgkmcnt(0)
	s_ashr_i32 s45, s44, 31
	s_lshl_b64 s[8:9], s[44:45], 3
	v_subrev_co_u32_e32 v10, vcc, s36, v25
	s_add_u32 s6, s6, s8
	s_addc_u32 s7, s7, s9
	s_load_dwordx4 s[8:11], s[6:7], 0x0
	v_subb_co_u32_e64 v11, s[6:7], 0, 0, vcc
	s_waitcnt lgkmcnt(0)
	s_sub_u32 s6, s10, s36
	v_mov_b32_e32 v12, s9
	v_add_co_u32_e32 v10, vcc, s8, v10
	s_subb_u32 s7, s11, 0
	v_addc_co_u32_e32 v11, vcc, v12, v11, vcc
	v_cmp_gt_i64_e32 vcc, s[6:7], v[10:11]
	s_and_saveexec_b64 s[18:19], vcc
	s_cbranch_execz .LBB252_25
; %bb.8:
	s_load_dwordx2 s[20:21], s[4:5], 0x50
	s_load_dwordx8 s[8:15], s[4:5], 0x30
	v_and_b32_e32 v12, 63, v0
	v_subrev_co_u32_e32 v26, vcc, s37, v12
	s_mov_b32 s24, 0
	v_subb_co_u32_e64 v27, s[22:23], 0, 0, vcc
	s_mov_b32 s45, s37
	s_mov_b64 s[22:23], 0
	s_waitcnt lgkmcnt(0)
	v_mov_b32_e32 v28, s9
	v_mov_b32_e32 v29, s13
	;; [unrolled: 1-line block ×3, first 2 shown]
	s_movk_i32 s9, 0x89
	s_branch .LBB252_10
.LBB252_9:                              ;   in Loop: Header=BB252_10 Depth=1
	s_or_b64 exec, exec, s[24:25]
	v_add_co_u32_e32 v10, vcc, 16, v10
	v_addc_co_u32_e32 v11, vcc, 0, v11, vcc
	v_cmp_le_i64_e32 vcc, s[6:7], v[10:11]
	s_or_b64 s[22:23], vcc, s[22:23]
	s_andn2_b64 exec, exec, s[22:23]
	s_cbranch_execz .LBB252_25
.LBB252_10:                             ; =>This Loop Header: Depth=1
                                        ;     Child Loop BB252_13 Depth 2
                                        ;       Child Loop BB252_15 Depth 3
	v_lshlrev_b64 v[12:13], 2, v[10:11]
	v_add_co_u32_e32 v12, vcc, s8, v12
	v_addc_co_u32_e32 v13, vcc, v28, v13, vcc
	global_load_dword v12, v[12:13], off
	s_waitcnt vmcnt(0)
	v_subrev_u32_e32 v12, s36, v12
	v_ashrrev_i32_e32 v13, 31, v12
	v_lshlrev_b64 v[12:13], 3, v[12:13]
	v_add_co_u32_e32 v12, vcc, s12, v12
	v_addc_co_u32_e32 v13, vcc, v29, v13, vcc
	global_load_dwordx4 v[14:17], v[12:13], off
	s_waitcnt vmcnt(0)
	v_subrev_co_u32_e32 v12, vcc, s45, v16
	v_subb_co_u32_e32 v13, vcc, v17, v30, vcc
	v_add_co_u32_e32 v14, vcc, v14, v26
	v_addc_co_u32_e32 v15, vcc, v15, v27, vcc
	v_cmp_lt_i64_e32 vcc, v[14:15], v[12:13]
	s_and_saveexec_b64 s[24:25], vcc
	s_cbranch_execz .LBB252_9
; %bb.11:                               ;   in Loop: Header=BB252_10 Depth=1
	v_lshlrev_b64 v[16:17], 4, v[10:11]
	v_mov_b32_e32 v18, s11
	v_add_co_u32_e32 v16, vcc, s10, v16
	v_addc_co_u32_e32 v17, vcc, v18, v17, vcc
	global_load_dwordx4 v[20:23], v[16:17], off
	s_mov_b64 s[26:27], 0
	s_waitcnt vmcnt(0)
	v_mul_f64 v[16:17], v[22:23], -v[8:9]
	v_mul_f64 v[18:19], v[6:7], v[22:23]
	v_fmac_f64_e32 v[16:17], v[6:7], v[20:21]
	v_fmac_f64_e32 v[18:19], v[8:9], v[20:21]
	s_branch .LBB252_13
.LBB252_12:                             ;   in Loop: Header=BB252_13 Depth=2
	s_or_b64 exec, exec, s[28:29]
	v_add_co_u32_e32 v14, vcc, 64, v14
	v_addc_co_u32_e32 v15, vcc, 0, v15, vcc
	v_cmp_ge_i64_e32 vcc, v[14:15], v[12:13]
	s_or_b64 s[26:27], vcc, s[26:27]
	s_andn2_b64 exec, exec, s[26:27]
	s_cbranch_execz .LBB252_9
.LBB252_13:                             ;   Parent Loop BB252_10 Depth=1
                                        ; =>  This Loop Header: Depth=2
                                        ;       Child Loop BB252_15 Depth 3
	v_lshlrev_b64 v[20:21], 2, v[14:15]
	v_mov_b32_e32 v22, s15
	v_add_co_u32_e32 v20, vcc, s14, v20
	v_addc_co_u32_e32 v21, vcc, v22, v21, vcc
	global_load_dword v22, v[20:21], off
	v_lshlrev_b64 v[20:21], 4, v[14:15]
	v_mov_b32_e32 v23, s21
	v_add_co_u32_e32 v20, vcc, s20, v20
	v_addc_co_u32_e32 v21, vcc, v23, v21, vcc
	global_load_dwordx4 v[32:35], v[20:21], off
	s_mov_b64 s[28:29], 0
	s_waitcnt vmcnt(1)
	v_subrev_u32_e32 v31, s37, v22
	v_mul_lo_u32 v24, v31, s9
	s_waitcnt vmcnt(0)
	v_mul_f64 v[20:21], v[34:35], -v[18:19]
	v_mul_f64 v[22:23], v[16:17], v[34:35]
	v_fmac_f64_e32 v[20:21], v[16:17], v[32:33]
	v_fmac_f64_e32 v[22:23], v[18:19], v[32:33]
	v_and_b32_e32 v32, 0x1fff, v24
	s_branch .LBB252_15
.LBB252_14:                             ;   in Loop: Header=BB252_15 Depth=3
	s_or_b64 exec, exec, s[30:31]
	s_xor_b64 s[30:31], s[34:35], -1
	s_and_b64 s[30:31], exec, s[30:31]
	s_or_b64 s[28:29], s[30:31], s[28:29]
	s_andn2_b64 exec, exec, s[28:29]
	s_cbranch_execz .LBB252_12
.LBB252_15:                             ;   Parent Loop BB252_10 Depth=1
                                        ;     Parent Loop BB252_13 Depth=2
                                        ; =>    This Inner Loop Header: Depth=3
	v_lshl_add_u32 v24, v32, 2, 0
	ds_read_b32 v33, v24
                                        ; implicit-def: $sgpr34_sgpr35
	s_waitcnt lgkmcnt(0)
	v_cmp_ne_u32_e32 vcc, v33, v31
	s_and_saveexec_b64 s[30:31], vcc
	s_xor_b64 s[30:31], exec, s[30:31]
	s_cbranch_execz .LBB252_23
; %bb.16:                               ;   in Loop: Header=BB252_15 Depth=3
	v_cmp_ne_u32_e32 vcc, s33, v33
                                        ; implicit-def: $sgpr34_sgpr35
	s_and_saveexec_b64 s[40:41], vcc
	s_xor_b64 s[40:41], exec, s[40:41]
; %bb.17:                               ;   in Loop: Header=BB252_15 Depth=3
	v_add_u32_e32 v24, 1, v32
	v_and_b32_e32 v32, 0x1fff, v24
	s_mov_b64 s[34:35], -1
                                        ; implicit-def: $vgpr24
; %bb.18:                               ;   in Loop: Header=BB252_15 Depth=3
	s_andn2_saveexec_b64 s[40:41], s[40:41]
	s_cbranch_execz .LBB252_22
; %bb.19:                               ;   in Loop: Header=BB252_15 Depth=3
	v_mov_b32_e32 v33, s33
	ds_cmpst_rtn_b32 v33, v24, v33, v31
	s_mov_b64 s[46:47], -1
	s_waitcnt lgkmcnt(0)
	v_cmp_eq_u32_e32 vcc, s33, v33
	s_and_saveexec_b64 s[42:43], vcc
	s_cbranch_execz .LBB252_21
; %bb.20:                               ;   in Loop: Header=BB252_15 Depth=3
	v_mad_u64_u32 v[34:35], s[46:47], v32, 12, v[24:25]
	ds_add_f64 v34, v[20:21] offset:32768
	ds_add_f64 v34, v[22:23] offset:32776
	s_xor_b64 s[46:47], exec, -1
.LBB252_21:                             ;   in Loop: Header=BB252_15 Depth=3
	s_or_b64 exec, exec, s[42:43]
	s_andn2_b64 s[34:35], s[34:35], exec
	s_and_b64 s[42:43], s[46:47], exec
	s_or_b64 s[34:35], s[34:35], s[42:43]
.LBB252_22:                             ;   in Loop: Header=BB252_15 Depth=3
	s_or_b64 exec, exec, s[40:41]
	s_and_b64 s[34:35], s[34:35], exec
                                        ; implicit-def: $vgpr24
.LBB252_23:                             ;   in Loop: Header=BB252_15 Depth=3
	s_andn2_saveexec_b64 s[30:31], s[30:31]
	s_cbranch_execz .LBB252_14
; %bb.24:                               ;   in Loop: Header=BB252_15 Depth=3
	v_mad_u64_u32 v[34:35], s[40:41], v32, 12, v[24:25]
	ds_add_f64 v34, v[20:21] offset:32768
	ds_add_f64 v34, v[22:23] offset:32776
	s_andn2_b64 s[34:35], s[34:35], exec
	s_branch .LBB252_14
.LBB252_25:
	s_or_b64 exec, exec, s[18:19]
.LBB252_26:
	s_load_dwordx2 s[46:47], s[4:5], 0x90
	s_load_dwordx4 s[40:43], s[4:5], 0x80
	s_andn2_b64 vcc, exec, s[16:17]
	s_cbranch_vccnz .LBB252_43
; %bb.27:
	s_load_dwordx2 s[6:7], s[4:5], 0x68
	s_waitcnt lgkmcnt(0)
	s_ashr_i32 s45, s44, 31
	s_lshl_b64 s[8:9], s[44:45], 3
	s_waitcnt vmcnt(0)
	v_subrev_co_u32_e32 v6, vcc, s39, v0
	s_add_u32 s6, s6, s8
	s_addc_u32 s7, s7, s9
	s_load_dwordx4 s[12:15], s[6:7], 0x0
	v_subb_co_u32_e64 v7, s[6:7], 0, 0, vcc
	s_waitcnt lgkmcnt(0)
	s_sub_u32 s8, s14, s39
	v_mov_b32_e32 v8, s13
	v_add_co_u32_e32 v6, vcc, s12, v6
	s_subb_u32 s9, s15, 0
	v_addc_co_u32_e32 v7, vcc, v8, v7, vcc
	v_cmp_gt_i64_e32 vcc, s[8:9], v[6:7]
	s_and_saveexec_b64 s[10:11], vcc
	s_cbranch_execz .LBB252_42
; %bb.28:
	s_load_dwordx4 s[4:7], s[4:5], 0x70
	s_mov_b64 s[12:13], 0
	s_waitcnt lgkmcnt(0)
	v_mov_b32_e32 v13, s5
	v_mov_b32_e32 v14, s7
	s_movk_i32 s5, 0x89
	s_branch .LBB252_30
.LBB252_29:                             ;   in Loop: Header=BB252_30 Depth=1
	s_or_b64 exec, exec, s[14:15]
	v_add_co_u32_e32 v6, vcc, 0x400, v6
	v_addc_co_u32_e32 v7, vcc, 0, v7, vcc
	v_cmp_le_i64_e32 vcc, s[8:9], v[6:7]
	s_or_b64 s[12:13], vcc, s[12:13]
	s_andn2_b64 exec, exec, s[12:13]
	s_cbranch_execz .LBB252_42
.LBB252_30:                             ; =>This Loop Header: Depth=1
                                        ;     Child Loop BB252_32 Depth 2
	v_lshlrev_b64 v[8:9], 2, v[6:7]
	v_add_co_u32_e32 v8, vcc, s4, v8
	v_addc_co_u32_e32 v9, vcc, v13, v9, vcc
	global_load_dword v10, v[8:9], off
	v_lshlrev_b64 v[8:9], 4, v[6:7]
	v_add_co_u32_e32 v8, vcc, s6, v8
	v_addc_co_u32_e32 v9, vcc, v14, v9, vcc
	global_load_dwordx4 v[16:19], v[8:9], off
	s_mov_b64 s[14:15], 0
	s_waitcnt vmcnt(1)
	v_subrev_u32_e32 v15, s39, v10
	v_mul_lo_u32 v12, v15, s5
	s_waitcnt vmcnt(0)
	v_mul_f64 v[8:9], v[18:19], -v[2:3]
	v_mul_f64 v[10:11], v[4:5], v[18:19]
	v_fmac_f64_e32 v[8:9], v[4:5], v[16:17]
	v_fmac_f64_e32 v[10:11], v[2:3], v[16:17]
	v_and_b32_e32 v16, 0x1fff, v12
	s_branch .LBB252_32
.LBB252_31:                             ;   in Loop: Header=BB252_32 Depth=2
	s_or_b64 exec, exec, s[16:17]
	s_xor_b64 s[16:17], s[18:19], -1
	s_and_b64 s[16:17], exec, s[16:17]
	s_or_b64 s[14:15], s[16:17], s[14:15]
	s_andn2_b64 exec, exec, s[14:15]
	s_cbranch_execz .LBB252_29
.LBB252_32:                             ;   Parent Loop BB252_30 Depth=1
                                        ; =>  This Inner Loop Header: Depth=2
	v_lshl_add_u32 v12, v16, 2, 0
	ds_read_b32 v17, v12
                                        ; implicit-def: $sgpr18_sgpr19
	s_waitcnt lgkmcnt(0)
	v_cmp_ne_u32_e32 vcc, v17, v15
	s_and_saveexec_b64 s[16:17], vcc
	s_xor_b64 s[16:17], exec, s[16:17]
	s_cbranch_execz .LBB252_40
; %bb.33:                               ;   in Loop: Header=BB252_32 Depth=2
	v_cmp_ne_u32_e32 vcc, s33, v17
                                        ; implicit-def: $sgpr18_sgpr19
	s_and_saveexec_b64 s[20:21], vcc
	s_xor_b64 s[20:21], exec, s[20:21]
; %bb.34:                               ;   in Loop: Header=BB252_32 Depth=2
	v_add_u32_e32 v12, 1, v16
	v_and_b32_e32 v16, 0x1fff, v12
	s_mov_b64 s[18:19], -1
                                        ; implicit-def: $vgpr12
; %bb.35:                               ;   in Loop: Header=BB252_32 Depth=2
	s_andn2_saveexec_b64 s[20:21], s[20:21]
	s_cbranch_execz .LBB252_39
; %bb.36:                               ;   in Loop: Header=BB252_32 Depth=2
	v_mov_b32_e32 v17, s33
	ds_cmpst_rtn_b32 v17, v12, v17, v15
	s_mov_b64 s[24:25], -1
	s_waitcnt lgkmcnt(0)
	v_cmp_eq_u32_e32 vcc, s33, v17
	s_and_saveexec_b64 s[22:23], vcc
	s_cbranch_execz .LBB252_38
; %bb.37:                               ;   in Loop: Header=BB252_32 Depth=2
	v_mad_u64_u32 v[18:19], s[24:25], v16, 12, v[12:13]
	ds_add_f64 v18, v[8:9] offset:32768
	ds_add_f64 v18, v[10:11] offset:32776
	s_xor_b64 s[24:25], exec, -1
.LBB252_38:                             ;   in Loop: Header=BB252_32 Depth=2
	s_or_b64 exec, exec, s[22:23]
	s_andn2_b64 s[18:19], s[18:19], exec
	s_and_b64 s[22:23], s[24:25], exec
	s_or_b64 s[18:19], s[18:19], s[22:23]
.LBB252_39:                             ;   in Loop: Header=BB252_32 Depth=2
	s_or_b64 exec, exec, s[20:21]
	s_and_b64 s[18:19], s[18:19], exec
                                        ; implicit-def: $vgpr12
.LBB252_40:                             ;   in Loop: Header=BB252_32 Depth=2
	s_andn2_saveexec_b64 s[16:17], s[16:17]
	s_cbranch_execz .LBB252_31
; %bb.41:                               ;   in Loop: Header=BB252_32 Depth=2
	v_mad_u64_u32 v[18:19], s[20:21], v16, 12, v[12:13]
	ds_add_f64 v18, v[8:9] offset:32768
	ds_add_f64 v18, v[10:11] offset:32776
	s_andn2_b64 s[18:19], s[18:19], exec
	s_branch .LBB252_31
.LBB252_42:
	s_or_b64 exec, exec, s[10:11]
.LBB252_43:
	s_waitcnt vmcnt(0)
	v_mbcnt_lo_u32_b32 v2, -1, 0
	v_mbcnt_hi_u32_b32 v2, -1, v2
	v_sub_u32_e32 v2, 63, v2
	s_add_i32 s39, 0, 0x28000
	s_movk_i32 s4, 0x3ff
	s_movk_i32 s6, 0x7f
	;; [unrolled: 1-line block ×15, first 2 shown]
	v_lshl_add_u32 v6, v0, 4, 0
	s_add_i32 s65, 0, 0x2803c
	v_mov_b32_e32 v4, 0
	v_lshrrev_b64 v[2:3], v2, -1
	v_lshl_add_u32 v5, v25, 2, s39
	v_cmp_eq_u32_e32 vcc, s4, v0
	v_cmp_lt_u32_e64 s[4:5], 63, v0
	v_cmp_lt_u32_e64 s[6:7], s6, v0
	;; [unrolled: 1-line block ×15, first 2 shown]
	v_add_u32_e32 v6, 0x8000, v6
	v_or_b32_e32 v7, 0xfffffc00, v0
	s_mov_b64 s[48:49], 0
	s_add_i32 s45, 0, 0x28004
	s_add_i32 s52, 0, 0x28008
	;; [unrolled: 1-line block ×14, first 2 shown]
	v_mov_b32_e32 v8, s65
	s_movk_i32 s66, 0x1bff
	s_waitcnt lgkmcnt(0)
	s_barrier
	s_branch .LBB252_45
.LBB252_44:                             ;   in Loop: Header=BB252_45 Depth=1
	s_or_b64 exec, exec, s[36:37]
	s_waitcnt lgkmcnt(0)
	s_barrier
	ds_read_b32 v9, v8
	v_add_u32_e32 v7, 0x400, v7
	v_cmp_lt_u32_e64 s[36:37], s66, v7
	v_add_u32_e32 v6, 0x4000, v6
	s_or_b64 s[48:49], s[36:37], s[48:49]
	s_waitcnt lgkmcnt(0)
	v_add_u32_e32 v4, v9, v4
	v_add_u32_e32 v1, 0x1000, v1
	s_andn2_b64 exec, exec, s[48:49]
	s_cbranch_execz .LBB252_79
.LBB252_45:                             ; =>This Inner Loop Header: Depth=1
	ds_read2_b64 v[12:15], v6 offset1:1
	ds_read_b32 v10, v1
	s_waitcnt lgkmcnt(1)
	buffer_store_dword v15, off, s[0:3], 0 offset:12
	buffer_store_dword v14, off, s[0:3], 0 offset:8
	;; [unrolled: 1-line block ×3, first 2 shown]
	buffer_store_dword v12, off, s[0:3], 0
	s_waitcnt lgkmcnt(0)
	v_cmp_gt_i32_e64 s[36:37], s33, v10
	v_and_b32_e32 v11, s36, v2
	s_bcnt1_i32_b64 s50, s[36:37]
	v_and_b32_e32 v9, s37, v3
	v_bcnt_u32_b32 v11, v11, 0
	v_bcnt_u32_b32 v9, v9, v11
	v_mov_b32_e32 v11, s50
	s_barrier
	ds_write_b32 v5, v11
	s_waitcnt lgkmcnt(0)
	s_barrier
	s_and_saveexec_b64 s[50:51], s[4:5]
	s_cbranch_execnz .LBB252_62
; %bb.46:                               ;   in Loop: Header=BB252_45 Depth=1
	s_or_b64 exec, exec, s[50:51]
	s_and_saveexec_b64 s[50:51], s[6:7]
	s_cbranch_execnz .LBB252_63
.LBB252_47:                             ;   in Loop: Header=BB252_45 Depth=1
	s_or_b64 exec, exec, s[50:51]
	s_and_saveexec_b64 s[50:51], s[8:9]
	s_cbranch_execnz .LBB252_64
.LBB252_48:                             ;   in Loop: Header=BB252_45 Depth=1
	s_or_b64 exec, exec, s[50:51]
	s_and_saveexec_b64 s[50:51], s[10:11]
	s_cbranch_execnz .LBB252_65
.LBB252_49:                             ;   in Loop: Header=BB252_45 Depth=1
	s_or_b64 exec, exec, s[50:51]
	s_and_saveexec_b64 s[50:51], s[12:13]
	s_cbranch_execnz .LBB252_66
.LBB252_50:                             ;   in Loop: Header=BB252_45 Depth=1
	s_or_b64 exec, exec, s[50:51]
	s_and_saveexec_b64 s[50:51], s[14:15]
	s_cbranch_execnz .LBB252_67
.LBB252_51:                             ;   in Loop: Header=BB252_45 Depth=1
	s_or_b64 exec, exec, s[50:51]
	s_and_saveexec_b64 s[50:51], s[16:17]
	s_cbranch_execnz .LBB252_68
.LBB252_52:                             ;   in Loop: Header=BB252_45 Depth=1
	s_or_b64 exec, exec, s[50:51]
	s_and_saveexec_b64 s[50:51], s[18:19]
	s_cbranch_execnz .LBB252_69
.LBB252_53:                             ;   in Loop: Header=BB252_45 Depth=1
	s_or_b64 exec, exec, s[50:51]
	s_and_saveexec_b64 s[50:51], s[20:21]
	s_cbranch_execnz .LBB252_70
.LBB252_54:                             ;   in Loop: Header=BB252_45 Depth=1
	s_or_b64 exec, exec, s[50:51]
	s_and_saveexec_b64 s[50:51], s[22:23]
	s_cbranch_execnz .LBB252_71
.LBB252_55:                             ;   in Loop: Header=BB252_45 Depth=1
	s_or_b64 exec, exec, s[50:51]
	s_and_saveexec_b64 s[50:51], s[24:25]
	s_cbranch_execnz .LBB252_72
.LBB252_56:                             ;   in Loop: Header=BB252_45 Depth=1
	s_or_b64 exec, exec, s[50:51]
	s_and_saveexec_b64 s[50:51], s[26:27]
	s_cbranch_execnz .LBB252_73
.LBB252_57:                             ;   in Loop: Header=BB252_45 Depth=1
	s_or_b64 exec, exec, s[50:51]
	s_and_saveexec_b64 s[50:51], s[28:29]
	s_cbranch_execnz .LBB252_74
.LBB252_58:                             ;   in Loop: Header=BB252_45 Depth=1
	s_or_b64 exec, exec, s[50:51]
	s_and_saveexec_b64 s[50:51], s[30:31]
	s_cbranch_execnz .LBB252_75
.LBB252_59:                             ;   in Loop: Header=BB252_45 Depth=1
	s_or_b64 exec, exec, s[50:51]
	s_and_saveexec_b64 s[50:51], s[34:35]
	s_cbranch_execnz .LBB252_76
.LBB252_60:                             ;   in Loop: Header=BB252_45 Depth=1
	s_or_b64 exec, exec, s[50:51]
	s_and_saveexec_b64 s[50:51], s[36:37]
	s_cbranch_execnz .LBB252_77
.LBB252_61:                             ;   in Loop: Header=BB252_45 Depth=1
	s_or_b64 exec, exec, s[50:51]
	s_and_saveexec_b64 s[36:37], vcc
	s_cbranch_execz .LBB252_44
	s_branch .LBB252_78
.LBB252_62:                             ;   in Loop: Header=BB252_45 Depth=1
	v_mov_b32_e32 v11, s39
	ds_read_b32 v11, v11
	s_waitcnt lgkmcnt(0)
	v_add_u32_e32 v9, v11, v9
	s_or_b64 exec, exec, s[50:51]
	s_and_saveexec_b64 s[50:51], s[6:7]
	s_cbranch_execz .LBB252_47
.LBB252_63:                             ;   in Loop: Header=BB252_45 Depth=1
	v_mov_b32_e32 v11, s45
	ds_read_b32 v11, v11
	s_waitcnt lgkmcnt(0)
	v_add_u32_e32 v9, v11, v9
	s_or_b64 exec, exec, s[50:51]
	s_and_saveexec_b64 s[50:51], s[8:9]
	s_cbranch_execz .LBB252_48
.LBB252_64:                             ;   in Loop: Header=BB252_45 Depth=1
	v_mov_b32_e32 v11, s52
	ds_read_b32 v11, v11
	s_waitcnt lgkmcnt(0)
	v_add_u32_e32 v9, v11, v9
	s_or_b64 exec, exec, s[50:51]
	s_and_saveexec_b64 s[50:51], s[10:11]
	s_cbranch_execz .LBB252_49
.LBB252_65:                             ;   in Loop: Header=BB252_45 Depth=1
	v_mov_b32_e32 v11, s53
	ds_read_b32 v11, v11
	s_waitcnt lgkmcnt(0)
	v_add_u32_e32 v9, v11, v9
	s_or_b64 exec, exec, s[50:51]
	s_and_saveexec_b64 s[50:51], s[12:13]
	s_cbranch_execz .LBB252_50
.LBB252_66:                             ;   in Loop: Header=BB252_45 Depth=1
	v_mov_b32_e32 v11, s54
	ds_read_b32 v11, v11
	s_waitcnt lgkmcnt(0)
	v_add_u32_e32 v9, v11, v9
	s_or_b64 exec, exec, s[50:51]
	s_and_saveexec_b64 s[50:51], s[14:15]
	s_cbranch_execz .LBB252_51
.LBB252_67:                             ;   in Loop: Header=BB252_45 Depth=1
	v_mov_b32_e32 v11, s55
	ds_read_b32 v11, v11
	s_waitcnt lgkmcnt(0)
	v_add_u32_e32 v9, v11, v9
	s_or_b64 exec, exec, s[50:51]
	s_and_saveexec_b64 s[50:51], s[16:17]
	s_cbranch_execz .LBB252_52
.LBB252_68:                             ;   in Loop: Header=BB252_45 Depth=1
	v_mov_b32_e32 v11, s56
	ds_read_b32 v11, v11
	s_waitcnt lgkmcnt(0)
	v_add_u32_e32 v9, v11, v9
	s_or_b64 exec, exec, s[50:51]
	s_and_saveexec_b64 s[50:51], s[18:19]
	s_cbranch_execz .LBB252_53
.LBB252_69:                             ;   in Loop: Header=BB252_45 Depth=1
	v_mov_b32_e32 v11, s57
	ds_read_b32 v11, v11
	s_waitcnt lgkmcnt(0)
	v_add_u32_e32 v9, v11, v9
	s_or_b64 exec, exec, s[50:51]
	s_and_saveexec_b64 s[50:51], s[20:21]
	s_cbranch_execz .LBB252_54
.LBB252_70:                             ;   in Loop: Header=BB252_45 Depth=1
	v_mov_b32_e32 v11, s58
	ds_read_b32 v11, v11
	s_waitcnt lgkmcnt(0)
	v_add_u32_e32 v9, v11, v9
	s_or_b64 exec, exec, s[50:51]
	s_and_saveexec_b64 s[50:51], s[22:23]
	s_cbranch_execz .LBB252_55
.LBB252_71:                             ;   in Loop: Header=BB252_45 Depth=1
	v_mov_b32_e32 v11, s59
	ds_read_b32 v11, v11
	s_waitcnt lgkmcnt(0)
	v_add_u32_e32 v9, v11, v9
	s_or_b64 exec, exec, s[50:51]
	s_and_saveexec_b64 s[50:51], s[24:25]
	s_cbranch_execz .LBB252_56
.LBB252_72:                             ;   in Loop: Header=BB252_45 Depth=1
	v_mov_b32_e32 v11, s60
	ds_read_b32 v11, v11
	s_waitcnt lgkmcnt(0)
	v_add_u32_e32 v9, v11, v9
	s_or_b64 exec, exec, s[50:51]
	s_and_saveexec_b64 s[50:51], s[26:27]
	s_cbranch_execz .LBB252_57
.LBB252_73:                             ;   in Loop: Header=BB252_45 Depth=1
	v_mov_b32_e32 v11, s61
	ds_read_b32 v11, v11
	s_waitcnt lgkmcnt(0)
	v_add_u32_e32 v9, v11, v9
	s_or_b64 exec, exec, s[50:51]
	s_and_saveexec_b64 s[50:51], s[28:29]
	s_cbranch_execz .LBB252_58
.LBB252_74:                             ;   in Loop: Header=BB252_45 Depth=1
	v_mov_b32_e32 v11, s62
	ds_read_b32 v11, v11
	s_waitcnt lgkmcnt(0)
	v_add_u32_e32 v9, v11, v9
	s_or_b64 exec, exec, s[50:51]
	s_and_saveexec_b64 s[50:51], s[30:31]
	s_cbranch_execz .LBB252_59
.LBB252_75:                             ;   in Loop: Header=BB252_45 Depth=1
	v_mov_b32_e32 v11, s63
	ds_read_b32 v11, v11
	s_waitcnt lgkmcnt(0)
	v_add_u32_e32 v9, v11, v9
	s_or_b64 exec, exec, s[50:51]
	s_and_saveexec_b64 s[50:51], s[34:35]
	s_cbranch_execz .LBB252_60
.LBB252_76:                             ;   in Loop: Header=BB252_45 Depth=1
	v_mov_b32_e32 v11, s64
	ds_read_b32 v11, v11
	s_waitcnt lgkmcnt(0)
	v_add_u32_e32 v9, v11, v9
	s_or_b64 exec, exec, s[50:51]
	s_and_saveexec_b64 s[50:51], s[36:37]
	s_cbranch_execz .LBB252_61
.LBB252_77:                             ;   in Loop: Header=BB252_45 Depth=1
	buffer_load_dword v12, off, s[0:3], 0
	buffer_load_dword v13, off, s[0:3], 0 offset:4
	buffer_load_dword v14, off, s[0:3], 0 offset:8
	;; [unrolled: 1-line block ×3, first 2 shown]
	v_add3_u32 v11, v4, -1, v9
	v_lshl_add_u32 v16, v11, 2, 0
	v_lshl_add_u32 v11, v11, 4, 0
	v_add_u32_e32 v11, 0x8000, v11
	ds_write_b32 v16, v10
	s_waitcnt vmcnt(0)
	ds_write2_b64 v11, v[12:13], v[14:15] offset1:1
	s_or_b64 exec, exec, s[50:51]
	s_and_saveexec_b64 s[36:37], vcc
	s_cbranch_execz .LBB252_44
.LBB252_78:                             ;   in Loop: Header=BB252_45 Depth=1
	v_mov_b32_e32 v10, s65
	ds_write_b32 v10, v9
	s_branch .LBB252_44
.LBB252_79:
	s_or_b64 exec, exec, s[48:49]
	s_ashr_i32 s45, s44, 31
	s_lshl_b64 s[4:5], s[44:45], 3
	s_add_u32 s4, s40, s4
	s_addc_u32 s5, s41, s5
	s_load_dwordx4 s[4:7], s[4:5], 0x0
	s_waitcnt lgkmcnt(0)
	s_sub_i32 s12, s6, s4
	v_cmp_gt_i32_e32 vcc, s12, v0
	s_and_saveexec_b64 s[8:9], vcc
	s_cbranch_execz .LBB252_89
; %bb.80:
	s_sub_u32 s8, s4, s38
	s_subb_u32 s9, s5, 0
	s_and_b32 s13, s12, 7
	s_sub_i32 s4, s4, s6
	s_cmp_lt_u32 s4, -7
	s_cselect_b64 s[4:5], -1, 0
	s_and_b32 s14, s12, -8
	s_cmp_lg_u32 s13, 0
	v_cndmask_b32_e64 v1, 0, 1, s[4:5]
	s_cselect_b64 s[6:7], -1, 0
	v_cmp_ne_u32_e64 s[4:5], 1, v1
	v_cndmask_b32_e64 v1, 0, 1, s[6:7]
	s_mov_b64 s[10:11], 0
	s_mov_b32 s15, 0x8000
	v_cmp_ne_u32_e64 s[6:7], 1, v1
	v_mov_b32_e32 v1, s43
	s_branch .LBB252_82
.LBB252_81:                             ;   in Loop: Header=BB252_82 Depth=1
	v_mul_lo_u32 v6, v0, 12
	v_add3_u32 v8, v4, v6, s15
	s_waitcnt lgkmcnt(0)
	v_add_u32_e32 v6, s38, v5
	v_lshlrev_b64 v[4:5], 2, v[2:3]
	v_add_co_u32_e32 v4, vcc, s42, v4
	v_addc_co_u32_e32 v5, vcc, v1, v5, vcc
	global_store_dword v[4:5], v6, off
	v_lshlrev_b64 v[6:7], 4, v[2:3]
	ds_read2_b64 v[2:5], v8 offset1:1
	v_mov_b32_e32 v9, s47
	v_add_co_u32_e32 v6, vcc, s46, v6
	v_addc_co_u32_e32 v7, vcc, v9, v7, vcc
	v_add_u32_e32 v0, 0x400, v0
	v_cmp_le_i32_e32 vcc, s12, v0
	s_or_b64 s[10:11], vcc, s[10:11]
	s_waitcnt lgkmcnt(0)
	global_store_dwordx4 v[6:7], v[2:5], off
	s_andn2_b64 exec, exec, s[10:11]
	s_cbranch_execz .LBB252_89
.LBB252_82:                             ; =>This Loop Header: Depth=1
                                        ;     Child Loop BB252_84 Depth 2
                                        ;     Child Loop BB252_88 Depth 2
	v_lshl_add_u32 v4, v0, 2, 0
	ds_read_b32 v5, v4
	s_and_b64 vcc, exec, s[4:5]
	v_pk_mov_b32 v[2:3], s[8:9], s[8:9] op_sel:[0,1]
	s_mov_b32 s16, 0
	s_cbranch_vccnz .LBB252_86
; %bb.83:                               ;   in Loop: Header=BB252_82 Depth=1
	s_mov_b32 s17, 0
	v_pk_mov_b32 v[2:3], s[8:9], s[8:9] op_sel:[0,1]
.LBB252_84:                             ;   Parent Loop BB252_82 Depth=1
                                        ; =>  This Inner Loop Header: Depth=2
	v_mov_b32_e32 v12, s17
	ds_read2_b32 v[6:7], v12 offset1:1
	ds_read2_b32 v[8:9], v12 offset0:2 offset1:3
	ds_read2_b32 v[10:11], v12 offset0:4 offset1:5
	;; [unrolled: 1-line block ×3, first 2 shown]
	s_add_i32 s16, s16, 8
	s_waitcnt lgkmcnt(3)
	v_cmp_gt_i32_e32 vcc, v5, v6
	v_cndmask_b32_e64 v6, 0, 1, vcc
	v_cmp_gt_i32_e32 vcc, v5, v7
	v_cndmask_b32_e64 v7, 0, 1, vcc
	s_waitcnt lgkmcnt(2)
	v_cmp_gt_i32_e32 vcc, v5, v8
	v_cndmask_b32_e64 v8, 0, 1, vcc
	v_cmp_gt_i32_e32 vcc, v5, v9
	v_cndmask_b32_e64 v9, 0, 1, vcc
	;; [unrolled: 5-line block ×4, first 2 shown]
	v_add_co_u32_e32 v2, vcc, v2, v6
	v_addc_co_u32_e32 v3, vcc, 0, v3, vcc
	v_add_co_u32_e32 v2, vcc, v2, v7
	v_addc_co_u32_e32 v3, vcc, 0, v3, vcc
	;; [unrolled: 2-line block ×7, first 2 shown]
	s_add_i32 s17, s17, 32
	v_add_co_u32_e32 v2, vcc, v2, v13
	s_cmp_eq_u32 s14, s16
	v_addc_co_u32_e32 v3, vcc, 0, v3, vcc
	s_cbranch_scc0 .LBB252_84
; %bb.85:                               ;   in Loop: Header=BB252_82 Depth=1
	s_mov_b32 s16, s14
.LBB252_86:                             ;   in Loop: Header=BB252_82 Depth=1
	s_and_b64 vcc, exec, s[6:7]
	s_cbranch_vccnz .LBB252_81
; %bb.87:                               ;   in Loop: Header=BB252_82 Depth=1
	s_lshl_b32 s16, s16, 2
	s_add_i32 s16, s16, 0
	s_mov_b32 s17, s13
.LBB252_88:                             ;   Parent Loop BB252_82 Depth=1
                                        ; =>  This Inner Loop Header: Depth=2
	v_mov_b32_e32 v6, s16
	ds_read_b32 v6, v6
	s_add_i32 s16, s16, 4
	s_add_i32 s17, s17, -1
	s_cmp_lg_u32 s17, 0
	s_waitcnt lgkmcnt(0)
	v_cmp_gt_i32_e32 vcc, v5, v6
	v_cndmask_b32_e64 v6, 0, 1, vcc
	v_add_co_u32_e32 v2, vcc, v2, v6
	v_addc_co_u32_e32 v3, vcc, 0, v3, vcc
	s_cbranch_scc1 .LBB252_88
	s_branch .LBB252_81
.LBB252_89:
	s_endpgm
	.section	.rodata,"a",@progbits
	.p2align	6, 0x0
	.amdhsa_kernel _ZN9rocsparseL26csrgemm_fill_block_per_rowILj1024ELj64ELj8192ELj137ELj64Eli21rocsparse_complex_numIdEEEvT5_PKS3_S5_NS_24const_host_device_scalarIT6_EEPKT4_S5_PKS7_SB_S5_SD_S8_SB_S5_SD_SB_PS3_PS7_21rocsparse_index_base_SG_SG_SG_bbb
		.amdhsa_group_segment_fixed_size 0
		.amdhsa_private_segment_fixed_size 40
		.amdhsa_kernarg_size 172
		.amdhsa_user_sgpr_count 8
		.amdhsa_user_sgpr_private_segment_buffer 1
		.amdhsa_user_sgpr_dispatch_ptr 0
		.amdhsa_user_sgpr_queue_ptr 0
		.amdhsa_user_sgpr_kernarg_segment_ptr 1
		.amdhsa_user_sgpr_dispatch_id 0
		.amdhsa_user_sgpr_flat_scratch_init 1
		.amdhsa_user_sgpr_kernarg_preload_length 0
		.amdhsa_user_sgpr_kernarg_preload_offset 0
		.amdhsa_user_sgpr_private_segment_size 0
		.amdhsa_uses_dynamic_stack 0
		.amdhsa_system_sgpr_private_segment_wavefront_offset 1
		.amdhsa_system_sgpr_workgroup_id_x 1
		.amdhsa_system_sgpr_workgroup_id_y 0
		.amdhsa_system_sgpr_workgroup_id_z 0
		.amdhsa_system_sgpr_workgroup_info 0
		.amdhsa_system_vgpr_workitem_id 0
		.amdhsa_next_free_vgpr 36
		.amdhsa_next_free_sgpr 67
		.amdhsa_accum_offset 36
		.amdhsa_reserve_vcc 1
		.amdhsa_reserve_flat_scratch 1
		.amdhsa_float_round_mode_32 0
		.amdhsa_float_round_mode_16_64 0
		.amdhsa_float_denorm_mode_32 3
		.amdhsa_float_denorm_mode_16_64 3
		.amdhsa_dx10_clamp 1
		.amdhsa_ieee_mode 1
		.amdhsa_fp16_overflow 0
		.amdhsa_tg_split 0
		.amdhsa_exception_fp_ieee_invalid_op 0
		.amdhsa_exception_fp_denorm_src 0
		.amdhsa_exception_fp_ieee_div_zero 0
		.amdhsa_exception_fp_ieee_overflow 0
		.amdhsa_exception_fp_ieee_underflow 0
		.amdhsa_exception_fp_ieee_inexact 0
		.amdhsa_exception_int_div_zero 0
	.end_amdhsa_kernel
	.section	.text._ZN9rocsparseL26csrgemm_fill_block_per_rowILj1024ELj64ELj8192ELj137ELj64Eli21rocsparse_complex_numIdEEEvT5_PKS3_S5_NS_24const_host_device_scalarIT6_EEPKT4_S5_PKS7_SB_S5_SD_S8_SB_S5_SD_SB_PS3_PS7_21rocsparse_index_base_SG_SG_SG_bbb,"axG",@progbits,_ZN9rocsparseL26csrgemm_fill_block_per_rowILj1024ELj64ELj8192ELj137ELj64Eli21rocsparse_complex_numIdEEEvT5_PKS3_S5_NS_24const_host_device_scalarIT6_EEPKT4_S5_PKS7_SB_S5_SD_S8_SB_S5_SD_SB_PS3_PS7_21rocsparse_index_base_SG_SG_SG_bbb,comdat
.Lfunc_end252:
	.size	_ZN9rocsparseL26csrgemm_fill_block_per_rowILj1024ELj64ELj8192ELj137ELj64Eli21rocsparse_complex_numIdEEEvT5_PKS3_S5_NS_24const_host_device_scalarIT6_EEPKT4_S5_PKS7_SB_S5_SD_S8_SB_S5_SD_SB_PS3_PS7_21rocsparse_index_base_SG_SG_SG_bbb, .Lfunc_end252-_ZN9rocsparseL26csrgemm_fill_block_per_rowILj1024ELj64ELj8192ELj137ELj64Eli21rocsparse_complex_numIdEEEvT5_PKS3_S5_NS_24const_host_device_scalarIT6_EEPKT4_S5_PKS7_SB_S5_SD_S8_SB_S5_SD_SB_PS3_PS7_21rocsparse_index_base_SG_SG_SG_bbb
                                        ; -- End function
	.section	.AMDGPU.csdata,"",@progbits
; Kernel info:
; codeLenInByte = 3896
; NumSgprs: 73
; NumVgprs: 36
; NumAgprs: 0
; TotalNumVgprs: 36
; ScratchSize: 40
; MemoryBound: 0
; FloatMode: 240
; IeeeMode: 1
; LDSByteSize: 0 bytes/workgroup (compile time only)
; SGPRBlocks: 9
; VGPRBlocks: 4
; NumSGPRsForWavesPerEU: 73
; NumVGPRsForWavesPerEU: 36
; AccumOffset: 36
; Occupancy: 8
; WaveLimiterHint : 1
; COMPUTE_PGM_RSRC2:SCRATCH_EN: 1
; COMPUTE_PGM_RSRC2:USER_SGPR: 8
; COMPUTE_PGM_RSRC2:TRAP_HANDLER: 0
; COMPUTE_PGM_RSRC2:TGID_X_EN: 1
; COMPUTE_PGM_RSRC2:TGID_Y_EN: 0
; COMPUTE_PGM_RSRC2:TGID_Z_EN: 0
; COMPUTE_PGM_RSRC2:TIDIG_COMP_CNT: 0
; COMPUTE_PGM_RSRC3_GFX90A:ACCUM_OFFSET: 8
; COMPUTE_PGM_RSRC3_GFX90A:TG_SPLIT: 0
	.section	.text._ZN9rocsparseL26csrgemm_fill_block_per_rowILj1024ELj64ELj16384ELj137ELj32Eli21rocsparse_complex_numIdEEEvT5_PKS3_S5_NS_24const_host_device_scalarIT6_EEPKT4_S5_PKS7_SB_S5_SD_S8_SB_S5_SD_SB_PS3_PS7_21rocsparse_index_base_SG_SG_SG_bbb,"axG",@progbits,_ZN9rocsparseL26csrgemm_fill_block_per_rowILj1024ELj64ELj16384ELj137ELj32Eli21rocsparse_complex_numIdEEEvT5_PKS3_S5_NS_24const_host_device_scalarIT6_EEPKT4_S5_PKS7_SB_S5_SD_S8_SB_S5_SD_SB_PS3_PS7_21rocsparse_index_base_SG_SG_SG_bbb,comdat
	.globl	_ZN9rocsparseL26csrgemm_fill_block_per_rowILj1024ELj64ELj16384ELj137ELj32Eli21rocsparse_complex_numIdEEEvT5_PKS3_S5_NS_24const_host_device_scalarIT6_EEPKT4_S5_PKS7_SB_S5_SD_S8_SB_S5_SD_SB_PS3_PS7_21rocsparse_index_base_SG_SG_SG_bbb ; -- Begin function _ZN9rocsparseL26csrgemm_fill_block_per_rowILj1024ELj64ELj16384ELj137ELj32Eli21rocsparse_complex_numIdEEEvT5_PKS3_S5_NS_24const_host_device_scalarIT6_EEPKT4_S5_PKS7_SB_S5_SD_S8_SB_S5_SD_SB_PS3_PS7_21rocsparse_index_base_SG_SG_SG_bbb
	.p2align	8
	.type	_ZN9rocsparseL26csrgemm_fill_block_per_rowILj1024ELj64ELj16384ELj137ELj32Eli21rocsparse_complex_numIdEEEvT5_PKS3_S5_NS_24const_host_device_scalarIT6_EEPKT4_S5_PKS7_SB_S5_SD_S8_SB_S5_SD_SB_PS3_PS7_21rocsparse_index_base_SG_SG_SG_bbb,@function
_ZN9rocsparseL26csrgemm_fill_block_per_rowILj1024ELj64ELj16384ELj137ELj32Eli21rocsparse_complex_numIdEEEvT5_PKS3_S5_NS_24const_host_device_scalarIT6_EEPKT4_S5_PKS7_SB_S5_SD_S8_SB_S5_SD_SB_PS3_PS7_21rocsparse_index_base_SG_SG_SG_bbb: ; @_ZN9rocsparseL26csrgemm_fill_block_per_rowILj1024ELj64ELj16384ELj137ELj32Eli21rocsparse_complex_numIdEEEvT5_PKS3_S5_NS_24const_host_device_scalarIT6_EEPKT4_S5_PKS7_SB_S5_SD_S8_SB_S5_SD_SB_PS3_PS7_21rocsparse_index_base_SG_SG_SG_bbb
; %bb.0:
	s_add_u32 flat_scratch_lo, s6, s9
	s_addc_u32 flat_scratch_hi, s7, 0
	s_load_dwordx4 s[12:15], s[4:5], 0x18
	s_load_dwordx4 s[28:31], s[4:5], 0x58
	s_add_u32 s0, s0, s9
	s_load_dword s9, s[4:5], 0xa8
	s_load_dwordx4 s[72:75], s[4:5], 0x98
	s_addc_u32 s1, s1, 0
	s_waitcnt lgkmcnt(0)
	v_mov_b32_e32 v1, s13
	buffer_store_dword v1, off, s[0:3], 0 offset:20
	s_bitcmp1_b32 s9, 0
	s_cselect_b64 s[36:37], -1, 0
	s_bitcmp1_b32 s9, 16
	v_mov_b32_e32 v1, s12
	s_cselect_b64 s[6:7], -1, 0
	buffer_store_dword v1, off, s[0:3], 0 offset:16
	v_mov_b32_e32 v1, s29
	buffer_store_dword v1, off, s[0:3], 0 offset:28
	v_mov_b32_e32 v1, s28
	s_xor_b64 s[10:11], s[6:7], -1
	buffer_store_dword v1, off, s[0:3], 0 offset:24
	v_pk_mov_b32 v[2:3], 0, 0
	v_cndmask_b32_e64 v1, 0, 1, s[10:11]
	s_bitcmp0_b32 s9, 0
	v_cmp_ne_u32_e64 s[10:11], 1, v1
	v_pk_mov_b32 v[6:7], v[2:3], v[2:3] op_sel:[0,1]
	v_pk_mov_b32 v[8:9], v[2:3], v[2:3] op_sel:[0,1]
	s_cbranch_scc1 .LBB253_3
; %bb.1:
	s_mov_b64 s[16:17], src_private_base
	s_and_b64 s[18:19], s[6:7], exec
	s_cselect_b32 s16, s17, s13
	v_mov_b32_e32 v1, 16
	v_mov_b32_e32 v4, s12
	v_cndmask_b32_e64 v4, v4, v1, s[6:7]
	v_mov_b32_e32 v5, s16
	flat_load_dwordx2 v[6:7], v[4:5]
	s_and_b64 vcc, exec, s[10:11]
	v_pk_mov_b32 v[8:9], s[14:15], s[14:15] op_sel:[0,1]
	s_cbranch_vccnz .LBB253_3
; %bb.2:
	v_pk_mov_b32 v[4:5], s[12:13], s[12:13] op_sel:[0,1]
	flat_load_dwordx2 v[8:9], v[4:5] offset:8
.LBB253_3:
	s_load_dwordx4 s[12:15], s[4:5], 0x88
                                        ; implicit-def: $vgpr36 : SGPR spill to VGPR lane
	s_bitcmp1_b32 s9, 8
	s_cselect_b64 s[34:35], -1, 0
	s_bfe_u32 s9, s9, 0x10008
	s_mov_b64 s[38:39], 0
	s_waitcnt lgkmcnt(0)
	v_writelane_b32 v36, s12, 0
	v_writelane_b32 v36, s13, 1
	;; [unrolled: 1-line block ×4, first 2 shown]
	s_load_dwordx8 s[12:19], s[4:5], 0x68
	s_cmp_eq_u32 s9, 0
	v_pk_mov_b32 v[4:5], v[2:3], v[2:3] op_sel:[0,1]
	s_waitcnt lgkmcnt(0)
	v_writelane_b32 v36, s12, 4
	v_writelane_b32 v36, s13, 5
	;; [unrolled: 1-line block ×8, first 2 shown]
	s_load_dwordx4 s[20:23], s[4:5], 0x48
	s_load_dwordx4 s[24:27], s[4:5], 0x8
	s_load_dwordx8 s[12:19], s[4:5], 0x28
	s_cbranch_scc1 .LBB253_6
; %bb.4:
	s_mov_b64 s[40:41], src_private_base
	s_and_b64 s[42:43], s[6:7], exec
	s_cselect_b32 s9, s41, s29
	v_mov_b32_e32 v1, 24
	v_mov_b32_e32 v2, s28
	v_cndmask_b32_e64 v2, v2, v1, s[6:7]
	v_mov_b32_e32 v3, s9
	flat_load_dwordx2 v[4:5], v[2:3]
	s_and_b64 vcc, exec, s[10:11]
	v_pk_mov_b32 v[2:3], s[30:31], s[30:31] op_sel:[0,1]
	s_cbranch_vccnz .LBB253_6
; %bb.5:
	v_pk_mov_b32 v[2:3], s[28:29], s[28:29] op_sel:[0,1]
	flat_load_dwordx2 v[2:3], v[2:3] offset:8
.LBB253_6:
	s_load_dword s33, s[4:5], 0x0
	v_lshlrev_b32_e32 v10, 4, v0
	s_mov_b32 s4, 0
	v_or_b32_e32 v1, 0xfffffc00, v0
	v_add_u32_e32 v25, 0, v10
	v_lshl_add_u32 v24, v0, 2, 0
	s_mov_b32 s5, s4
	s_mov_b32 s6, s4
	;; [unrolled: 1-line block ×3, first 2 shown]
	v_add_u32_e32 v14, 0x10008, v25
	s_waitcnt lgkmcnt(0)
	v_mov_b32_e32 v15, s33
	v_pk_mov_b32 v[10:11], s[4:5], s[4:5] op_sel:[0,1]
	v_pk_mov_b32 v[12:13], s[6:7], s[6:7] op_sel:[0,1]
	s_movk_i32 s4, 0x3bff
	v_mov_b32_e32 v16, v24
	v_mov_b32_e32 v17, v1
.LBB253_7:                              ; =>This Inner Loop Header: Depth=1
	v_add_u32_e32 v17, 0x400, v17
	v_cmp_lt_u32_e32 vcc, s4, v17
	ds_write_b32 v16, v15
	v_add_u32_e32 v18, -8, v14
	v_add_u32_e32 v14, 0x4000, v14
	v_add_u32_e32 v16, 0x1000, v16
	s_or_b64 s[38:39], vcc, s[38:39]
	ds_write2_b64 v18, v[10:11], v[12:13] offset1:1
	s_andn2_b64 exec, exec, s[38:39]
	s_cbranch_execnz .LBB253_7
; %bb.8:
	s_or_b64 exec, exec, s[38:39]
	s_waitcnt lgkmcnt(0)
	s_barrier
	s_load_dword s4, s[24:25], 0x0
	s_mov_b32 s5, 0
	s_waitcnt lgkmcnt(0)
	s_add_i32 s4, s4, s8
	s_lshl_b64 s[4:5], s[4:5], 2
	s_add_u32 s4, s26, s4
	s_addc_u32 s5, s27, s5
	s_load_dword s4, s[4:5], 0x0
	s_and_b64 vcc, exec, s[36:37]
	s_waitcnt lgkmcnt(0)
	v_writelane_b32 v36, s4, 12
	v_writelane_b32 v36, s5, 13
	s_cbranch_vccz .LBB253_28
; %bb.9:
	v_readlane_b32 s4, v36, 12
	v_readlane_b32 s5, v36, 13
	s_mov_b32 s6, s4
	s_ashr_i32 s7, s4, 31
	v_writelane_b32 v36, s4, 12
	v_writelane_b32 v36, s5, 13
	s_lshl_b64 s[4:5], s[6:7], 3
	s_add_u32 s4, s12, s4
	s_addc_u32 s5, s13, s5
	s_load_dwordx4 s[8:11], s[4:5], 0x0
	v_lshrrev_b32_e32 v10, 6, v0
	v_subrev_co_u32_e32 v10, vcc, s72, v10
	v_subb_co_u32_e64 v11, s[6:7], 0, 0, vcc
	s_waitcnt lgkmcnt(0)
	s_sub_u32 s4, s10, s72
	v_mov_b32_e32 v12, s9
	v_add_co_u32_e32 v10, vcc, s8, v10
	s_subb_u32 s5, s11, 0
	v_addc_co_u32_e32 v11, vcc, v12, v11, vcc
	v_cmp_gt_i64_e32 vcc, s[4:5], v[10:11]
	s_and_saveexec_b64 s[6:7], vcc
	s_cbranch_execz .LBB253_27
; %bb.10:
	v_and_b32_e32 v12, 63, v0
	v_subrev_co_u32_e32 v26, vcc, s73, v12
	s_mov_b32 s10, 0
	v_subb_co_u32_e64 v27, s[8:9], 0, 0, vcc
	s_mov_b32 s40, s73
	s_mov_b64 s[8:9], 0
	v_mov_b32_e32 v28, s15
	v_mov_b32_e32 v29, s19
	;; [unrolled: 1-line block ×3, first 2 shown]
	s_movk_i32 s15, 0x89
	s_branch .LBB253_12
.LBB253_11:                             ;   in Loop: Header=BB253_12 Depth=1
	s_or_b64 exec, exec, s[10:11]
	v_add_co_u32_e32 v10, vcc, 16, v10
	v_addc_co_u32_e32 v11, vcc, 0, v11, vcc
	v_cmp_le_i64_e32 vcc, s[4:5], v[10:11]
	s_or_b64 s[8:9], vcc, s[8:9]
	s_andn2_b64 exec, exec, s[8:9]
	s_cbranch_execz .LBB253_27
.LBB253_12:                             ; =>This Loop Header: Depth=1
                                        ;     Child Loop BB253_15 Depth 2
                                        ;       Child Loop BB253_17 Depth 3
	v_lshlrev_b64 v[12:13], 2, v[10:11]
	v_add_co_u32_e32 v12, vcc, s14, v12
	v_addc_co_u32_e32 v13, vcc, v28, v13, vcc
	global_load_dword v12, v[12:13], off
	s_waitcnt vmcnt(0)
	v_subrev_u32_e32 v12, s72, v12
	v_ashrrev_i32_e32 v13, 31, v12
	v_lshlrev_b64 v[12:13], 3, v[12:13]
	v_add_co_u32_e32 v12, vcc, s18, v12
	v_addc_co_u32_e32 v13, vcc, v29, v13, vcc
	global_load_dwordx4 v[14:17], v[12:13], off
	s_waitcnt vmcnt(0)
	v_subrev_co_u32_e32 v12, vcc, s40, v16
	v_subb_co_u32_e32 v13, vcc, v17, v30, vcc
	v_add_co_u32_e32 v14, vcc, v14, v26
	v_addc_co_u32_e32 v15, vcc, v15, v27, vcc
	v_cmp_lt_i64_e32 vcc, v[14:15], v[12:13]
	s_and_saveexec_b64 s[10:11], vcc
	s_cbranch_execz .LBB253_11
; %bb.13:                               ;   in Loop: Header=BB253_12 Depth=1
	v_lshlrev_b64 v[16:17], 4, v[10:11]
	v_mov_b32_e32 v18, s17
	v_add_co_u32_e32 v16, vcc, s16, v16
	v_addc_co_u32_e32 v17, vcc, v18, v17, vcc
	global_load_dwordx4 v[20:23], v[16:17], off
	s_mov_b64 s[12:13], 0
	s_waitcnt vmcnt(0)
	v_mul_f64 v[16:17], v[22:23], -v[8:9]
	v_mul_f64 v[18:19], v[6:7], v[22:23]
	v_fmac_f64_e32 v[16:17], v[6:7], v[20:21]
	v_fmac_f64_e32 v[18:19], v[8:9], v[20:21]
	s_branch .LBB253_15
.LBB253_14:                             ;   in Loop: Header=BB253_15 Depth=2
	s_or_b64 exec, exec, s[24:25]
	v_add_co_u32_e32 v14, vcc, 64, v14
	v_addc_co_u32_e32 v15, vcc, 0, v15, vcc
	v_cmp_ge_i64_e32 vcc, v[14:15], v[12:13]
	s_or_b64 s[12:13], vcc, s[12:13]
	s_andn2_b64 exec, exec, s[12:13]
	s_cbranch_execz .LBB253_11
.LBB253_15:                             ;   Parent Loop BB253_12 Depth=1
                                        ; =>  This Loop Header: Depth=2
                                        ;       Child Loop BB253_17 Depth 3
	v_lshlrev_b64 v[20:21], 2, v[14:15]
	v_mov_b32_e32 v22, s21
	v_add_co_u32_e32 v20, vcc, s20, v20
	v_addc_co_u32_e32 v21, vcc, v22, v21, vcc
	global_load_dword v22, v[20:21], off
	v_lshlrev_b64 v[20:21], 4, v[14:15]
	v_mov_b32_e32 v23, s23
	v_add_co_u32_e32 v20, vcc, s22, v20
	v_addc_co_u32_e32 v21, vcc, v23, v21, vcc
	global_load_dwordx4 v[32:35], v[20:21], off
	s_mov_b64 s[24:25], 0
	s_waitcnt vmcnt(1)
	v_subrev_u32_e32 v31, s73, v22
	s_waitcnt vmcnt(0)
	v_mul_f64 v[20:21], v[34:35], -v[18:19]
	v_mul_f64 v[22:23], v[16:17], v[34:35]
	v_fmac_f64_e32 v[20:21], v[16:17], v[32:33]
	v_fmac_f64_e32 v[22:23], v[18:19], v[32:33]
	v_mul_lo_u32 v32, v31, s15
	v_and_b32_e32 v32, 0x3fff, v32
	s_branch .LBB253_17
.LBB253_16:                             ;   in Loop: Header=BB253_17 Depth=3
	s_or_b64 exec, exec, s[26:27]
	s_xor_b64 s[26:27], s[28:29], -1
	s_and_b64 s[26:27], exec, s[26:27]
	s_or_b64 s[24:25], s[26:27], s[24:25]
	s_andn2_b64 exec, exec, s[24:25]
	s_cbranch_execz .LBB253_14
.LBB253_17:                             ;   Parent Loop BB253_12 Depth=1
                                        ;     Parent Loop BB253_15 Depth=2
                                        ; =>    This Inner Loop Header: Depth=3
	v_lshl_add_u32 v33, v32, 2, 0
	ds_read_b32 v34, v33
                                        ; implicit-def: $sgpr28_sgpr29
	s_waitcnt lgkmcnt(0)
	v_cmp_ne_u32_e32 vcc, v34, v31
	s_and_saveexec_b64 s[26:27], vcc
	s_xor_b64 s[26:27], exec, s[26:27]
	s_cbranch_execz .LBB253_25
; %bb.18:                               ;   in Loop: Header=BB253_17 Depth=3
	v_cmp_ne_u32_e32 vcc, s33, v34
                                        ; implicit-def: $sgpr28_sgpr29
	s_and_saveexec_b64 s[30:31], vcc
	s_xor_b64 s[30:31], exec, s[30:31]
; %bb.19:                               ;   in Loop: Header=BB253_17 Depth=3
	v_add_u32_e32 v32, 1, v32
	v_and_b32_e32 v32, 0x3fff, v32
	s_mov_b64 s[28:29], -1
                                        ; implicit-def: $vgpr33
; %bb.20:                               ;   in Loop: Header=BB253_17 Depth=3
	s_andn2_saveexec_b64 s[30:31], s[30:31]
	s_cbranch_execz .LBB253_24
; %bb.21:                               ;   in Loop: Header=BB253_17 Depth=3
	v_mov_b32_e32 v34, s33
	ds_cmpst_rtn_b32 v33, v33, v34, v31
	s_mov_b64 s[38:39], -1
	s_waitcnt lgkmcnt(0)
	v_cmp_eq_u32_e32 vcc, s33, v33
	s_and_saveexec_b64 s[36:37], vcc
	s_cbranch_execz .LBB253_23
; %bb.22:                               ;   in Loop: Header=BB253_17 Depth=3
	v_lshl_add_u32 v33, v32, 4, 0
	v_add_u32_e32 v33, 0x10000, v33
	ds_add_f64 v33, v[20:21]
	ds_add_f64 v33, v[22:23] offset:8
	s_xor_b64 s[38:39], exec, -1
.LBB253_23:                             ;   in Loop: Header=BB253_17 Depth=3
	s_or_b64 exec, exec, s[36:37]
	s_andn2_b64 s[28:29], s[28:29], exec
	s_and_b64 s[36:37], s[38:39], exec
	s_or_b64 s[28:29], s[28:29], s[36:37]
.LBB253_24:                             ;   in Loop: Header=BB253_17 Depth=3
	s_or_b64 exec, exec, s[30:31]
	s_and_b64 s[28:29], s[28:29], exec
.LBB253_25:                             ;   in Loop: Header=BB253_17 Depth=3
	s_andn2_saveexec_b64 s[26:27], s[26:27]
	s_cbranch_execz .LBB253_16
; %bb.26:                               ;   in Loop: Header=BB253_17 Depth=3
	v_lshl_add_u32 v33, v32, 4, 0
	v_add_u32_e32 v33, 0x10000, v33
	ds_add_f64 v33, v[20:21]
	ds_add_f64 v33, v[22:23] offset:8
	s_andn2_b64 s[28:29], s[28:29], exec
	s_branch .LBB253_16
.LBB253_27:
	s_or_b64 exec, exec, s[6:7]
.LBB253_28:
	s_andn2_b64 vcc, exec, s[34:35]
	s_cbranch_vccnz .LBB253_45
; %bb.29:
	v_readlane_b32 s4, v36, 12
	v_readlane_b32 s5, v36, 13
	s_mov_b32 s6, s4
	s_ashr_i32 s7, s4, 31
	v_writelane_b32 v36, s4, 12
	v_writelane_b32 v36, s5, 13
	s_lshl_b64 s[4:5], s[6:7], 3
	v_readlane_b32 s8, v36, 4
	v_readlane_b32 s9, v36, 5
	s_add_u32 s4, s8, s4
	v_readlane_b32 s10, v36, 6
	v_readlane_b32 s11, v36, 7
	s_addc_u32 s5, s9, s5
	s_load_dwordx4 s[8:11], s[4:5], 0x0
	s_waitcnt vmcnt(0)
	v_subrev_co_u32_e32 v6, vcc, s75, v0
	v_subb_co_u32_e64 v7, s[4:5], 0, 0, vcc
	s_waitcnt lgkmcnt(0)
	s_sub_u32 s4, s10, s75
	v_mov_b32_e32 v8, s9
	v_add_co_u32_e32 v6, vcc, s8, v6
	s_subb_u32 s5, s11, 0
	v_addc_co_u32_e32 v7, vcc, v8, v7, vcc
	v_cmp_gt_i64_e32 vcc, s[4:5], v[6:7]
	v_readlane_b32 s12, v36, 8
	v_readlane_b32 s13, v36, 9
	;; [unrolled: 1-line block ×4, first 2 shown]
	s_and_saveexec_b64 s[6:7], vcc
	s_cbranch_execz .LBB253_44
; %bb.30:
	v_readlane_b32 s12, v36, 4
	v_readlane_b32 s13, v36, 5
	;; [unrolled: 1-line block ×8, first 2 shown]
	s_mov_b64 s[10:11], s[14:15]
	s_mov_b64 s[12:13], s[16:17]
	;; [unrolled: 1-line block ×3, first 2 shown]
	v_mov_b32_e32 v12, s11
	v_mov_b32_e32 v13, s13
	s_movk_i32 s22, 0x89
	s_mov_b64 s[14:15], s[18:19]
	s_branch .LBB253_32
.LBB253_31:                             ;   in Loop: Header=BB253_32 Depth=1
	s_or_b64 exec, exec, s[10:11]
	v_add_co_u32_e32 v6, vcc, 0x400, v6
	v_addc_co_u32_e32 v7, vcc, 0, v7, vcc
	v_cmp_le_i64_e32 vcc, s[4:5], v[6:7]
	s_or_b64 s[8:9], vcc, s[8:9]
	s_andn2_b64 exec, exec, s[8:9]
	s_cbranch_execz .LBB253_44
.LBB253_32:                             ; =>This Loop Header: Depth=1
                                        ;     Child Loop BB253_34 Depth 2
	v_readlane_b32 s12, v36, 4
	v_readlane_b32 s14, v36, 6
	v_lshlrev_b64 v[8:9], 2, v[6:7]
	s_mov_b32 s10, s14
	v_add_co_u32_e32 v8, vcc, s10, v8
	v_readlane_b32 s16, v36, 8
	v_addc_co_u32_e32 v9, vcc, v12, v9, vcc
	s_mov_b32 s12, s16
	global_load_dword v10, v[8:9], off
	v_lshlrev_b64 v[8:9], 4, v[6:7]
	v_add_co_u32_e32 v8, vcc, s12, v8
	v_addc_co_u32_e32 v9, vcc, v13, v9, vcc
	global_load_dwordx4 v[16:19], v[8:9], off
	s_mov_b64 s[10:11], 0
	v_readlane_b32 s13, v36, 5
	v_readlane_b32 s15, v36, 7
	;; [unrolled: 1-line block ×5, first 2 shown]
	s_waitcnt vmcnt(1)
	v_subrev_u32_e32 v14, s75, v10
	v_mul_lo_u32 v15, v14, s22
	v_and_b32_e32 v15, 0x3fff, v15
	s_waitcnt vmcnt(0)
	v_mul_f64 v[8:9], v[18:19], -v[2:3]
	v_mul_f64 v[10:11], v[4:5], v[18:19]
	v_fmac_f64_e32 v[8:9], v[4:5], v[16:17]
	v_fmac_f64_e32 v[10:11], v[2:3], v[16:17]
	s_branch .LBB253_34
.LBB253_33:                             ;   in Loop: Header=BB253_34 Depth=2
	s_or_b64 exec, exec, s[12:13]
	s_xor_b64 s[12:13], s[14:15], -1
	s_and_b64 s[12:13], exec, s[12:13]
	s_or_b64 s[10:11], s[12:13], s[10:11]
	s_andn2_b64 exec, exec, s[10:11]
	s_cbranch_execz .LBB253_31
.LBB253_34:                             ;   Parent Loop BB253_32 Depth=1
                                        ; =>  This Inner Loop Header: Depth=2
	v_lshl_add_u32 v16, v15, 2, 0
	ds_read_b32 v17, v16
                                        ; implicit-def: $sgpr14_sgpr15
	s_waitcnt lgkmcnt(0)
	v_cmp_ne_u32_e32 vcc, v17, v14
	s_and_saveexec_b64 s[12:13], vcc
	s_xor_b64 s[12:13], exec, s[12:13]
	s_cbranch_execz .LBB253_42
; %bb.35:                               ;   in Loop: Header=BB253_34 Depth=2
	v_cmp_ne_u32_e32 vcc, s33, v17
                                        ; implicit-def: $sgpr14_sgpr15
	s_and_saveexec_b64 s[16:17], vcc
	s_xor_b64 s[16:17], exec, s[16:17]
; %bb.36:                               ;   in Loop: Header=BB253_34 Depth=2
	v_add_u32_e32 v15, 1, v15
	v_and_b32_e32 v15, 0x3fff, v15
	s_mov_b64 s[14:15], -1
                                        ; implicit-def: $vgpr16
; %bb.37:                               ;   in Loop: Header=BB253_34 Depth=2
	s_andn2_saveexec_b64 s[16:17], s[16:17]
	s_cbranch_execz .LBB253_41
; %bb.38:                               ;   in Loop: Header=BB253_34 Depth=2
	v_mov_b32_e32 v17, s33
	ds_cmpst_rtn_b32 v16, v16, v17, v14
	s_mov_b64 s[20:21], -1
	s_waitcnt lgkmcnt(0)
	v_cmp_eq_u32_e32 vcc, s33, v16
	s_and_saveexec_b64 s[18:19], vcc
	s_cbranch_execz .LBB253_40
; %bb.39:                               ;   in Loop: Header=BB253_34 Depth=2
	v_lshl_add_u32 v16, v15, 4, 0
	v_add_u32_e32 v16, 0x10000, v16
	ds_add_f64 v16, v[8:9]
	ds_add_f64 v16, v[10:11] offset:8
	s_xor_b64 s[20:21], exec, -1
.LBB253_40:                             ;   in Loop: Header=BB253_34 Depth=2
	s_or_b64 exec, exec, s[18:19]
	s_andn2_b64 s[14:15], s[14:15], exec
	s_and_b64 s[18:19], s[20:21], exec
	s_or_b64 s[14:15], s[14:15], s[18:19]
.LBB253_41:                             ;   in Loop: Header=BB253_34 Depth=2
	s_or_b64 exec, exec, s[16:17]
	s_and_b64 s[14:15], s[14:15], exec
.LBB253_42:                             ;   in Loop: Header=BB253_34 Depth=2
	s_andn2_saveexec_b64 s[12:13], s[12:13]
	s_cbranch_execz .LBB253_33
; %bb.43:                               ;   in Loop: Header=BB253_34 Depth=2
	v_lshl_add_u32 v16, v15, 4, 0
	v_add_u32_e32 v16, 0x10000, v16
	ds_add_f64 v16, v[8:9]
	ds_add_f64 v16, v[10:11] offset:8
	s_andn2_b64 s[14:15], s[14:15], exec
	s_branch .LBB253_33
.LBB253_44:
	s_or_b64 exec, exec, s[6:7]
.LBB253_45:
	s_add_i32 s4, 0, 0x50000
	v_writelane_b32 v36, s4, 14
	s_add_i32 s64, 0, 0x50004
	v_writelane_b32 v36, s64, 15
	;; [unrolled: 2-line block ×5, first 2 shown]
	s_add_i32 s64, 0, 0x50014
	s_waitcnt vmcnt(0)
	v_lshrrev_b32_e32 v5, 3, v0
	v_writelane_b32 v36, s64, 19
	s_add_i32 s64, 0, 0x50018
	v_mbcnt_lo_u32_b32 v2, -1, 0
	v_and_b32_e32 v5, 0x7c, v5
	v_writelane_b32 v36, s64, 20
	s_add_i32 s64, 0, 0x5001c
	v_mbcnt_hi_u32_b32 v2, -1, v2
	v_add_u32_e32 v5, s4, v5
	s_movk_i32 s4, 0x3ff
	v_writelane_b32 v36, s64, 21
	s_add_i32 s64, 0, 0x50020
	v_sub_u32_e32 v2, 63, v2
	v_cmp_eq_u32_e32 vcc, s4, v0
	s_movk_i32 s4, 0x5f
	s_movk_i32 s6, 0x7f
	;; [unrolled: 1-line block ×29, first 2 shown]
	v_writelane_b32 v36, s64, 22
	s_add_i32 s64, 0, 0x50024
	v_mov_b32_e32 v4, 0
	v_lshrrev_b64 v[2:3], v2, -1
	v_cmp_lt_u32_e64 s[4:5], s4, v0
	v_cmp_lt_u32_e64 s[6:7], s6, v0
	;; [unrolled: 1-line block ×29, first 2 shown]
	v_add_u32_e32 v6, 0x10000, v25
	v_writelane_b32 v36, s64, 23
	s_add_i32 s92, 0, 0x50028
	s_add_i32 s93, 0, 0x5002c
	;; [unrolled: 1-line block ×22, first 2 shown]
	s_movk_i32 s89, 0x3bff
	v_cmp_lt_u32_e64 s[64:65], 31, v0
	v_cmp_lt_u32_e64 s[66:67], 63, v0
	s_mov_b64 s[72:73], 0
	s_waitcnt lgkmcnt(0)
	s_barrier
	s_branch .LBB253_47
.LBB253_46:                             ;   in Loop: Header=BB253_47 Depth=1
	s_or_b64 exec, exec, s[68:69]
	v_mov_b32_e32 v7, s88
	s_waitcnt lgkmcnt(0)
	s_barrier
	ds_read_b32 v7, v7
	v_add_u32_e32 v1, 0x400, v1
	v_cmp_lt_u32_e64 s[68:69], s89, v1
	v_add_u32_e32 v6, 0x4000, v6
	s_or_b64 s[72:73], s[68:69], s[72:73]
	s_waitcnt lgkmcnt(0)
	v_add_u32_e32 v4, v7, v4
	v_add_u32_e32 v24, 0x1000, v24
	s_andn2_b64 exec, exec, s[72:73]
	s_cbranch_execz .LBB253_113
.LBB253_47:                             ; =>This Inner Loop Header: Depth=1
	ds_read2_b64 v[10:13], v6 offset1:1
	ds_read_b32 v8, v24
	s_waitcnt lgkmcnt(1)
	buffer_store_dword v13, off, s[0:3], 0 offset:12
	buffer_store_dword v12, off, s[0:3], 0 offset:8
	;; [unrolled: 1-line block ×3, first 2 shown]
	buffer_store_dword v10, off, s[0:3], 0
	s_waitcnt lgkmcnt(0)
	v_cmp_gt_i32_e64 s[68:69], s33, v8
	v_and_b32_e32 v9, s68, v2
	s_bcnt1_i32_b64 s82, s[68:69]
	v_and_b32_e32 v7, s69, v3
	v_bcnt_u32_b32 v9, v9, 0
	v_bcnt_u32_b32 v7, v7, v9
	v_mov_b32_e32 v9, s82
	s_barrier
	ds_write_b32 v5, v9
	s_waitcnt lgkmcnt(0)
	s_barrier
	s_and_saveexec_b64 s[82:83], s[64:65]
	s_cbranch_execnz .LBB253_80
; %bb.48:                               ;   in Loop: Header=BB253_47 Depth=1
	s_or_b64 exec, exec, s[82:83]
	s_and_saveexec_b64 s[82:83], s[66:67]
	s_cbranch_execnz .LBB253_81
.LBB253_49:                             ;   in Loop: Header=BB253_47 Depth=1
	s_or_b64 exec, exec, s[82:83]
	s_and_saveexec_b64 s[82:83], s[4:5]
	s_cbranch_execnz .LBB253_82
.LBB253_50:                             ;   in Loop: Header=BB253_47 Depth=1
	s_or_b64 exec, exec, s[82:83]
	s_and_saveexec_b64 s[82:83], s[6:7]
	s_cbranch_execnz .LBB253_83
.LBB253_51:                             ;   in Loop: Header=BB253_47 Depth=1
	s_or_b64 exec, exec, s[82:83]
	s_and_saveexec_b64 s[82:83], s[8:9]
	s_cbranch_execnz .LBB253_84
.LBB253_52:                             ;   in Loop: Header=BB253_47 Depth=1
	s_or_b64 exec, exec, s[82:83]
	s_and_saveexec_b64 s[82:83], s[10:11]
	s_cbranch_execnz .LBB253_85
.LBB253_53:                             ;   in Loop: Header=BB253_47 Depth=1
	s_or_b64 exec, exec, s[82:83]
	s_and_saveexec_b64 s[82:83], s[12:13]
	s_cbranch_execnz .LBB253_86
.LBB253_54:                             ;   in Loop: Header=BB253_47 Depth=1
	s_or_b64 exec, exec, s[82:83]
	s_and_saveexec_b64 s[82:83], s[14:15]
	s_cbranch_execnz .LBB253_87
.LBB253_55:                             ;   in Loop: Header=BB253_47 Depth=1
	s_or_b64 exec, exec, s[82:83]
	s_and_saveexec_b64 s[82:83], s[16:17]
	s_cbranch_execnz .LBB253_88
.LBB253_56:                             ;   in Loop: Header=BB253_47 Depth=1
	s_or_b64 exec, exec, s[82:83]
	s_and_saveexec_b64 s[82:83], s[18:19]
	s_cbranch_execnz .LBB253_89
.LBB253_57:                             ;   in Loop: Header=BB253_47 Depth=1
	s_or_b64 exec, exec, s[82:83]
	s_and_saveexec_b64 s[82:83], s[20:21]
	s_cbranch_execnz .LBB253_90
.LBB253_58:                             ;   in Loop: Header=BB253_47 Depth=1
	s_or_b64 exec, exec, s[82:83]
	s_and_saveexec_b64 s[82:83], s[22:23]
	s_cbranch_execnz .LBB253_91
.LBB253_59:                             ;   in Loop: Header=BB253_47 Depth=1
	s_or_b64 exec, exec, s[82:83]
	s_and_saveexec_b64 s[82:83], s[24:25]
	s_cbranch_execnz .LBB253_92
.LBB253_60:                             ;   in Loop: Header=BB253_47 Depth=1
	s_or_b64 exec, exec, s[82:83]
	s_and_saveexec_b64 s[82:83], s[26:27]
	s_cbranch_execnz .LBB253_93
.LBB253_61:                             ;   in Loop: Header=BB253_47 Depth=1
	s_or_b64 exec, exec, s[82:83]
	s_and_saveexec_b64 s[82:83], s[28:29]
	s_cbranch_execnz .LBB253_94
.LBB253_62:                             ;   in Loop: Header=BB253_47 Depth=1
	s_or_b64 exec, exec, s[82:83]
	s_and_saveexec_b64 s[82:83], s[30:31]
	s_cbranch_execnz .LBB253_95
.LBB253_63:                             ;   in Loop: Header=BB253_47 Depth=1
	s_or_b64 exec, exec, s[82:83]
	s_and_saveexec_b64 s[82:83], s[34:35]
	s_cbranch_execnz .LBB253_96
.LBB253_64:                             ;   in Loop: Header=BB253_47 Depth=1
	s_or_b64 exec, exec, s[82:83]
	s_and_saveexec_b64 s[82:83], s[36:37]
	s_cbranch_execnz .LBB253_97
.LBB253_65:                             ;   in Loop: Header=BB253_47 Depth=1
	s_or_b64 exec, exec, s[82:83]
	s_and_saveexec_b64 s[82:83], s[38:39]
	s_cbranch_execnz .LBB253_98
.LBB253_66:                             ;   in Loop: Header=BB253_47 Depth=1
	s_or_b64 exec, exec, s[82:83]
	s_and_saveexec_b64 s[82:83], s[40:41]
	s_cbranch_execnz .LBB253_99
.LBB253_67:                             ;   in Loop: Header=BB253_47 Depth=1
	s_or_b64 exec, exec, s[82:83]
	s_and_saveexec_b64 s[82:83], s[42:43]
	s_cbranch_execnz .LBB253_100
.LBB253_68:                             ;   in Loop: Header=BB253_47 Depth=1
	s_or_b64 exec, exec, s[82:83]
	s_and_saveexec_b64 s[82:83], s[44:45]
	s_cbranch_execnz .LBB253_101
.LBB253_69:                             ;   in Loop: Header=BB253_47 Depth=1
	s_or_b64 exec, exec, s[82:83]
	s_and_saveexec_b64 s[82:83], s[46:47]
	s_cbranch_execnz .LBB253_102
.LBB253_70:                             ;   in Loop: Header=BB253_47 Depth=1
	s_or_b64 exec, exec, s[82:83]
	s_and_saveexec_b64 s[82:83], s[48:49]
	s_cbranch_execnz .LBB253_103
.LBB253_71:                             ;   in Loop: Header=BB253_47 Depth=1
	s_or_b64 exec, exec, s[82:83]
	s_and_saveexec_b64 s[82:83], s[50:51]
	s_cbranch_execnz .LBB253_104
.LBB253_72:                             ;   in Loop: Header=BB253_47 Depth=1
	s_or_b64 exec, exec, s[82:83]
	s_and_saveexec_b64 s[82:83], s[52:53]
	s_cbranch_execnz .LBB253_105
.LBB253_73:                             ;   in Loop: Header=BB253_47 Depth=1
	s_or_b64 exec, exec, s[82:83]
	s_and_saveexec_b64 s[82:83], s[54:55]
	s_cbranch_execnz .LBB253_106
.LBB253_74:                             ;   in Loop: Header=BB253_47 Depth=1
	s_or_b64 exec, exec, s[82:83]
	s_and_saveexec_b64 s[82:83], s[56:57]
	s_cbranch_execnz .LBB253_107
.LBB253_75:                             ;   in Loop: Header=BB253_47 Depth=1
	s_or_b64 exec, exec, s[82:83]
	s_and_saveexec_b64 s[82:83], s[58:59]
	s_cbranch_execnz .LBB253_108
.LBB253_76:                             ;   in Loop: Header=BB253_47 Depth=1
	s_or_b64 exec, exec, s[82:83]
	s_and_saveexec_b64 s[82:83], s[60:61]
	s_cbranch_execnz .LBB253_109
.LBB253_77:                             ;   in Loop: Header=BB253_47 Depth=1
	s_or_b64 exec, exec, s[82:83]
	s_and_saveexec_b64 s[82:83], s[62:63]
	s_cbranch_execnz .LBB253_110
.LBB253_78:                             ;   in Loop: Header=BB253_47 Depth=1
	s_or_b64 exec, exec, s[82:83]
	s_and_saveexec_b64 s[82:83], s[68:69]
	s_cbranch_execnz .LBB253_111
.LBB253_79:                             ;   in Loop: Header=BB253_47 Depth=1
	s_or_b64 exec, exec, s[82:83]
	s_and_saveexec_b64 s[68:69], vcc
	s_cbranch_execz .LBB253_46
	s_branch .LBB253_112
.LBB253_80:                             ;   in Loop: Header=BB253_47 Depth=1
	v_readlane_b32 s90, v36, 14
	v_mov_b32_e32 v9, s90
	ds_read_b32 v9, v9
	s_waitcnt lgkmcnt(0)
	v_add_u32_e32 v7, v9, v7
	s_or_b64 exec, exec, s[82:83]
	s_and_saveexec_b64 s[82:83], s[66:67]
	s_cbranch_execz .LBB253_49
.LBB253_81:                             ;   in Loop: Header=BB253_47 Depth=1
	v_readlane_b32 s90, v36, 15
	v_mov_b32_e32 v9, s90
	ds_read_b32 v9, v9
	s_waitcnt lgkmcnt(0)
	v_add_u32_e32 v7, v9, v7
	s_or_b64 exec, exec, s[82:83]
	s_and_saveexec_b64 s[82:83], s[4:5]
	s_cbranch_execz .LBB253_50
.LBB253_82:                             ;   in Loop: Header=BB253_47 Depth=1
	v_readlane_b32 s90, v36, 16
	v_mov_b32_e32 v9, s90
	ds_read_b32 v9, v9
	s_waitcnt lgkmcnt(0)
	v_add_u32_e32 v7, v9, v7
	s_or_b64 exec, exec, s[82:83]
	s_and_saveexec_b64 s[82:83], s[6:7]
	s_cbranch_execz .LBB253_51
.LBB253_83:                             ;   in Loop: Header=BB253_47 Depth=1
	v_readlane_b32 s90, v36, 17
	v_mov_b32_e32 v9, s90
	ds_read_b32 v9, v9
	s_waitcnt lgkmcnt(0)
	v_add_u32_e32 v7, v9, v7
	s_or_b64 exec, exec, s[82:83]
	s_and_saveexec_b64 s[82:83], s[8:9]
	s_cbranch_execz .LBB253_52
.LBB253_84:                             ;   in Loop: Header=BB253_47 Depth=1
	v_readlane_b32 s90, v36, 18
	v_mov_b32_e32 v9, s90
	ds_read_b32 v9, v9
	s_waitcnt lgkmcnt(0)
	v_add_u32_e32 v7, v9, v7
	s_or_b64 exec, exec, s[82:83]
	s_and_saveexec_b64 s[82:83], s[10:11]
	s_cbranch_execz .LBB253_53
.LBB253_85:                             ;   in Loop: Header=BB253_47 Depth=1
	v_readlane_b32 s90, v36, 19
	v_mov_b32_e32 v9, s90
	ds_read_b32 v9, v9
	s_waitcnt lgkmcnt(0)
	v_add_u32_e32 v7, v9, v7
	s_or_b64 exec, exec, s[82:83]
	s_and_saveexec_b64 s[82:83], s[12:13]
	s_cbranch_execz .LBB253_54
.LBB253_86:                             ;   in Loop: Header=BB253_47 Depth=1
	v_readlane_b32 s90, v36, 20
	v_mov_b32_e32 v9, s90
	ds_read_b32 v9, v9
	s_waitcnt lgkmcnt(0)
	v_add_u32_e32 v7, v9, v7
	s_or_b64 exec, exec, s[82:83]
	s_and_saveexec_b64 s[82:83], s[14:15]
	s_cbranch_execz .LBB253_55
.LBB253_87:                             ;   in Loop: Header=BB253_47 Depth=1
	v_readlane_b32 s90, v36, 21
	v_mov_b32_e32 v9, s90
	ds_read_b32 v9, v9
	s_waitcnt lgkmcnt(0)
	v_add_u32_e32 v7, v9, v7
	s_or_b64 exec, exec, s[82:83]
	s_and_saveexec_b64 s[82:83], s[16:17]
	s_cbranch_execz .LBB253_56
.LBB253_88:                             ;   in Loop: Header=BB253_47 Depth=1
	v_readlane_b32 s90, v36, 22
	v_mov_b32_e32 v9, s90
	ds_read_b32 v9, v9
	s_waitcnt lgkmcnt(0)
	v_add_u32_e32 v7, v9, v7
	s_or_b64 exec, exec, s[82:83]
	s_and_saveexec_b64 s[82:83], s[18:19]
	s_cbranch_execz .LBB253_57
.LBB253_89:                             ;   in Loop: Header=BB253_47 Depth=1
	v_readlane_b32 s90, v36, 23
	v_mov_b32_e32 v9, s90
	ds_read_b32 v9, v9
	s_waitcnt lgkmcnt(0)
	v_add_u32_e32 v7, v9, v7
	s_or_b64 exec, exec, s[82:83]
	s_and_saveexec_b64 s[82:83], s[20:21]
	s_cbranch_execz .LBB253_58
.LBB253_90:                             ;   in Loop: Header=BB253_47 Depth=1
	v_mov_b32_e32 v9, s92
	ds_read_b32 v9, v9
	s_waitcnt lgkmcnt(0)
	v_add_u32_e32 v7, v9, v7
	s_or_b64 exec, exec, s[82:83]
	s_and_saveexec_b64 s[82:83], s[22:23]
	s_cbranch_execz .LBB253_59
.LBB253_91:                             ;   in Loop: Header=BB253_47 Depth=1
	v_mov_b32_e32 v9, s93
	ds_read_b32 v9, v9
	s_waitcnt lgkmcnt(0)
	v_add_u32_e32 v7, v9, v7
	s_or_b64 exec, exec, s[82:83]
	s_and_saveexec_b64 s[82:83], s[24:25]
	s_cbranch_execz .LBB253_60
.LBB253_92:                             ;   in Loop: Header=BB253_47 Depth=1
	v_mov_b32_e32 v9, s94
	ds_read_b32 v9, v9
	s_waitcnt lgkmcnt(0)
	v_add_u32_e32 v7, v9, v7
	s_or_b64 exec, exec, s[82:83]
	s_and_saveexec_b64 s[82:83], s[26:27]
	s_cbranch_execz .LBB253_61
.LBB253_93:                             ;   in Loop: Header=BB253_47 Depth=1
	v_mov_b32_e32 v9, s95
	ds_read_b32 v9, v9
	s_waitcnt lgkmcnt(0)
	v_add_u32_e32 v7, v9, v7
	s_or_b64 exec, exec, s[82:83]
	s_and_saveexec_b64 s[82:83], s[28:29]
	s_cbranch_execz .LBB253_62
.LBB253_94:                             ;   in Loop: Header=BB253_47 Depth=1
	v_mov_b32_e32 v9, s96
	ds_read_b32 v9, v9
	s_waitcnt lgkmcnt(0)
	v_add_u32_e32 v7, v9, v7
	s_or_b64 exec, exec, s[82:83]
	s_and_saveexec_b64 s[82:83], s[30:31]
	s_cbranch_execz .LBB253_63
.LBB253_95:                             ;   in Loop: Header=BB253_47 Depth=1
	v_mov_b32_e32 v9, s97
	ds_read_b32 v9, v9
	s_waitcnt lgkmcnt(0)
	v_add_u32_e32 v7, v9, v7
	s_or_b64 exec, exec, s[82:83]
	s_and_saveexec_b64 s[82:83], s[34:35]
	s_cbranch_execz .LBB253_64
.LBB253_96:                             ;   in Loop: Header=BB253_47 Depth=1
	v_mov_b32_e32 v9, s98
	ds_read_b32 v9, v9
	s_waitcnt lgkmcnt(0)
	v_add_u32_e32 v7, v9, v7
	s_or_b64 exec, exec, s[82:83]
	s_and_saveexec_b64 s[82:83], s[36:37]
	s_cbranch_execz .LBB253_65
.LBB253_97:                             ;   in Loop: Header=BB253_47 Depth=1
	v_mov_b32_e32 v9, s99
	ds_read_b32 v9, v9
	s_waitcnt lgkmcnt(0)
	v_add_u32_e32 v7, v9, v7
	s_or_b64 exec, exec, s[82:83]
	s_and_saveexec_b64 s[82:83], s[38:39]
	s_cbranch_execz .LBB253_66
.LBB253_98:                             ;   in Loop: Header=BB253_47 Depth=1
	v_mov_b32_e32 v9, s80
	ds_read_b32 v9, v9
	s_waitcnt lgkmcnt(0)
	v_add_u32_e32 v7, v9, v7
	s_or_b64 exec, exec, s[82:83]
	s_and_saveexec_b64 s[82:83], s[40:41]
	s_cbranch_execz .LBB253_67
.LBB253_99:                             ;   in Loop: Header=BB253_47 Depth=1
	v_mov_b32_e32 v9, s70
	ds_read_b32 v9, v9
	s_waitcnt lgkmcnt(0)
	v_add_u32_e32 v7, v9, v7
	s_or_b64 exec, exec, s[82:83]
	s_and_saveexec_b64 s[82:83], s[42:43]
	s_cbranch_execz .LBB253_68
.LBB253_100:                            ;   in Loop: Header=BB253_47 Depth=1
	v_mov_b32_e32 v9, s71
	ds_read_b32 v9, v9
	s_waitcnt lgkmcnt(0)
	v_add_u32_e32 v7, v9, v7
	s_or_b64 exec, exec, s[82:83]
	s_and_saveexec_b64 s[82:83], s[44:45]
	s_cbranch_execz .LBB253_69
.LBB253_101:                            ;   in Loop: Header=BB253_47 Depth=1
	v_mov_b32_e32 v9, s76
	ds_read_b32 v9, v9
	s_waitcnt lgkmcnt(0)
	v_add_u32_e32 v7, v9, v7
	s_or_b64 exec, exec, s[82:83]
	s_and_saveexec_b64 s[82:83], s[46:47]
	s_cbranch_execz .LBB253_70
.LBB253_102:                            ;   in Loop: Header=BB253_47 Depth=1
	v_mov_b32_e32 v9, s77
	ds_read_b32 v9, v9
	s_waitcnt lgkmcnt(0)
	v_add_u32_e32 v7, v9, v7
	s_or_b64 exec, exec, s[82:83]
	s_and_saveexec_b64 s[82:83], s[48:49]
	s_cbranch_execz .LBB253_71
.LBB253_103:                            ;   in Loop: Header=BB253_47 Depth=1
	v_mov_b32_e32 v9, s78
	ds_read_b32 v9, v9
	s_waitcnt lgkmcnt(0)
	v_add_u32_e32 v7, v9, v7
	s_or_b64 exec, exec, s[82:83]
	s_and_saveexec_b64 s[82:83], s[50:51]
	s_cbranch_execz .LBB253_72
.LBB253_104:                            ;   in Loop: Header=BB253_47 Depth=1
	v_mov_b32_e32 v9, s79
	ds_read_b32 v9, v9
	s_waitcnt lgkmcnt(0)
	v_add_u32_e32 v7, v9, v7
	s_or_b64 exec, exec, s[82:83]
	s_and_saveexec_b64 s[82:83], s[52:53]
	s_cbranch_execz .LBB253_73
.LBB253_105:                            ;   in Loop: Header=BB253_47 Depth=1
	v_mov_b32_e32 v9, s75
	ds_read_b32 v9, v9
	s_waitcnt lgkmcnt(0)
	v_add_u32_e32 v7, v9, v7
	s_or_b64 exec, exec, s[82:83]
	s_and_saveexec_b64 s[82:83], s[54:55]
	s_cbranch_execz .LBB253_74
.LBB253_106:                            ;   in Loop: Header=BB253_47 Depth=1
	v_mov_b32_e32 v9, s81
	ds_read_b32 v9, v9
	s_waitcnt lgkmcnt(0)
	v_add_u32_e32 v7, v9, v7
	s_or_b64 exec, exec, s[82:83]
	s_and_saveexec_b64 s[82:83], s[56:57]
	s_cbranch_execz .LBB253_75
.LBB253_107:                            ;   in Loop: Header=BB253_47 Depth=1
	v_mov_b32_e32 v9, s84
	ds_read_b32 v9, v9
	s_waitcnt lgkmcnt(0)
	v_add_u32_e32 v7, v9, v7
	s_or_b64 exec, exec, s[82:83]
	s_and_saveexec_b64 s[82:83], s[58:59]
	s_cbranch_execz .LBB253_76
.LBB253_108:                            ;   in Loop: Header=BB253_47 Depth=1
	v_mov_b32_e32 v9, s85
	ds_read_b32 v9, v9
	s_waitcnt lgkmcnt(0)
	v_add_u32_e32 v7, v9, v7
	s_or_b64 exec, exec, s[82:83]
	s_and_saveexec_b64 s[82:83], s[60:61]
	s_cbranch_execz .LBB253_77
.LBB253_109:                            ;   in Loop: Header=BB253_47 Depth=1
	v_mov_b32_e32 v9, s86
	ds_read_b32 v9, v9
	s_waitcnt lgkmcnt(0)
	v_add_u32_e32 v7, v9, v7
	s_or_b64 exec, exec, s[82:83]
	s_and_saveexec_b64 s[82:83], s[62:63]
	s_cbranch_execz .LBB253_78
.LBB253_110:                            ;   in Loop: Header=BB253_47 Depth=1
	v_mov_b32_e32 v9, s87
	ds_read_b32 v9, v9
	s_waitcnt lgkmcnt(0)
	v_add_u32_e32 v7, v9, v7
	s_or_b64 exec, exec, s[82:83]
	s_and_saveexec_b64 s[82:83], s[68:69]
	s_cbranch_execz .LBB253_79
.LBB253_111:                            ;   in Loop: Header=BB253_47 Depth=1
	buffer_load_dword v10, off, s[0:3], 0
	buffer_load_dword v11, off, s[0:3], 0 offset:4
	buffer_load_dword v12, off, s[0:3], 0 offset:8
	;; [unrolled: 1-line block ×3, first 2 shown]
	v_add3_u32 v9, v4, -1, v7
	v_lshl_add_u32 v14, v9, 2, 0
	v_lshl_add_u32 v9, v9, 4, 0
	v_add_u32_e32 v9, 0x10000, v9
	ds_write_b32 v14, v8
	s_waitcnt vmcnt(0)
	ds_write2_b64 v9, v[10:11], v[12:13] offset1:1
	s_or_b64 exec, exec, s[82:83]
	s_and_saveexec_b64 s[68:69], vcc
	s_cbranch_execz .LBB253_46
.LBB253_112:                            ;   in Loop: Header=BB253_47 Depth=1
	v_mov_b32_e32 v8, s88
	ds_write_b32 v8, v7
	s_branch .LBB253_46
.LBB253_113:
	s_or_b64 exec, exec, s[72:73]
	v_readlane_b32 s4, v36, 12
	v_readlane_b32 s5, v36, 13
	;; [unrolled: 1-line block ×3, first 2 shown]
	s_ashr_i32 s5, s4, 31
	v_readlane_b32 s10, v36, 6
	v_readlane_b32 s11, v36, 7
	;; [unrolled: 1-line block ×4, first 2 shown]
	s_lshl_b64 s[4:5], s[4:5], 3
	s_mov_b64 s[10:11], s[14:15]
	s_add_u32 s4, s10, s4
	s_addc_u32 s5, s11, s5
	s_load_dwordx4 s[4:7], s[4:5], 0x0
	v_readlane_b32 s12, v36, 8
	v_readlane_b32 s9, v36, 5
	;; [unrolled: 1-line block ×3, first 2 shown]
	s_waitcnt lgkmcnt(0)
	s_sub_i32 s12, s6, s4
	v_cmp_gt_i32_e32 vcc, s12, v0
	s_and_saveexec_b64 s[8:9], vcc
	s_cbranch_execz .LBB253_123
; %bb.114:
	s_sub_u32 s8, s4, s74
	s_subb_u32 s9, s5, 0
	s_and_b32 s13, s12, 7
	s_sub_i32 s4, s4, s6
	s_cmp_lt_u32 s4, -7
	s_cselect_b64 s[4:5], -1, 0
	s_and_b32 s14, s12, -8
	s_cmp_lg_u32 s13, 0
	v_cndmask_b32_e64 v1, 0, 1, s[4:5]
	s_cselect_b64 s[6:7], -1, 0
	v_readlane_b32 s16, v36, 0
	v_cmp_ne_u32_e64 s[4:5], 1, v1
	v_cndmask_b32_e64 v1, 0, 1, s[6:7]
	v_readlane_b32 s17, v36, 1
	v_readlane_b32 s19, v36, 3
	s_mov_b64 s[10:11], 0
	v_cmp_ne_u32_e64 s[6:7], 1, v1
	v_mov_b32_e32 v1, s17
	v_mov_b32_e32 v4, s19
	v_readlane_b32 s18, v36, 2
	s_branch .LBB253_116
.LBB253_115:                            ;   in Loop: Header=BB253_116 Depth=1
	v_lshl_add_u32 v6, v0, 4, 0
	v_add_u32_e32 v8, 0x10000, v6
	v_lshlrev_b64 v[6:7], 2, v[2:3]
	v_readlane_b32 s16, v36, 0
	v_add_co_u32_e32 v6, vcc, s16, v6
	s_waitcnt lgkmcnt(0)
	v_add_u32_e32 v5, s74, v5
	v_addc_co_u32_e32 v7, vcc, v1, v7, vcc
	v_readlane_b32 s18, v36, 2
	global_store_dword v[6:7], v5, off
	v_lshlrev_b64 v[2:3], 4, v[2:3]
	ds_read2_b64 v[6:9], v8 offset1:1
	v_add_co_u32_e32 v2, vcc, s18, v2
	v_addc_co_u32_e32 v3, vcc, v4, v3, vcc
	v_add_u32_e32 v0, 0x400, v0
	v_cmp_le_i32_e32 vcc, s12, v0
	s_or_b64 s[10:11], vcc, s[10:11]
	v_readlane_b32 s17, v36, 1
	v_readlane_b32 s19, v36, 3
	s_waitcnt lgkmcnt(0)
	global_store_dwordx4 v[2:3], v[6:9], off
	s_andn2_b64 exec, exec, s[10:11]
	s_cbranch_execz .LBB253_123
.LBB253_116:                            ; =>This Loop Header: Depth=1
                                        ;     Child Loop BB253_118 Depth 2
                                        ;     Child Loop BB253_122 Depth 2
	v_lshl_add_u32 v2, v0, 2, 0
	ds_read_b32 v5, v2
	s_and_b64 vcc, exec, s[4:5]
	v_pk_mov_b32 v[2:3], s[8:9], s[8:9] op_sel:[0,1]
	s_mov_b32 s15, 0
	s_cbranch_vccnz .LBB253_120
; %bb.117:                              ;   in Loop: Header=BB253_116 Depth=1
	s_mov_b32 s16, 0
	v_pk_mov_b32 v[2:3], s[8:9], s[8:9] op_sel:[0,1]
.LBB253_118:                            ;   Parent Loop BB253_116 Depth=1
                                        ; =>  This Inner Loop Header: Depth=2
	v_mov_b32_e32 v12, s16
	ds_read2_b32 v[6:7], v12 offset1:1
	ds_read2_b32 v[8:9], v12 offset0:2 offset1:3
	ds_read2_b32 v[10:11], v12 offset0:4 offset1:5
	;; [unrolled: 1-line block ×3, first 2 shown]
	s_add_i32 s15, s15, 8
	s_waitcnt lgkmcnt(3)
	v_cmp_gt_i32_e32 vcc, v5, v6
	v_cndmask_b32_e64 v6, 0, 1, vcc
	v_cmp_gt_i32_e32 vcc, v5, v7
	v_cndmask_b32_e64 v7, 0, 1, vcc
	s_waitcnt lgkmcnt(2)
	v_cmp_gt_i32_e32 vcc, v5, v8
	v_cndmask_b32_e64 v8, 0, 1, vcc
	v_cmp_gt_i32_e32 vcc, v5, v9
	v_cndmask_b32_e64 v9, 0, 1, vcc
	;; [unrolled: 5-line block ×4, first 2 shown]
	v_add_co_u32_e32 v2, vcc, v2, v6
	v_addc_co_u32_e32 v3, vcc, 0, v3, vcc
	v_add_co_u32_e32 v2, vcc, v2, v7
	v_addc_co_u32_e32 v3, vcc, 0, v3, vcc
	;; [unrolled: 2-line block ×7, first 2 shown]
	s_add_i32 s16, s16, 32
	v_add_co_u32_e32 v2, vcc, v2, v13
	s_cmp_eq_u32 s14, s15
	v_addc_co_u32_e32 v3, vcc, 0, v3, vcc
	s_cbranch_scc0 .LBB253_118
; %bb.119:                              ;   in Loop: Header=BB253_116 Depth=1
	s_mov_b32 s15, s14
.LBB253_120:                            ;   in Loop: Header=BB253_116 Depth=1
	s_and_b64 vcc, exec, s[6:7]
	s_cbranch_vccnz .LBB253_115
; %bb.121:                              ;   in Loop: Header=BB253_116 Depth=1
	s_lshl_b32 s15, s15, 2
	s_add_i32 s15, s15, 0
	s_mov_b32 s16, s13
.LBB253_122:                            ;   Parent Loop BB253_116 Depth=1
                                        ; =>  This Inner Loop Header: Depth=2
	v_mov_b32_e32 v6, s15
	ds_read_b32 v6, v6
	s_add_i32 s15, s15, 4
	s_add_i32 s16, s16, -1
	s_cmp_lg_u32 s16, 0
	s_waitcnt lgkmcnt(0)
	v_cmp_gt_i32_e32 vcc, v5, v6
	v_cndmask_b32_e64 v6, 0, 1, vcc
	v_add_co_u32_e32 v2, vcc, v2, v6
	v_addc_co_u32_e32 v3, vcc, 0, v3, vcc
	s_cbranch_scc1 .LBB253_122
	s_branch .LBB253_115
.LBB253_123:
	s_endpgm
	.section	.rodata,"a",@progbits
	.p2align	6, 0x0
	.amdhsa_kernel _ZN9rocsparseL26csrgemm_fill_block_per_rowILj1024ELj64ELj16384ELj137ELj32Eli21rocsparse_complex_numIdEEEvT5_PKS3_S5_NS_24const_host_device_scalarIT6_EEPKT4_S5_PKS7_SB_S5_SD_S8_SB_S5_SD_SB_PS3_PS7_21rocsparse_index_base_SG_SG_SG_bbb
		.amdhsa_group_segment_fixed_size 0
		.amdhsa_private_segment_fixed_size 40
		.amdhsa_kernarg_size 172
		.amdhsa_user_sgpr_count 8
		.amdhsa_user_sgpr_private_segment_buffer 1
		.amdhsa_user_sgpr_dispatch_ptr 0
		.amdhsa_user_sgpr_queue_ptr 0
		.amdhsa_user_sgpr_kernarg_segment_ptr 1
		.amdhsa_user_sgpr_dispatch_id 0
		.amdhsa_user_sgpr_flat_scratch_init 1
		.amdhsa_user_sgpr_kernarg_preload_length 0
		.amdhsa_user_sgpr_kernarg_preload_offset 0
		.amdhsa_user_sgpr_private_segment_size 0
		.amdhsa_uses_dynamic_stack 0
		.amdhsa_system_sgpr_private_segment_wavefront_offset 1
		.amdhsa_system_sgpr_workgroup_id_x 1
		.amdhsa_system_sgpr_workgroup_id_y 0
		.amdhsa_system_sgpr_workgroup_id_z 0
		.amdhsa_system_sgpr_workgroup_info 0
		.amdhsa_system_vgpr_workitem_id 0
		.amdhsa_next_free_vgpr 37
		.amdhsa_next_free_sgpr 100
		.amdhsa_accum_offset 40
		.amdhsa_reserve_vcc 1
		.amdhsa_reserve_flat_scratch 1
		.amdhsa_float_round_mode_32 0
		.amdhsa_float_round_mode_16_64 0
		.amdhsa_float_denorm_mode_32 3
		.amdhsa_float_denorm_mode_16_64 3
		.amdhsa_dx10_clamp 1
		.amdhsa_ieee_mode 1
		.amdhsa_fp16_overflow 0
		.amdhsa_tg_split 0
		.amdhsa_exception_fp_ieee_invalid_op 0
		.amdhsa_exception_fp_denorm_src 0
		.amdhsa_exception_fp_ieee_div_zero 0
		.amdhsa_exception_fp_ieee_overflow 0
		.amdhsa_exception_fp_ieee_underflow 0
		.amdhsa_exception_fp_ieee_inexact 0
		.amdhsa_exception_int_div_zero 0
	.end_amdhsa_kernel
	.section	.text._ZN9rocsparseL26csrgemm_fill_block_per_rowILj1024ELj64ELj16384ELj137ELj32Eli21rocsparse_complex_numIdEEEvT5_PKS3_S5_NS_24const_host_device_scalarIT6_EEPKT4_S5_PKS7_SB_S5_SD_S8_SB_S5_SD_SB_PS3_PS7_21rocsparse_index_base_SG_SG_SG_bbb,"axG",@progbits,_ZN9rocsparseL26csrgemm_fill_block_per_rowILj1024ELj64ELj16384ELj137ELj32Eli21rocsparse_complex_numIdEEEvT5_PKS3_S5_NS_24const_host_device_scalarIT6_EEPKT4_S5_PKS7_SB_S5_SD_S8_SB_S5_SD_SB_PS3_PS7_21rocsparse_index_base_SG_SG_SG_bbb,comdat
.Lfunc_end253:
	.size	_ZN9rocsparseL26csrgemm_fill_block_per_rowILj1024ELj64ELj16384ELj137ELj32Eli21rocsparse_complex_numIdEEEvT5_PKS3_S5_NS_24const_host_device_scalarIT6_EEPKT4_S5_PKS7_SB_S5_SD_S8_SB_S5_SD_SB_PS3_PS7_21rocsparse_index_base_SG_SG_SG_bbb, .Lfunc_end253-_ZN9rocsparseL26csrgemm_fill_block_per_rowILj1024ELj64ELj16384ELj137ELj32Eli21rocsparse_complex_numIdEEEvT5_PKS3_S5_NS_24const_host_device_scalarIT6_EEPKT4_S5_PKS7_SB_S5_SD_S8_SB_S5_SD_SB_PS3_PS7_21rocsparse_index_base_SG_SG_SG_bbb
                                        ; -- End function
	.section	.AMDGPU.csdata,"",@progbits
; Kernel info:
; codeLenInByte = 5492
; NumSgprs: 106
; NumVgprs: 37
; NumAgprs: 0
; TotalNumVgprs: 37
; ScratchSize: 40
; MemoryBound: 0
; FloatMode: 240
; IeeeMode: 1
; LDSByteSize: 0 bytes/workgroup (compile time only)
; SGPRBlocks: 13
; VGPRBlocks: 4
; NumSGPRsForWavesPerEU: 106
; NumVGPRsForWavesPerEU: 37
; AccumOffset: 40
; Occupancy: 7
; WaveLimiterHint : 1
; COMPUTE_PGM_RSRC2:SCRATCH_EN: 1
; COMPUTE_PGM_RSRC2:USER_SGPR: 8
; COMPUTE_PGM_RSRC2:TRAP_HANDLER: 0
; COMPUTE_PGM_RSRC2:TGID_X_EN: 1
; COMPUTE_PGM_RSRC2:TGID_Y_EN: 0
; COMPUTE_PGM_RSRC2:TGID_Z_EN: 0
; COMPUTE_PGM_RSRC2:TIDIG_COMP_CNT: 0
; COMPUTE_PGM_RSRC3_GFX90A:ACCUM_OFFSET: 9
; COMPUTE_PGM_RSRC3_GFX90A:TG_SPLIT: 0
	.section	.text._ZN9rocsparseL26csrgemm_fill_block_per_rowILj1024ELj64ELj16384ELj137ELj64Eli21rocsparse_complex_numIdEEEvT5_PKS3_S5_NS_24const_host_device_scalarIT6_EEPKT4_S5_PKS7_SB_S5_SD_S8_SB_S5_SD_SB_PS3_PS7_21rocsparse_index_base_SG_SG_SG_bbb,"axG",@progbits,_ZN9rocsparseL26csrgemm_fill_block_per_rowILj1024ELj64ELj16384ELj137ELj64Eli21rocsparse_complex_numIdEEEvT5_PKS3_S5_NS_24const_host_device_scalarIT6_EEPKT4_S5_PKS7_SB_S5_SD_S8_SB_S5_SD_SB_PS3_PS7_21rocsparse_index_base_SG_SG_SG_bbb,comdat
	.globl	_ZN9rocsparseL26csrgemm_fill_block_per_rowILj1024ELj64ELj16384ELj137ELj64Eli21rocsparse_complex_numIdEEEvT5_PKS3_S5_NS_24const_host_device_scalarIT6_EEPKT4_S5_PKS7_SB_S5_SD_S8_SB_S5_SD_SB_PS3_PS7_21rocsparse_index_base_SG_SG_SG_bbb ; -- Begin function _ZN9rocsparseL26csrgemm_fill_block_per_rowILj1024ELj64ELj16384ELj137ELj64Eli21rocsparse_complex_numIdEEEvT5_PKS3_S5_NS_24const_host_device_scalarIT6_EEPKT4_S5_PKS7_SB_S5_SD_S8_SB_S5_SD_SB_PS3_PS7_21rocsparse_index_base_SG_SG_SG_bbb
	.p2align	8
	.type	_ZN9rocsparseL26csrgemm_fill_block_per_rowILj1024ELj64ELj16384ELj137ELj64Eli21rocsparse_complex_numIdEEEvT5_PKS3_S5_NS_24const_host_device_scalarIT6_EEPKT4_S5_PKS7_SB_S5_SD_S8_SB_S5_SD_SB_PS3_PS7_21rocsparse_index_base_SG_SG_SG_bbb,@function
_ZN9rocsparseL26csrgemm_fill_block_per_rowILj1024ELj64ELj16384ELj137ELj64Eli21rocsparse_complex_numIdEEEvT5_PKS3_S5_NS_24const_host_device_scalarIT6_EEPKT4_S5_PKS7_SB_S5_SD_S8_SB_S5_SD_SB_PS3_PS7_21rocsparse_index_base_SG_SG_SG_bbb: ; @_ZN9rocsparseL26csrgemm_fill_block_per_rowILj1024ELj64ELj16384ELj137ELj64Eli21rocsparse_complex_numIdEEEvT5_PKS3_S5_NS_24const_host_device_scalarIT6_EEPKT4_S5_PKS7_SB_S5_SD_S8_SB_S5_SD_SB_PS3_PS7_21rocsparse_index_base_SG_SG_SG_bbb
; %bb.0:
	s_add_u32 flat_scratch_lo, s6, s9
	s_addc_u32 flat_scratch_hi, s7, 0
	s_load_dwordx4 s[12:15], s[4:5], 0x18
	s_load_dwordx4 s[28:31], s[4:5], 0x58
	s_add_u32 s0, s0, s9
	s_load_dword s9, s[4:5], 0xa8
	s_load_dwordx4 s[44:47], s[4:5], 0x98
	s_addc_u32 s1, s1, 0
	s_waitcnt lgkmcnt(0)
	v_mov_b32_e32 v1, s13
	buffer_store_dword v1, off, s[0:3], 0 offset:20
	s_bitcmp1_b32 s9, 0
	s_cselect_b64 s[54:55], -1, 0
	s_bitcmp1_b32 s9, 16
	v_mov_b32_e32 v1, s12
	s_cselect_b64 s[6:7], -1, 0
	buffer_store_dword v1, off, s[0:3], 0 offset:16
	v_mov_b32_e32 v1, s29
	buffer_store_dword v1, off, s[0:3], 0 offset:28
	v_mov_b32_e32 v1, s28
	s_xor_b64 s[10:11], s[6:7], -1
	buffer_store_dword v1, off, s[0:3], 0 offset:24
	v_pk_mov_b32 v[2:3], 0, 0
	v_cndmask_b32_e64 v1, 0, 1, s[10:11]
	s_bitcmp0_b32 s9, 0
	v_cmp_ne_u32_e64 s[10:11], 1, v1
	v_pk_mov_b32 v[6:7], v[2:3], v[2:3] op_sel:[0,1]
	v_pk_mov_b32 v[8:9], v[2:3], v[2:3] op_sel:[0,1]
	s_cbranch_scc1 .LBB254_3
; %bb.1:
	s_mov_b64 s[16:17], src_private_base
	s_and_b64 s[18:19], s[6:7], exec
	s_cselect_b32 s16, s17, s13
	v_mov_b32_e32 v1, 16
	v_mov_b32_e32 v4, s12
	v_cndmask_b32_e64 v4, v4, v1, s[6:7]
	v_mov_b32_e32 v5, s16
	flat_load_dwordx2 v[6:7], v[4:5]
	s_and_b64 vcc, exec, s[10:11]
	v_pk_mov_b32 v[8:9], s[14:15], s[14:15] op_sel:[0,1]
	s_cbranch_vccnz .LBB254_3
; %bb.2:
	v_pk_mov_b32 v[4:5], s[12:13], s[12:13] op_sel:[0,1]
	flat_load_dwordx2 v[8:9], v[4:5] offset:8
.LBB254_3:
	s_load_dwordx4 s[48:51], s[4:5], 0x88
	s_load_dwordx8 s[36:43], s[4:5], 0x68
	s_load_dwordx4 s[20:23], s[4:5], 0x48
	s_load_dwordx4 s[24:27], s[4:5], 0x8
	s_load_dwordx8 s[12:19], s[4:5], 0x28
	s_bitcmp1_b32 s9, 8
	s_cselect_b64 s[34:35], -1, 0
	s_bfe_u32 s9, s9, 0x10008
	s_mov_b64 s[52:53], 0
	s_cmp_eq_u32 s9, 0
	v_pk_mov_b32 v[4:5], v[2:3], v[2:3] op_sel:[0,1]
	s_cbranch_scc1 .LBB254_6
; %bb.4:
	s_mov_b64 s[56:57], src_private_base
	s_and_b64 s[58:59], s[6:7], exec
	s_cselect_b32 s9, s57, s29
	v_mov_b32_e32 v1, 24
	v_mov_b32_e32 v2, s28
	v_cndmask_b32_e64 v2, v2, v1, s[6:7]
	v_mov_b32_e32 v3, s9
	flat_load_dwordx2 v[4:5], v[2:3]
	s_and_b64 vcc, exec, s[10:11]
	v_pk_mov_b32 v[2:3], s[30:31], s[30:31] op_sel:[0,1]
	s_cbranch_vccnz .LBB254_6
; %bb.5:
	v_pk_mov_b32 v[2:3], s[28:29], s[28:29] op_sel:[0,1]
	flat_load_dwordx2 v[2:3], v[2:3] offset:8
.LBB254_6:
	s_load_dword s33, s[4:5], 0x0
	v_lshlrev_b32_e32 v10, 4, v0
	s_mov_b32 s4, 0
	v_or_b32_e32 v1, 0xfffffc00, v0
	v_add_u32_e32 v25, 0, v10
	v_lshl_add_u32 v24, v0, 2, 0
	s_mov_b32 s5, s4
	s_mov_b32 s6, s4
	;; [unrolled: 1-line block ×3, first 2 shown]
	v_add_u32_e32 v14, 0x10008, v25
	s_waitcnt lgkmcnt(0)
	v_mov_b32_e32 v15, s33
	v_pk_mov_b32 v[10:11], s[4:5], s[4:5] op_sel:[0,1]
	v_pk_mov_b32 v[12:13], s[6:7], s[6:7] op_sel:[0,1]
	s_movk_i32 s4, 0x3bff
	v_mov_b32_e32 v16, v24
	v_mov_b32_e32 v17, v1
.LBB254_7:                              ; =>This Inner Loop Header: Depth=1
	v_add_u32_e32 v17, 0x400, v17
	v_cmp_lt_u32_e32 vcc, s4, v17
	ds_write_b32 v16, v15
	v_add_u32_e32 v18, -8, v14
	v_add_u32_e32 v14, 0x4000, v14
	v_add_u32_e32 v16, 0x1000, v16
	s_or_b64 s[52:53], vcc, s[52:53]
	ds_write2_b64 v18, v[10:11], v[12:13] offset1:1
	s_andn2_b64 exec, exec, s[52:53]
	s_cbranch_execnz .LBB254_7
; %bb.8:
	s_or_b64 exec, exec, s[52:53]
	s_waitcnt lgkmcnt(0)
	s_barrier
	s_load_dword s4, s[24:25], 0x0
	s_mov_b32 s5, 0
	v_lshrrev_b32_e32 v26, 6, v0
	s_waitcnt lgkmcnt(0)
	s_add_i32 s4, s4, s8
	s_lshl_b64 s[4:5], s[4:5], 2
	s_add_u32 s4, s26, s4
	s_addc_u32 s5, s27, s5
	s_load_dword s52, s[4:5], 0x0
	s_and_b64 vcc, exec, s[54:55]
	s_cbranch_vccz .LBB254_28
; %bb.9:
	s_waitcnt lgkmcnt(0)
	s_ashr_i32 s53, s52, 31
	s_lshl_b64 s[4:5], s[52:53], 3
	s_add_u32 s4, s12, s4
	s_addc_u32 s5, s13, s5
	s_load_dwordx4 s[8:11], s[4:5], 0x0
	v_subrev_co_u32_e32 v10, vcc, s44, v26
	v_subb_co_u32_e64 v11, s[4:5], 0, 0, vcc
	s_waitcnt lgkmcnt(0)
	s_sub_u32 s4, s10, s44
	v_mov_b32_e32 v12, s9
	v_add_co_u32_e32 v10, vcc, s8, v10
	s_subb_u32 s5, s11, 0
	v_addc_co_u32_e32 v11, vcc, v12, v11, vcc
	v_cmp_gt_i64_e32 vcc, s[4:5], v[10:11]
	s_and_saveexec_b64 s[6:7], vcc
	s_cbranch_execz .LBB254_27
; %bb.10:
	v_and_b32_e32 v12, 63, v0
	v_subrev_co_u32_e32 v27, vcc, s45, v12
	s_mov_b32 s10, 0
	v_subb_co_u32_e64 v28, s[8:9], 0, 0, vcc
	s_mov_b32 s53, s45
	s_mov_b64 s[8:9], 0
	v_mov_b32_e32 v29, s15
	v_mov_b32_e32 v30, s19
	;; [unrolled: 1-line block ×3, first 2 shown]
	s_movk_i32 s15, 0x89
	s_branch .LBB254_12
.LBB254_11:                             ;   in Loop: Header=BB254_12 Depth=1
	s_or_b64 exec, exec, s[10:11]
	v_add_co_u32_e32 v10, vcc, 16, v10
	v_addc_co_u32_e32 v11, vcc, 0, v11, vcc
	v_cmp_le_i64_e32 vcc, s[4:5], v[10:11]
	s_or_b64 s[8:9], vcc, s[8:9]
	s_andn2_b64 exec, exec, s[8:9]
	s_cbranch_execz .LBB254_27
.LBB254_12:                             ; =>This Loop Header: Depth=1
                                        ;     Child Loop BB254_15 Depth 2
                                        ;       Child Loop BB254_17 Depth 3
	v_lshlrev_b64 v[12:13], 2, v[10:11]
	v_add_co_u32_e32 v12, vcc, s14, v12
	v_addc_co_u32_e32 v13, vcc, v29, v13, vcc
	global_load_dword v12, v[12:13], off
	s_waitcnt vmcnt(0)
	v_subrev_u32_e32 v12, s44, v12
	v_ashrrev_i32_e32 v13, 31, v12
	v_lshlrev_b64 v[12:13], 3, v[12:13]
	v_add_co_u32_e32 v12, vcc, s18, v12
	v_addc_co_u32_e32 v13, vcc, v30, v13, vcc
	global_load_dwordx4 v[14:17], v[12:13], off
	s_waitcnt vmcnt(0)
	v_subrev_co_u32_e32 v12, vcc, s53, v16
	v_subb_co_u32_e32 v13, vcc, v17, v31, vcc
	v_add_co_u32_e32 v14, vcc, v14, v27
	v_addc_co_u32_e32 v15, vcc, v15, v28, vcc
	v_cmp_lt_i64_e32 vcc, v[14:15], v[12:13]
	s_and_saveexec_b64 s[10:11], vcc
	s_cbranch_execz .LBB254_11
; %bb.13:                               ;   in Loop: Header=BB254_12 Depth=1
	v_lshlrev_b64 v[16:17], 4, v[10:11]
	v_mov_b32_e32 v18, s17
	v_add_co_u32_e32 v16, vcc, s16, v16
	v_addc_co_u32_e32 v17, vcc, v18, v17, vcc
	global_load_dwordx4 v[20:23], v[16:17], off
	s_mov_b64 s[12:13], 0
	s_waitcnt vmcnt(0)
	v_mul_f64 v[16:17], v[22:23], -v[8:9]
	v_mul_f64 v[18:19], v[6:7], v[22:23]
	v_fmac_f64_e32 v[16:17], v[6:7], v[20:21]
	v_fmac_f64_e32 v[18:19], v[8:9], v[20:21]
	s_branch .LBB254_15
.LBB254_14:                             ;   in Loop: Header=BB254_15 Depth=2
	s_or_b64 exec, exec, s[24:25]
	v_add_co_u32_e32 v14, vcc, 64, v14
	v_addc_co_u32_e32 v15, vcc, 0, v15, vcc
	v_cmp_ge_i64_e32 vcc, v[14:15], v[12:13]
	s_or_b64 s[12:13], vcc, s[12:13]
	s_andn2_b64 exec, exec, s[12:13]
	s_cbranch_execz .LBB254_11
.LBB254_15:                             ;   Parent Loop BB254_12 Depth=1
                                        ; =>  This Loop Header: Depth=2
                                        ;       Child Loop BB254_17 Depth 3
	v_lshlrev_b64 v[20:21], 2, v[14:15]
	v_mov_b32_e32 v22, s21
	v_add_co_u32_e32 v20, vcc, s20, v20
	v_addc_co_u32_e32 v21, vcc, v22, v21, vcc
	global_load_dword v22, v[20:21], off
	v_lshlrev_b64 v[20:21], 4, v[14:15]
	v_mov_b32_e32 v23, s23
	v_add_co_u32_e32 v20, vcc, s22, v20
	v_addc_co_u32_e32 v21, vcc, v23, v21, vcc
	global_load_dwordx4 v[34:37], v[20:21], off
	s_mov_b64 s[24:25], 0
	s_waitcnt vmcnt(1)
	v_subrev_u32_e32 v32, s45, v22
	v_mul_lo_u32 v33, v32, s15
	v_and_b32_e32 v33, 0x3fff, v33
	s_waitcnt vmcnt(0)
	v_mul_f64 v[20:21], v[36:37], -v[18:19]
	v_mul_f64 v[22:23], v[16:17], v[36:37]
	v_fmac_f64_e32 v[20:21], v[16:17], v[34:35]
	v_fmac_f64_e32 v[22:23], v[18:19], v[34:35]
	s_branch .LBB254_17
.LBB254_16:                             ;   in Loop: Header=BB254_17 Depth=3
	s_or_b64 exec, exec, s[26:27]
	s_xor_b64 s[26:27], s[28:29], -1
	s_and_b64 s[26:27], exec, s[26:27]
	s_or_b64 s[24:25], s[26:27], s[24:25]
	s_andn2_b64 exec, exec, s[24:25]
	s_cbranch_execz .LBB254_14
.LBB254_17:                             ;   Parent Loop BB254_12 Depth=1
                                        ;     Parent Loop BB254_15 Depth=2
                                        ; =>    This Inner Loop Header: Depth=3
	v_lshl_add_u32 v34, v33, 2, 0
	ds_read_b32 v35, v34
                                        ; implicit-def: $sgpr28_sgpr29
	s_waitcnt lgkmcnt(0)
	v_cmp_ne_u32_e32 vcc, v35, v32
	s_and_saveexec_b64 s[26:27], vcc
	s_xor_b64 s[26:27], exec, s[26:27]
	s_cbranch_execz .LBB254_25
; %bb.18:                               ;   in Loop: Header=BB254_17 Depth=3
	v_cmp_ne_u32_e32 vcc, s33, v35
                                        ; implicit-def: $sgpr28_sgpr29
	s_and_saveexec_b64 s[30:31], vcc
	s_xor_b64 s[30:31], exec, s[30:31]
; %bb.19:                               ;   in Loop: Header=BB254_17 Depth=3
	v_add_u32_e32 v33, 1, v33
	v_and_b32_e32 v33, 0x3fff, v33
	s_mov_b64 s[28:29], -1
                                        ; implicit-def: $vgpr34
; %bb.20:                               ;   in Loop: Header=BB254_17 Depth=3
	s_andn2_saveexec_b64 s[30:31], s[30:31]
	s_cbranch_execz .LBB254_24
; %bb.21:                               ;   in Loop: Header=BB254_17 Depth=3
	v_mov_b32_e32 v35, s33
	ds_cmpst_rtn_b32 v34, v34, v35, v32
	s_mov_b64 s[56:57], -1
	s_waitcnt lgkmcnt(0)
	v_cmp_eq_u32_e32 vcc, s33, v34
	s_and_saveexec_b64 s[54:55], vcc
	s_cbranch_execz .LBB254_23
; %bb.22:                               ;   in Loop: Header=BB254_17 Depth=3
	v_lshl_add_u32 v34, v33, 4, 0
	v_add_u32_e32 v34, 0x10000, v34
	ds_add_f64 v34, v[20:21]
	ds_add_f64 v34, v[22:23] offset:8
	s_xor_b64 s[56:57], exec, -1
.LBB254_23:                             ;   in Loop: Header=BB254_17 Depth=3
	s_or_b64 exec, exec, s[54:55]
	s_andn2_b64 s[28:29], s[28:29], exec
	s_and_b64 s[54:55], s[56:57], exec
	s_or_b64 s[28:29], s[28:29], s[54:55]
.LBB254_24:                             ;   in Loop: Header=BB254_17 Depth=3
	s_or_b64 exec, exec, s[30:31]
	s_and_b64 s[28:29], s[28:29], exec
.LBB254_25:                             ;   in Loop: Header=BB254_17 Depth=3
	s_andn2_saveexec_b64 s[26:27], s[26:27]
	s_cbranch_execz .LBB254_16
; %bb.26:                               ;   in Loop: Header=BB254_17 Depth=3
	v_lshl_add_u32 v34, v33, 4, 0
	v_add_u32_e32 v34, 0x10000, v34
	ds_add_f64 v34, v[20:21]
	ds_add_f64 v34, v[22:23] offset:8
	s_andn2_b64 s[28:29], s[28:29], exec
	s_branch .LBB254_16
.LBB254_27:
	s_or_b64 exec, exec, s[6:7]
.LBB254_28:
	s_andn2_b64 vcc, exec, s[34:35]
	s_cbranch_vccnz .LBB254_45
; %bb.29:
	s_waitcnt lgkmcnt(0)
	s_ashr_i32 s53, s52, 31
	s_lshl_b64 s[4:5], s[52:53], 3
	s_add_u32 s4, s36, s4
	s_addc_u32 s5, s37, s5
	s_load_dwordx4 s[8:11], s[4:5], 0x0
	s_waitcnt vmcnt(0)
	v_subrev_co_u32_e32 v6, vcc, s47, v0
	v_subb_co_u32_e64 v7, s[4:5], 0, 0, vcc
	s_waitcnt lgkmcnt(0)
	s_sub_u32 s4, s10, s47
	v_mov_b32_e32 v8, s9
	v_add_co_u32_e32 v6, vcc, s8, v6
	s_subb_u32 s5, s11, 0
	v_addc_co_u32_e32 v7, vcc, v8, v7, vcc
	v_cmp_gt_i64_e32 vcc, s[4:5], v[6:7]
	s_and_saveexec_b64 s[6:7], vcc
	s_cbranch_execz .LBB254_44
; %bb.30:
	s_mov_b64 s[8:9], 0
	v_mov_b32_e32 v12, s39
	v_mov_b32_e32 v13, s41
	s_movk_i32 s22, 0x89
	s_branch .LBB254_32
.LBB254_31:                             ;   in Loop: Header=BB254_32 Depth=1
	s_or_b64 exec, exec, s[10:11]
	v_add_co_u32_e32 v6, vcc, 0x400, v6
	v_addc_co_u32_e32 v7, vcc, 0, v7, vcc
	v_cmp_le_i64_e32 vcc, s[4:5], v[6:7]
	s_or_b64 s[8:9], vcc, s[8:9]
	s_andn2_b64 exec, exec, s[8:9]
	s_cbranch_execz .LBB254_44
.LBB254_32:                             ; =>This Loop Header: Depth=1
                                        ;     Child Loop BB254_34 Depth 2
	v_lshlrev_b64 v[8:9], 2, v[6:7]
	v_add_co_u32_e32 v8, vcc, s38, v8
	v_addc_co_u32_e32 v9, vcc, v12, v9, vcc
	global_load_dword v10, v[8:9], off
	v_lshlrev_b64 v[8:9], 4, v[6:7]
	v_add_co_u32_e32 v8, vcc, s40, v8
	v_addc_co_u32_e32 v9, vcc, v13, v9, vcc
	global_load_dwordx4 v[16:19], v[8:9], off
	s_mov_b64 s[10:11], 0
	s_waitcnt vmcnt(1)
	v_subrev_u32_e32 v14, s47, v10
	v_mul_lo_u32 v15, v14, s22
	v_and_b32_e32 v15, 0x3fff, v15
	s_waitcnt vmcnt(0)
	v_mul_f64 v[8:9], v[18:19], -v[2:3]
	v_mul_f64 v[10:11], v[4:5], v[18:19]
	v_fmac_f64_e32 v[8:9], v[4:5], v[16:17]
	v_fmac_f64_e32 v[10:11], v[2:3], v[16:17]
	s_branch .LBB254_34
.LBB254_33:                             ;   in Loop: Header=BB254_34 Depth=2
	s_or_b64 exec, exec, s[12:13]
	s_xor_b64 s[12:13], s[14:15], -1
	s_and_b64 s[12:13], exec, s[12:13]
	s_or_b64 s[10:11], s[12:13], s[10:11]
	s_andn2_b64 exec, exec, s[10:11]
	s_cbranch_execz .LBB254_31
.LBB254_34:                             ;   Parent Loop BB254_32 Depth=1
                                        ; =>  This Inner Loop Header: Depth=2
	v_lshl_add_u32 v16, v15, 2, 0
	ds_read_b32 v17, v16
                                        ; implicit-def: $sgpr14_sgpr15
	s_waitcnt lgkmcnt(0)
	v_cmp_ne_u32_e32 vcc, v17, v14
	s_and_saveexec_b64 s[12:13], vcc
	s_xor_b64 s[12:13], exec, s[12:13]
	s_cbranch_execz .LBB254_42
; %bb.35:                               ;   in Loop: Header=BB254_34 Depth=2
	v_cmp_ne_u32_e32 vcc, s33, v17
                                        ; implicit-def: $sgpr14_sgpr15
	s_and_saveexec_b64 s[16:17], vcc
	s_xor_b64 s[16:17], exec, s[16:17]
; %bb.36:                               ;   in Loop: Header=BB254_34 Depth=2
	v_add_u32_e32 v15, 1, v15
	v_and_b32_e32 v15, 0x3fff, v15
	s_mov_b64 s[14:15], -1
                                        ; implicit-def: $vgpr16
; %bb.37:                               ;   in Loop: Header=BB254_34 Depth=2
	s_andn2_saveexec_b64 s[16:17], s[16:17]
	s_cbranch_execz .LBB254_41
; %bb.38:                               ;   in Loop: Header=BB254_34 Depth=2
	v_mov_b32_e32 v17, s33
	ds_cmpst_rtn_b32 v16, v16, v17, v14
	s_mov_b64 s[20:21], -1
	s_waitcnt lgkmcnt(0)
	v_cmp_eq_u32_e32 vcc, s33, v16
	s_and_saveexec_b64 s[18:19], vcc
	s_cbranch_execz .LBB254_40
; %bb.39:                               ;   in Loop: Header=BB254_34 Depth=2
	v_lshl_add_u32 v16, v15, 4, 0
	v_add_u32_e32 v16, 0x10000, v16
	ds_add_f64 v16, v[8:9]
	ds_add_f64 v16, v[10:11] offset:8
	s_xor_b64 s[20:21], exec, -1
.LBB254_40:                             ;   in Loop: Header=BB254_34 Depth=2
	s_or_b64 exec, exec, s[18:19]
	s_andn2_b64 s[14:15], s[14:15], exec
	s_and_b64 s[18:19], s[20:21], exec
	s_or_b64 s[14:15], s[14:15], s[18:19]
.LBB254_41:                             ;   in Loop: Header=BB254_34 Depth=2
	s_or_b64 exec, exec, s[16:17]
	s_and_b64 s[14:15], s[14:15], exec
.LBB254_42:                             ;   in Loop: Header=BB254_34 Depth=2
	s_andn2_saveexec_b64 s[12:13], s[12:13]
	s_cbranch_execz .LBB254_33
; %bb.43:                               ;   in Loop: Header=BB254_34 Depth=2
	v_lshl_add_u32 v16, v15, 4, 0
	v_add_u32_e32 v16, 0x10000, v16
	ds_add_f64 v16, v[8:9]
	ds_add_f64 v16, v[10:11] offset:8
	s_andn2_b64 s[14:15], s[14:15], exec
	s_branch .LBB254_33
.LBB254_44:
	s_or_b64 exec, exec, s[6:7]
.LBB254_45:
	s_waitcnt vmcnt(0)
	v_mbcnt_lo_u32_b32 v2, -1, 0
	v_mbcnt_hi_u32_b32 v2, -1, v2
	v_sub_u32_e32 v2, 63, v2
	s_add_i32 s44, 0, 0x50000
	s_movk_i32 s4, 0x3ff
	s_movk_i32 s6, 0x7f
	;; [unrolled: 1-line block ×15, first 2 shown]
	s_add_i32 s65, 0, 0x5003c
	v_mov_b32_e32 v4, 0
	v_lshrrev_b64 v[2:3], v2, -1
	v_lshl_add_u32 v5, v26, 2, s44
	v_cmp_eq_u32_e32 vcc, s4, v0
	v_cmp_lt_u32_e64 s[4:5], 63, v0
	v_cmp_lt_u32_e64 s[6:7], s6, v0
	;; [unrolled: 1-line block ×15, first 2 shown]
	v_add_u32_e32 v6, 0x10000, v25
	s_mov_b64 s[38:39], 0
	s_add_i32 s45, 0, 0x50004
	s_add_i32 s47, 0, 0x50008
	;; [unrolled: 1-line block ×14, first 2 shown]
	v_mov_b32_e32 v7, s65
	s_movk_i32 s66, 0x3bff
	s_waitcnt lgkmcnt(0)
	s_barrier
	s_branch .LBB254_47
.LBB254_46:                             ;   in Loop: Header=BB254_47 Depth=1
	s_or_b64 exec, exec, s[36:37]
	s_waitcnt lgkmcnt(0)
	s_barrier
	ds_read_b32 v8, v7
	v_add_u32_e32 v1, 0x400, v1
	v_cmp_lt_u32_e64 s[36:37], s66, v1
	v_add_u32_e32 v6, 0x4000, v6
	s_or_b64 s[38:39], s[36:37], s[38:39]
	s_waitcnt lgkmcnt(0)
	v_add_u32_e32 v4, v8, v4
	v_add_u32_e32 v24, 0x1000, v24
	s_andn2_b64 exec, exec, s[38:39]
	s_cbranch_execz .LBB254_81
.LBB254_47:                             ; =>This Inner Loop Header: Depth=1
	ds_read2_b64 v[10:13], v6 offset1:1
	ds_read_b32 v9, v24
	s_waitcnt lgkmcnt(1)
	buffer_store_dword v13, off, s[0:3], 0 offset:12
	buffer_store_dword v12, off, s[0:3], 0 offset:8
	;; [unrolled: 1-line block ×3, first 2 shown]
	buffer_store_dword v10, off, s[0:3], 0
	s_waitcnt lgkmcnt(0)
	v_cmp_gt_i32_e64 s[36:37], s33, v9
	v_and_b32_e32 v10, s36, v2
	s_bcnt1_i32_b64 s40, s[36:37]
	v_and_b32_e32 v8, s37, v3
	v_bcnt_u32_b32 v10, v10, 0
	v_bcnt_u32_b32 v8, v8, v10
	v_mov_b32_e32 v10, s40
	s_barrier
	ds_write_b32 v5, v10
	s_waitcnt lgkmcnt(0)
	s_barrier
	s_and_saveexec_b64 s[40:41], s[4:5]
	s_cbranch_execnz .LBB254_64
; %bb.48:                               ;   in Loop: Header=BB254_47 Depth=1
	s_or_b64 exec, exec, s[40:41]
	s_and_saveexec_b64 s[40:41], s[6:7]
	s_cbranch_execnz .LBB254_65
.LBB254_49:                             ;   in Loop: Header=BB254_47 Depth=1
	s_or_b64 exec, exec, s[40:41]
	s_and_saveexec_b64 s[40:41], s[8:9]
	s_cbranch_execnz .LBB254_66
.LBB254_50:                             ;   in Loop: Header=BB254_47 Depth=1
	s_or_b64 exec, exec, s[40:41]
	s_and_saveexec_b64 s[40:41], s[10:11]
	s_cbranch_execnz .LBB254_67
.LBB254_51:                             ;   in Loop: Header=BB254_47 Depth=1
	s_or_b64 exec, exec, s[40:41]
	s_and_saveexec_b64 s[40:41], s[12:13]
	s_cbranch_execnz .LBB254_68
.LBB254_52:                             ;   in Loop: Header=BB254_47 Depth=1
	s_or_b64 exec, exec, s[40:41]
	s_and_saveexec_b64 s[40:41], s[14:15]
	s_cbranch_execnz .LBB254_69
.LBB254_53:                             ;   in Loop: Header=BB254_47 Depth=1
	s_or_b64 exec, exec, s[40:41]
	s_and_saveexec_b64 s[40:41], s[16:17]
	s_cbranch_execnz .LBB254_70
.LBB254_54:                             ;   in Loop: Header=BB254_47 Depth=1
	s_or_b64 exec, exec, s[40:41]
	s_and_saveexec_b64 s[40:41], s[18:19]
	s_cbranch_execnz .LBB254_71
.LBB254_55:                             ;   in Loop: Header=BB254_47 Depth=1
	s_or_b64 exec, exec, s[40:41]
	s_and_saveexec_b64 s[40:41], s[20:21]
	s_cbranch_execnz .LBB254_72
.LBB254_56:                             ;   in Loop: Header=BB254_47 Depth=1
	s_or_b64 exec, exec, s[40:41]
	s_and_saveexec_b64 s[40:41], s[22:23]
	s_cbranch_execnz .LBB254_73
.LBB254_57:                             ;   in Loop: Header=BB254_47 Depth=1
	s_or_b64 exec, exec, s[40:41]
	s_and_saveexec_b64 s[40:41], s[24:25]
	s_cbranch_execnz .LBB254_74
.LBB254_58:                             ;   in Loop: Header=BB254_47 Depth=1
	s_or_b64 exec, exec, s[40:41]
	s_and_saveexec_b64 s[40:41], s[26:27]
	s_cbranch_execnz .LBB254_75
.LBB254_59:                             ;   in Loop: Header=BB254_47 Depth=1
	s_or_b64 exec, exec, s[40:41]
	s_and_saveexec_b64 s[40:41], s[28:29]
	s_cbranch_execnz .LBB254_76
.LBB254_60:                             ;   in Loop: Header=BB254_47 Depth=1
	s_or_b64 exec, exec, s[40:41]
	s_and_saveexec_b64 s[40:41], s[30:31]
	s_cbranch_execnz .LBB254_77
.LBB254_61:                             ;   in Loop: Header=BB254_47 Depth=1
	s_or_b64 exec, exec, s[40:41]
	s_and_saveexec_b64 s[40:41], s[34:35]
	s_cbranch_execnz .LBB254_78
.LBB254_62:                             ;   in Loop: Header=BB254_47 Depth=1
	s_or_b64 exec, exec, s[40:41]
	s_and_saveexec_b64 s[40:41], s[36:37]
	s_cbranch_execnz .LBB254_79
.LBB254_63:                             ;   in Loop: Header=BB254_47 Depth=1
	s_or_b64 exec, exec, s[40:41]
	s_and_saveexec_b64 s[36:37], vcc
	s_cbranch_execz .LBB254_46
	s_branch .LBB254_80
.LBB254_64:                             ;   in Loop: Header=BB254_47 Depth=1
	v_mov_b32_e32 v10, s44
	ds_read_b32 v10, v10
	s_waitcnt lgkmcnt(0)
	v_add_u32_e32 v8, v10, v8
	s_or_b64 exec, exec, s[40:41]
	s_and_saveexec_b64 s[40:41], s[6:7]
	s_cbranch_execz .LBB254_49
.LBB254_65:                             ;   in Loop: Header=BB254_47 Depth=1
	v_mov_b32_e32 v10, s45
	ds_read_b32 v10, v10
	s_waitcnt lgkmcnt(0)
	v_add_u32_e32 v8, v10, v8
	s_or_b64 exec, exec, s[40:41]
	s_and_saveexec_b64 s[40:41], s[8:9]
	s_cbranch_execz .LBB254_50
.LBB254_66:                             ;   in Loop: Header=BB254_47 Depth=1
	v_mov_b32_e32 v10, s47
	ds_read_b32 v10, v10
	s_waitcnt lgkmcnt(0)
	v_add_u32_e32 v8, v10, v8
	s_or_b64 exec, exec, s[40:41]
	s_and_saveexec_b64 s[40:41], s[10:11]
	s_cbranch_execz .LBB254_51
.LBB254_67:                             ;   in Loop: Header=BB254_47 Depth=1
	v_mov_b32_e32 v10, s53
	ds_read_b32 v10, v10
	s_waitcnt lgkmcnt(0)
	v_add_u32_e32 v8, v10, v8
	s_or_b64 exec, exec, s[40:41]
	s_and_saveexec_b64 s[40:41], s[12:13]
	s_cbranch_execz .LBB254_52
.LBB254_68:                             ;   in Loop: Header=BB254_47 Depth=1
	v_mov_b32_e32 v10, s54
	ds_read_b32 v10, v10
	s_waitcnt lgkmcnt(0)
	v_add_u32_e32 v8, v10, v8
	s_or_b64 exec, exec, s[40:41]
	s_and_saveexec_b64 s[40:41], s[14:15]
	s_cbranch_execz .LBB254_53
.LBB254_69:                             ;   in Loop: Header=BB254_47 Depth=1
	v_mov_b32_e32 v10, s55
	ds_read_b32 v10, v10
	s_waitcnt lgkmcnt(0)
	v_add_u32_e32 v8, v10, v8
	s_or_b64 exec, exec, s[40:41]
	s_and_saveexec_b64 s[40:41], s[16:17]
	s_cbranch_execz .LBB254_54
.LBB254_70:                             ;   in Loop: Header=BB254_47 Depth=1
	v_mov_b32_e32 v10, s56
	ds_read_b32 v10, v10
	s_waitcnt lgkmcnt(0)
	v_add_u32_e32 v8, v10, v8
	s_or_b64 exec, exec, s[40:41]
	s_and_saveexec_b64 s[40:41], s[18:19]
	s_cbranch_execz .LBB254_55
.LBB254_71:                             ;   in Loop: Header=BB254_47 Depth=1
	v_mov_b32_e32 v10, s57
	ds_read_b32 v10, v10
	s_waitcnt lgkmcnt(0)
	v_add_u32_e32 v8, v10, v8
	s_or_b64 exec, exec, s[40:41]
	s_and_saveexec_b64 s[40:41], s[20:21]
	s_cbranch_execz .LBB254_56
.LBB254_72:                             ;   in Loop: Header=BB254_47 Depth=1
	v_mov_b32_e32 v10, s58
	ds_read_b32 v10, v10
	s_waitcnt lgkmcnt(0)
	v_add_u32_e32 v8, v10, v8
	s_or_b64 exec, exec, s[40:41]
	s_and_saveexec_b64 s[40:41], s[22:23]
	s_cbranch_execz .LBB254_57
.LBB254_73:                             ;   in Loop: Header=BB254_47 Depth=1
	v_mov_b32_e32 v10, s59
	ds_read_b32 v10, v10
	s_waitcnt lgkmcnt(0)
	v_add_u32_e32 v8, v10, v8
	s_or_b64 exec, exec, s[40:41]
	s_and_saveexec_b64 s[40:41], s[24:25]
	s_cbranch_execz .LBB254_58
.LBB254_74:                             ;   in Loop: Header=BB254_47 Depth=1
	v_mov_b32_e32 v10, s60
	ds_read_b32 v10, v10
	s_waitcnt lgkmcnt(0)
	v_add_u32_e32 v8, v10, v8
	s_or_b64 exec, exec, s[40:41]
	s_and_saveexec_b64 s[40:41], s[26:27]
	s_cbranch_execz .LBB254_59
.LBB254_75:                             ;   in Loop: Header=BB254_47 Depth=1
	v_mov_b32_e32 v10, s61
	ds_read_b32 v10, v10
	s_waitcnt lgkmcnt(0)
	v_add_u32_e32 v8, v10, v8
	s_or_b64 exec, exec, s[40:41]
	s_and_saveexec_b64 s[40:41], s[28:29]
	s_cbranch_execz .LBB254_60
.LBB254_76:                             ;   in Loop: Header=BB254_47 Depth=1
	v_mov_b32_e32 v10, s62
	ds_read_b32 v10, v10
	s_waitcnt lgkmcnt(0)
	v_add_u32_e32 v8, v10, v8
	s_or_b64 exec, exec, s[40:41]
	s_and_saveexec_b64 s[40:41], s[30:31]
	s_cbranch_execz .LBB254_61
.LBB254_77:                             ;   in Loop: Header=BB254_47 Depth=1
	v_mov_b32_e32 v10, s63
	ds_read_b32 v10, v10
	s_waitcnt lgkmcnt(0)
	v_add_u32_e32 v8, v10, v8
	s_or_b64 exec, exec, s[40:41]
	s_and_saveexec_b64 s[40:41], s[34:35]
	s_cbranch_execz .LBB254_62
.LBB254_78:                             ;   in Loop: Header=BB254_47 Depth=1
	v_mov_b32_e32 v10, s64
	ds_read_b32 v10, v10
	s_waitcnt lgkmcnt(0)
	v_add_u32_e32 v8, v10, v8
	s_or_b64 exec, exec, s[40:41]
	s_and_saveexec_b64 s[40:41], s[36:37]
	s_cbranch_execz .LBB254_63
.LBB254_79:                             ;   in Loop: Header=BB254_47 Depth=1
	buffer_load_dword v10, off, s[0:3], 0
	buffer_load_dword v11, off, s[0:3], 0 offset:4
	buffer_load_dword v12, off, s[0:3], 0 offset:8
	;; [unrolled: 1-line block ×3, first 2 shown]
	v_add3_u32 v14, v4, -1, v8
	v_lshl_add_u32 v15, v14, 2, 0
	v_lshl_add_u32 v14, v14, 4, 0
	v_add_u32_e32 v14, 0x10000, v14
	ds_write_b32 v15, v9
	s_waitcnt vmcnt(0)
	ds_write2_b64 v14, v[10:11], v[12:13] offset1:1
	s_or_b64 exec, exec, s[40:41]
	s_and_saveexec_b64 s[36:37], vcc
	s_cbranch_execz .LBB254_46
.LBB254_80:                             ;   in Loop: Header=BB254_47 Depth=1
	v_mov_b32_e32 v9, s65
	ds_write_b32 v9, v8
	s_branch .LBB254_46
.LBB254_81:
	s_or_b64 exec, exec, s[38:39]
	s_ashr_i32 s53, s52, 31
	s_lshl_b64 s[4:5], s[52:53], 3
	s_add_u32 s4, s42, s4
	s_addc_u32 s5, s43, s5
	s_load_dwordx4 s[4:7], s[4:5], 0x0
	s_waitcnt lgkmcnt(0)
	s_sub_i32 s12, s6, s4
	v_cmp_gt_i32_e32 vcc, s12, v0
	s_and_saveexec_b64 s[8:9], vcc
	s_cbranch_execz .LBB254_91
; %bb.82:
	s_sub_u32 s8, s4, s46
	s_subb_u32 s9, s5, 0
	s_and_b32 s13, s12, 7
	s_sub_i32 s4, s4, s6
	s_cmp_lt_u32 s4, -7
	s_cselect_b64 s[4:5], -1, 0
	s_and_b32 s14, s12, -8
	s_cmp_lg_u32 s13, 0
	v_cndmask_b32_e64 v1, 0, 1, s[4:5]
	s_cselect_b64 s[6:7], -1, 0
	v_cmp_ne_u32_e64 s[4:5], 1, v1
	v_cndmask_b32_e64 v1, 0, 1, s[6:7]
	s_mov_b64 s[10:11], 0
	v_cmp_ne_u32_e64 s[6:7], 1, v1
	v_mov_b32_e32 v1, s49
	v_mov_b32_e32 v4, s51
	s_branch .LBB254_84
.LBB254_83:                             ;   in Loop: Header=BB254_84 Depth=1
	v_lshl_add_u32 v6, v0, 4, 0
	v_add_u32_e32 v8, 0x10000, v6
	v_lshlrev_b64 v[6:7], 2, v[2:3]
	v_add_co_u32_e32 v6, vcc, s48, v6
	s_waitcnt lgkmcnt(0)
	v_add_u32_e32 v5, s46, v5
	v_addc_co_u32_e32 v7, vcc, v1, v7, vcc
	global_store_dword v[6:7], v5, off
	v_lshlrev_b64 v[2:3], 4, v[2:3]
	ds_read2_b64 v[6:9], v8 offset1:1
	v_add_co_u32_e32 v2, vcc, s50, v2
	v_addc_co_u32_e32 v3, vcc, v4, v3, vcc
	v_add_u32_e32 v0, 0x400, v0
	v_cmp_le_i32_e32 vcc, s12, v0
	s_or_b64 s[10:11], vcc, s[10:11]
	s_waitcnt lgkmcnt(0)
	global_store_dwordx4 v[2:3], v[6:9], off
	s_andn2_b64 exec, exec, s[10:11]
	s_cbranch_execz .LBB254_91
.LBB254_84:                             ; =>This Loop Header: Depth=1
                                        ;     Child Loop BB254_86 Depth 2
                                        ;     Child Loop BB254_90 Depth 2
	v_lshl_add_u32 v2, v0, 2, 0
	ds_read_b32 v5, v2
	s_and_b64 vcc, exec, s[4:5]
	v_pk_mov_b32 v[2:3], s[8:9], s[8:9] op_sel:[0,1]
	s_mov_b32 s15, 0
	s_cbranch_vccnz .LBB254_88
; %bb.85:                               ;   in Loop: Header=BB254_84 Depth=1
	s_mov_b32 s16, 0
	v_pk_mov_b32 v[2:3], s[8:9], s[8:9] op_sel:[0,1]
.LBB254_86:                             ;   Parent Loop BB254_84 Depth=1
                                        ; =>  This Inner Loop Header: Depth=2
	v_mov_b32_e32 v12, s16
	ds_read2_b32 v[6:7], v12 offset1:1
	ds_read2_b32 v[8:9], v12 offset0:2 offset1:3
	ds_read2_b32 v[10:11], v12 offset0:4 offset1:5
	ds_read2_b32 v[12:13], v12 offset0:6 offset1:7
	s_add_i32 s15, s15, 8
	s_waitcnt lgkmcnt(3)
	v_cmp_gt_i32_e32 vcc, v5, v6
	v_cndmask_b32_e64 v6, 0, 1, vcc
	v_cmp_gt_i32_e32 vcc, v5, v7
	v_cndmask_b32_e64 v7, 0, 1, vcc
	s_waitcnt lgkmcnt(2)
	v_cmp_gt_i32_e32 vcc, v5, v8
	v_cndmask_b32_e64 v8, 0, 1, vcc
	v_cmp_gt_i32_e32 vcc, v5, v9
	v_cndmask_b32_e64 v9, 0, 1, vcc
	s_waitcnt lgkmcnt(1)
	v_cmp_gt_i32_e32 vcc, v5, v10
	v_cndmask_b32_e64 v10, 0, 1, vcc
	v_cmp_gt_i32_e32 vcc, v5, v11
	v_cndmask_b32_e64 v11, 0, 1, vcc
	s_waitcnt lgkmcnt(0)
	v_cmp_gt_i32_e32 vcc, v5, v12
	v_cndmask_b32_e64 v12, 0, 1, vcc
	v_cmp_gt_i32_e32 vcc, v5, v13
	v_cndmask_b32_e64 v13, 0, 1, vcc
	v_add_co_u32_e32 v2, vcc, v2, v6
	v_addc_co_u32_e32 v3, vcc, 0, v3, vcc
	v_add_co_u32_e32 v2, vcc, v2, v7
	v_addc_co_u32_e32 v3, vcc, 0, v3, vcc
	;; [unrolled: 2-line block ×7, first 2 shown]
	s_add_i32 s16, s16, 32
	v_add_co_u32_e32 v2, vcc, v2, v13
	s_cmp_eq_u32 s14, s15
	v_addc_co_u32_e32 v3, vcc, 0, v3, vcc
	s_cbranch_scc0 .LBB254_86
; %bb.87:                               ;   in Loop: Header=BB254_84 Depth=1
	s_mov_b32 s15, s14
.LBB254_88:                             ;   in Loop: Header=BB254_84 Depth=1
	s_and_b64 vcc, exec, s[6:7]
	s_cbranch_vccnz .LBB254_83
; %bb.89:                               ;   in Loop: Header=BB254_84 Depth=1
	s_lshl_b32 s15, s15, 2
	s_add_i32 s15, s15, 0
	s_mov_b32 s16, s13
.LBB254_90:                             ;   Parent Loop BB254_84 Depth=1
                                        ; =>  This Inner Loop Header: Depth=2
	v_mov_b32_e32 v6, s15
	ds_read_b32 v6, v6
	s_add_i32 s15, s15, 4
	s_add_i32 s16, s16, -1
	s_cmp_lg_u32 s16, 0
	s_waitcnt lgkmcnt(0)
	v_cmp_gt_i32_e32 vcc, v5, v6
	v_cndmask_b32_e64 v6, 0, 1, vcc
	v_add_co_u32_e32 v2, vcc, v2, v6
	v_addc_co_u32_e32 v3, vcc, 0, v3, vcc
	s_cbranch_scc1 .LBB254_90
	s_branch .LBB254_83
.LBB254_91:
	s_endpgm
	.section	.rodata,"a",@progbits
	.p2align	6, 0x0
	.amdhsa_kernel _ZN9rocsparseL26csrgemm_fill_block_per_rowILj1024ELj64ELj16384ELj137ELj64Eli21rocsparse_complex_numIdEEEvT5_PKS3_S5_NS_24const_host_device_scalarIT6_EEPKT4_S5_PKS7_SB_S5_SD_S8_SB_S5_SD_SB_PS3_PS7_21rocsparse_index_base_SG_SG_SG_bbb
		.amdhsa_group_segment_fixed_size 0
		.amdhsa_private_segment_fixed_size 40
		.amdhsa_kernarg_size 172
		.amdhsa_user_sgpr_count 8
		.amdhsa_user_sgpr_private_segment_buffer 1
		.amdhsa_user_sgpr_dispatch_ptr 0
		.amdhsa_user_sgpr_queue_ptr 0
		.amdhsa_user_sgpr_kernarg_segment_ptr 1
		.amdhsa_user_sgpr_dispatch_id 0
		.amdhsa_user_sgpr_flat_scratch_init 1
		.amdhsa_user_sgpr_kernarg_preload_length 0
		.amdhsa_user_sgpr_kernarg_preload_offset 0
		.amdhsa_user_sgpr_private_segment_size 0
		.amdhsa_uses_dynamic_stack 0
		.amdhsa_system_sgpr_private_segment_wavefront_offset 1
		.amdhsa_system_sgpr_workgroup_id_x 1
		.amdhsa_system_sgpr_workgroup_id_y 0
		.amdhsa_system_sgpr_workgroup_id_z 0
		.amdhsa_system_sgpr_workgroup_info 0
		.amdhsa_system_vgpr_workitem_id 0
		.amdhsa_next_free_vgpr 38
		.amdhsa_next_free_sgpr 67
		.amdhsa_accum_offset 40
		.amdhsa_reserve_vcc 1
		.amdhsa_reserve_flat_scratch 1
		.amdhsa_float_round_mode_32 0
		.amdhsa_float_round_mode_16_64 0
		.amdhsa_float_denorm_mode_32 3
		.amdhsa_float_denorm_mode_16_64 3
		.amdhsa_dx10_clamp 1
		.amdhsa_ieee_mode 1
		.amdhsa_fp16_overflow 0
		.amdhsa_tg_split 0
		.amdhsa_exception_fp_ieee_invalid_op 0
		.amdhsa_exception_fp_denorm_src 0
		.amdhsa_exception_fp_ieee_div_zero 0
		.amdhsa_exception_fp_ieee_overflow 0
		.amdhsa_exception_fp_ieee_underflow 0
		.amdhsa_exception_fp_ieee_inexact 0
		.amdhsa_exception_int_div_zero 0
	.end_amdhsa_kernel
	.section	.text._ZN9rocsparseL26csrgemm_fill_block_per_rowILj1024ELj64ELj16384ELj137ELj64Eli21rocsparse_complex_numIdEEEvT5_PKS3_S5_NS_24const_host_device_scalarIT6_EEPKT4_S5_PKS7_SB_S5_SD_S8_SB_S5_SD_SB_PS3_PS7_21rocsparse_index_base_SG_SG_SG_bbb,"axG",@progbits,_ZN9rocsparseL26csrgemm_fill_block_per_rowILj1024ELj64ELj16384ELj137ELj64Eli21rocsparse_complex_numIdEEEvT5_PKS3_S5_NS_24const_host_device_scalarIT6_EEPKT4_S5_PKS7_SB_S5_SD_S8_SB_S5_SD_SB_PS3_PS7_21rocsparse_index_base_SG_SG_SG_bbb,comdat
.Lfunc_end254:
	.size	_ZN9rocsparseL26csrgemm_fill_block_per_rowILj1024ELj64ELj16384ELj137ELj64Eli21rocsparse_complex_numIdEEEvT5_PKS3_S5_NS_24const_host_device_scalarIT6_EEPKT4_S5_PKS7_SB_S5_SD_S8_SB_S5_SD_SB_PS3_PS7_21rocsparse_index_base_SG_SG_SG_bbb, .Lfunc_end254-_ZN9rocsparseL26csrgemm_fill_block_per_rowILj1024ELj64ELj16384ELj137ELj64Eli21rocsparse_complex_numIdEEEvT5_PKS3_S5_NS_24const_host_device_scalarIT6_EEPKT4_S5_PKS7_SB_S5_SD_S8_SB_S5_SD_SB_PS3_PS7_21rocsparse_index_base_SG_SG_SG_bbb
                                        ; -- End function
	.section	.AMDGPU.csdata,"",@progbits
; Kernel info:
; codeLenInByte = 3756
; NumSgprs: 73
; NumVgprs: 38
; NumAgprs: 0
; TotalNumVgprs: 38
; ScratchSize: 40
; MemoryBound: 0
; FloatMode: 240
; IeeeMode: 1
; LDSByteSize: 0 bytes/workgroup (compile time only)
; SGPRBlocks: 9
; VGPRBlocks: 4
; NumSGPRsForWavesPerEU: 73
; NumVGPRsForWavesPerEU: 38
; AccumOffset: 40
; Occupancy: 8
; WaveLimiterHint : 1
; COMPUTE_PGM_RSRC2:SCRATCH_EN: 1
; COMPUTE_PGM_RSRC2:USER_SGPR: 8
; COMPUTE_PGM_RSRC2:TRAP_HANDLER: 0
; COMPUTE_PGM_RSRC2:TGID_X_EN: 1
; COMPUTE_PGM_RSRC2:TGID_Y_EN: 0
; COMPUTE_PGM_RSRC2:TGID_Z_EN: 0
; COMPUTE_PGM_RSRC2:TIDIG_COMP_CNT: 0
; COMPUTE_PGM_RSRC3_GFX90A:ACCUM_OFFSET: 9
; COMPUTE_PGM_RSRC3_GFX90A:TG_SPLIT: 0
	.section	.text._ZN9rocsparseL26csrgemm_fill_block_per_rowILj1024ELj64ELj32768ELj137ELj32Eli21rocsparse_complex_numIdEEEvT5_PKS3_S5_NS_24const_host_device_scalarIT6_EEPKT4_S5_PKS7_SB_S5_SD_S8_SB_S5_SD_SB_PS3_PS7_21rocsparse_index_base_SG_SG_SG_bbb,"axG",@progbits,_ZN9rocsparseL26csrgemm_fill_block_per_rowILj1024ELj64ELj32768ELj137ELj32Eli21rocsparse_complex_numIdEEEvT5_PKS3_S5_NS_24const_host_device_scalarIT6_EEPKT4_S5_PKS7_SB_S5_SD_S8_SB_S5_SD_SB_PS3_PS7_21rocsparse_index_base_SG_SG_SG_bbb,comdat
	.globl	_ZN9rocsparseL26csrgemm_fill_block_per_rowILj1024ELj64ELj32768ELj137ELj32Eli21rocsparse_complex_numIdEEEvT5_PKS3_S5_NS_24const_host_device_scalarIT6_EEPKT4_S5_PKS7_SB_S5_SD_S8_SB_S5_SD_SB_PS3_PS7_21rocsparse_index_base_SG_SG_SG_bbb ; -- Begin function _ZN9rocsparseL26csrgemm_fill_block_per_rowILj1024ELj64ELj32768ELj137ELj32Eli21rocsparse_complex_numIdEEEvT5_PKS3_S5_NS_24const_host_device_scalarIT6_EEPKT4_S5_PKS7_SB_S5_SD_S8_SB_S5_SD_SB_PS3_PS7_21rocsparse_index_base_SG_SG_SG_bbb
	.p2align	8
	.type	_ZN9rocsparseL26csrgemm_fill_block_per_rowILj1024ELj64ELj32768ELj137ELj32Eli21rocsparse_complex_numIdEEEvT5_PKS3_S5_NS_24const_host_device_scalarIT6_EEPKT4_S5_PKS7_SB_S5_SD_S8_SB_S5_SD_SB_PS3_PS7_21rocsparse_index_base_SG_SG_SG_bbb,@function
_ZN9rocsparseL26csrgemm_fill_block_per_rowILj1024ELj64ELj32768ELj137ELj32Eli21rocsparse_complex_numIdEEEvT5_PKS3_S5_NS_24const_host_device_scalarIT6_EEPKT4_S5_PKS7_SB_S5_SD_S8_SB_S5_SD_SB_PS3_PS7_21rocsparse_index_base_SG_SG_SG_bbb: ; @_ZN9rocsparseL26csrgemm_fill_block_per_rowILj1024ELj64ELj32768ELj137ELj32Eli21rocsparse_complex_numIdEEEvT5_PKS3_S5_NS_24const_host_device_scalarIT6_EEPKT4_S5_PKS7_SB_S5_SD_S8_SB_S5_SD_SB_PS3_PS7_21rocsparse_index_base_SG_SG_SG_bbb
; %bb.0:
	s_add_u32 flat_scratch_lo, s6, s9
	s_addc_u32 flat_scratch_hi, s7, 0
	s_load_dwordx4 s[12:15], s[4:5], 0x18
	s_load_dwordx4 s[28:31], s[4:5], 0x58
	s_add_u32 s0, s0, s9
	s_load_dword s9, s[4:5], 0xa8
	s_load_dwordx4 s[72:75], s[4:5], 0x98
	s_addc_u32 s1, s1, 0
	s_waitcnt lgkmcnt(0)
	v_mov_b32_e32 v1, s13
	buffer_store_dword v1, off, s[0:3], 0 offset:20
	s_bitcmp1_b32 s9, 0
	s_cselect_b64 s[36:37], -1, 0
	s_bitcmp1_b32 s9, 16
	v_mov_b32_e32 v1, s12
	s_cselect_b64 s[6:7], -1, 0
	buffer_store_dword v1, off, s[0:3], 0 offset:16
	v_mov_b32_e32 v1, s29
	buffer_store_dword v1, off, s[0:3], 0 offset:28
	v_mov_b32_e32 v1, s28
	s_xor_b64 s[10:11], s[6:7], -1
	buffer_store_dword v1, off, s[0:3], 0 offset:24
	v_pk_mov_b32 v[2:3], 0, 0
	v_cndmask_b32_e64 v1, 0, 1, s[10:11]
	s_bitcmp0_b32 s9, 0
	v_cmp_ne_u32_e64 s[10:11], 1, v1
	v_pk_mov_b32 v[6:7], v[2:3], v[2:3] op_sel:[0,1]
	v_pk_mov_b32 v[8:9], v[2:3], v[2:3] op_sel:[0,1]
	s_cbranch_scc1 .LBB255_3
; %bb.1:
	s_mov_b64 s[16:17], src_private_base
	s_and_b64 s[18:19], s[6:7], exec
	s_cselect_b32 s16, s17, s13
	v_mov_b32_e32 v1, 16
	v_mov_b32_e32 v4, s12
	v_cndmask_b32_e64 v4, v4, v1, s[6:7]
	v_mov_b32_e32 v5, s16
	flat_load_dwordx2 v[6:7], v[4:5]
	s_and_b64 vcc, exec, s[10:11]
	v_pk_mov_b32 v[8:9], s[14:15], s[14:15] op_sel:[0,1]
	s_cbranch_vccnz .LBB255_3
; %bb.2:
	v_pk_mov_b32 v[4:5], s[12:13], s[12:13] op_sel:[0,1]
	flat_load_dwordx2 v[8:9], v[4:5] offset:8
.LBB255_3:
	s_load_dwordx4 s[12:15], s[4:5], 0x88
                                        ; implicit-def: $vgpr36 : SGPR spill to VGPR lane
	s_bitcmp1_b32 s9, 8
	s_cselect_b64 s[34:35], -1, 0
	s_bfe_u32 s9, s9, 0x10008
	s_mov_b64 s[38:39], 0
	s_waitcnt lgkmcnt(0)
	v_writelane_b32 v36, s12, 0
	v_writelane_b32 v36, s13, 1
	;; [unrolled: 1-line block ×4, first 2 shown]
	s_load_dwordx8 s[12:19], s[4:5], 0x68
	s_cmp_eq_u32 s9, 0
	v_pk_mov_b32 v[4:5], v[2:3], v[2:3] op_sel:[0,1]
	s_waitcnt lgkmcnt(0)
	v_writelane_b32 v36, s12, 4
	v_writelane_b32 v36, s13, 5
	;; [unrolled: 1-line block ×8, first 2 shown]
	s_load_dwordx4 s[20:23], s[4:5], 0x48
	s_load_dwordx4 s[24:27], s[4:5], 0x8
	s_load_dwordx8 s[12:19], s[4:5], 0x28
	s_cbranch_scc1 .LBB255_6
; %bb.4:
	s_mov_b64 s[40:41], src_private_base
	s_and_b64 s[42:43], s[6:7], exec
	s_cselect_b32 s9, s41, s29
	v_mov_b32_e32 v1, 24
	v_mov_b32_e32 v2, s28
	v_cndmask_b32_e64 v2, v2, v1, s[6:7]
	v_mov_b32_e32 v3, s9
	flat_load_dwordx2 v[4:5], v[2:3]
	s_and_b64 vcc, exec, s[10:11]
	v_pk_mov_b32 v[2:3], s[30:31], s[30:31] op_sel:[0,1]
	s_cbranch_vccnz .LBB255_6
; %bb.5:
	v_pk_mov_b32 v[2:3], s[28:29], s[28:29] op_sel:[0,1]
	flat_load_dwordx2 v[2:3], v[2:3] offset:8
.LBB255_6:
	s_load_dword s33, s[4:5], 0x0
	v_lshlrev_b32_e32 v10, 4, v0
	s_mov_b32 s4, 0
	v_or_b32_e32 v1, 0xfffffc00, v0
	v_add_u32_e32 v25, 0, v10
	v_lshl_add_u32 v24, v0, 2, 0
	s_mov_b32 s5, s4
	s_mov_b32 s6, s4
	s_mov_b32 s7, s4
	v_add_u32_e32 v14, 0x20008, v25
	s_waitcnt lgkmcnt(0)
	v_mov_b32_e32 v15, s33
	v_pk_mov_b32 v[10:11], s[4:5], s[4:5] op_sel:[0,1]
	v_pk_mov_b32 v[12:13], s[6:7], s[6:7] op_sel:[0,1]
	s_movk_i32 s4, 0x7bff
	v_mov_b32_e32 v16, v24
	v_mov_b32_e32 v17, v1
.LBB255_7:                              ; =>This Inner Loop Header: Depth=1
	v_add_u32_e32 v17, 0x400, v17
	v_cmp_lt_u32_e32 vcc, s4, v17
	ds_write_b32 v16, v15
	v_add_u32_e32 v18, -8, v14
	v_add_u32_e32 v14, 0x4000, v14
	v_add_u32_e32 v16, 0x1000, v16
	s_or_b64 s[38:39], vcc, s[38:39]
	ds_write2_b64 v18, v[10:11], v[12:13] offset1:1
	s_andn2_b64 exec, exec, s[38:39]
	s_cbranch_execnz .LBB255_7
; %bb.8:
	s_or_b64 exec, exec, s[38:39]
	s_waitcnt lgkmcnt(0)
	s_barrier
	s_load_dword s4, s[24:25], 0x0
	s_mov_b32 s5, 0
	s_waitcnt lgkmcnt(0)
	s_add_i32 s4, s4, s8
	s_lshl_b64 s[4:5], s[4:5], 2
	s_add_u32 s4, s26, s4
	s_addc_u32 s5, s27, s5
	s_load_dword s4, s[4:5], 0x0
	s_and_b64 vcc, exec, s[36:37]
	s_waitcnt lgkmcnt(0)
	v_writelane_b32 v36, s4, 12
	v_writelane_b32 v36, s5, 13
	s_cbranch_vccz .LBB255_28
; %bb.9:
	v_readlane_b32 s4, v36, 12
	v_readlane_b32 s5, v36, 13
	s_mov_b32 s6, s4
	s_ashr_i32 s7, s4, 31
	v_writelane_b32 v36, s4, 12
	v_writelane_b32 v36, s5, 13
	s_lshl_b64 s[4:5], s[6:7], 3
	s_add_u32 s4, s12, s4
	s_addc_u32 s5, s13, s5
	s_load_dwordx4 s[8:11], s[4:5], 0x0
	v_lshrrev_b32_e32 v10, 6, v0
	v_subrev_co_u32_e32 v10, vcc, s72, v10
	v_subb_co_u32_e64 v11, s[6:7], 0, 0, vcc
	s_waitcnt lgkmcnt(0)
	s_sub_u32 s4, s10, s72
	v_mov_b32_e32 v12, s9
	v_add_co_u32_e32 v10, vcc, s8, v10
	s_subb_u32 s5, s11, 0
	v_addc_co_u32_e32 v11, vcc, v12, v11, vcc
	v_cmp_gt_i64_e32 vcc, s[4:5], v[10:11]
	s_and_saveexec_b64 s[6:7], vcc
	s_cbranch_execz .LBB255_27
; %bb.10:
	v_and_b32_e32 v12, 63, v0
	v_subrev_co_u32_e32 v26, vcc, s73, v12
	s_mov_b32 s10, 0
	v_subb_co_u32_e64 v27, s[8:9], 0, 0, vcc
	s_mov_b32 s40, s73
	s_mov_b64 s[8:9], 0
	v_mov_b32_e32 v28, s15
	v_mov_b32_e32 v29, s19
	;; [unrolled: 1-line block ×3, first 2 shown]
	s_movk_i32 s15, 0x89
	s_branch .LBB255_12
.LBB255_11:                             ;   in Loop: Header=BB255_12 Depth=1
	s_or_b64 exec, exec, s[10:11]
	v_add_co_u32_e32 v10, vcc, 16, v10
	v_addc_co_u32_e32 v11, vcc, 0, v11, vcc
	v_cmp_le_i64_e32 vcc, s[4:5], v[10:11]
	s_or_b64 s[8:9], vcc, s[8:9]
	s_andn2_b64 exec, exec, s[8:9]
	s_cbranch_execz .LBB255_27
.LBB255_12:                             ; =>This Loop Header: Depth=1
                                        ;     Child Loop BB255_15 Depth 2
                                        ;       Child Loop BB255_17 Depth 3
	v_lshlrev_b64 v[12:13], 2, v[10:11]
	v_add_co_u32_e32 v12, vcc, s14, v12
	v_addc_co_u32_e32 v13, vcc, v28, v13, vcc
	global_load_dword v12, v[12:13], off
	s_waitcnt vmcnt(0)
	v_subrev_u32_e32 v12, s72, v12
	v_ashrrev_i32_e32 v13, 31, v12
	v_lshlrev_b64 v[12:13], 3, v[12:13]
	v_add_co_u32_e32 v12, vcc, s18, v12
	v_addc_co_u32_e32 v13, vcc, v29, v13, vcc
	global_load_dwordx4 v[14:17], v[12:13], off
	s_waitcnt vmcnt(0)
	v_subrev_co_u32_e32 v12, vcc, s40, v16
	v_subb_co_u32_e32 v13, vcc, v17, v30, vcc
	v_add_co_u32_e32 v14, vcc, v14, v26
	v_addc_co_u32_e32 v15, vcc, v15, v27, vcc
	v_cmp_lt_i64_e32 vcc, v[14:15], v[12:13]
	s_and_saveexec_b64 s[10:11], vcc
	s_cbranch_execz .LBB255_11
; %bb.13:                               ;   in Loop: Header=BB255_12 Depth=1
	v_lshlrev_b64 v[16:17], 4, v[10:11]
	v_mov_b32_e32 v18, s17
	v_add_co_u32_e32 v16, vcc, s16, v16
	v_addc_co_u32_e32 v17, vcc, v18, v17, vcc
	global_load_dwordx4 v[20:23], v[16:17], off
	s_mov_b64 s[12:13], 0
	s_waitcnt vmcnt(0)
	v_mul_f64 v[16:17], v[22:23], -v[8:9]
	v_mul_f64 v[18:19], v[6:7], v[22:23]
	v_fmac_f64_e32 v[16:17], v[6:7], v[20:21]
	v_fmac_f64_e32 v[18:19], v[8:9], v[20:21]
	s_branch .LBB255_15
.LBB255_14:                             ;   in Loop: Header=BB255_15 Depth=2
	s_or_b64 exec, exec, s[24:25]
	v_add_co_u32_e32 v14, vcc, 64, v14
	v_addc_co_u32_e32 v15, vcc, 0, v15, vcc
	v_cmp_ge_i64_e32 vcc, v[14:15], v[12:13]
	s_or_b64 s[12:13], vcc, s[12:13]
	s_andn2_b64 exec, exec, s[12:13]
	s_cbranch_execz .LBB255_11
.LBB255_15:                             ;   Parent Loop BB255_12 Depth=1
                                        ; =>  This Loop Header: Depth=2
                                        ;       Child Loop BB255_17 Depth 3
	v_lshlrev_b64 v[20:21], 2, v[14:15]
	v_mov_b32_e32 v22, s21
	v_add_co_u32_e32 v20, vcc, s20, v20
	v_addc_co_u32_e32 v21, vcc, v22, v21, vcc
	global_load_dword v22, v[20:21], off
	v_lshlrev_b64 v[20:21], 4, v[14:15]
	v_mov_b32_e32 v23, s23
	v_add_co_u32_e32 v20, vcc, s22, v20
	v_addc_co_u32_e32 v21, vcc, v23, v21, vcc
	global_load_dwordx4 v[32:35], v[20:21], off
	s_mov_b64 s[24:25], 0
	s_waitcnt vmcnt(1)
	v_subrev_u32_e32 v31, s73, v22
	s_waitcnt vmcnt(0)
	v_mul_f64 v[20:21], v[34:35], -v[18:19]
	v_mul_f64 v[22:23], v[16:17], v[34:35]
	v_fmac_f64_e32 v[20:21], v[16:17], v[32:33]
	v_fmac_f64_e32 v[22:23], v[18:19], v[32:33]
	v_mul_lo_u32 v32, v31, s15
	v_and_b32_e32 v32, 0x7fff, v32
	s_branch .LBB255_17
.LBB255_16:                             ;   in Loop: Header=BB255_17 Depth=3
	s_or_b64 exec, exec, s[26:27]
	s_xor_b64 s[26:27], s[28:29], -1
	s_and_b64 s[26:27], exec, s[26:27]
	s_or_b64 s[24:25], s[26:27], s[24:25]
	s_andn2_b64 exec, exec, s[24:25]
	s_cbranch_execz .LBB255_14
.LBB255_17:                             ;   Parent Loop BB255_12 Depth=1
                                        ;     Parent Loop BB255_15 Depth=2
                                        ; =>    This Inner Loop Header: Depth=3
	v_lshl_add_u32 v33, v32, 2, 0
	ds_read_b32 v34, v33
                                        ; implicit-def: $sgpr28_sgpr29
	s_waitcnt lgkmcnt(0)
	v_cmp_ne_u32_e32 vcc, v34, v31
	s_and_saveexec_b64 s[26:27], vcc
	s_xor_b64 s[26:27], exec, s[26:27]
	s_cbranch_execz .LBB255_25
; %bb.18:                               ;   in Loop: Header=BB255_17 Depth=3
	v_cmp_ne_u32_e32 vcc, s33, v34
                                        ; implicit-def: $sgpr28_sgpr29
	s_and_saveexec_b64 s[30:31], vcc
	s_xor_b64 s[30:31], exec, s[30:31]
; %bb.19:                               ;   in Loop: Header=BB255_17 Depth=3
	v_add_u32_e32 v32, 1, v32
	v_and_b32_e32 v32, 0x7fff, v32
	s_mov_b64 s[28:29], -1
                                        ; implicit-def: $vgpr33
; %bb.20:                               ;   in Loop: Header=BB255_17 Depth=3
	s_andn2_saveexec_b64 s[30:31], s[30:31]
	s_cbranch_execz .LBB255_24
; %bb.21:                               ;   in Loop: Header=BB255_17 Depth=3
	v_mov_b32_e32 v34, s33
	ds_cmpst_rtn_b32 v33, v33, v34, v31
	s_mov_b64 s[38:39], -1
	s_waitcnt lgkmcnt(0)
	v_cmp_eq_u32_e32 vcc, s33, v33
	s_and_saveexec_b64 s[36:37], vcc
	s_cbranch_execz .LBB255_23
; %bb.22:                               ;   in Loop: Header=BB255_17 Depth=3
	v_lshl_add_u32 v33, v32, 4, 0
	v_add_u32_e32 v33, 0x20000, v33
	ds_add_f64 v33, v[20:21]
	ds_add_f64 v33, v[22:23] offset:8
	s_xor_b64 s[38:39], exec, -1
.LBB255_23:                             ;   in Loop: Header=BB255_17 Depth=3
	s_or_b64 exec, exec, s[36:37]
	s_andn2_b64 s[28:29], s[28:29], exec
	s_and_b64 s[36:37], s[38:39], exec
	s_or_b64 s[28:29], s[28:29], s[36:37]
.LBB255_24:                             ;   in Loop: Header=BB255_17 Depth=3
	s_or_b64 exec, exec, s[30:31]
	s_and_b64 s[28:29], s[28:29], exec
.LBB255_25:                             ;   in Loop: Header=BB255_17 Depth=3
	s_andn2_saveexec_b64 s[26:27], s[26:27]
	s_cbranch_execz .LBB255_16
; %bb.26:                               ;   in Loop: Header=BB255_17 Depth=3
	v_lshl_add_u32 v33, v32, 4, 0
	v_add_u32_e32 v33, 0x20000, v33
	ds_add_f64 v33, v[20:21]
	ds_add_f64 v33, v[22:23] offset:8
	s_andn2_b64 s[28:29], s[28:29], exec
	s_branch .LBB255_16
.LBB255_27:
	s_or_b64 exec, exec, s[6:7]
.LBB255_28:
	s_andn2_b64 vcc, exec, s[34:35]
	s_cbranch_vccnz .LBB255_45
; %bb.29:
	v_readlane_b32 s4, v36, 12
	v_readlane_b32 s5, v36, 13
	s_mov_b32 s6, s4
	s_ashr_i32 s7, s4, 31
	v_writelane_b32 v36, s4, 12
	v_writelane_b32 v36, s5, 13
	s_lshl_b64 s[4:5], s[6:7], 3
	v_readlane_b32 s8, v36, 4
	v_readlane_b32 s9, v36, 5
	s_add_u32 s4, s8, s4
	v_readlane_b32 s10, v36, 6
	v_readlane_b32 s11, v36, 7
	s_addc_u32 s5, s9, s5
	s_load_dwordx4 s[8:11], s[4:5], 0x0
	s_waitcnt vmcnt(0)
	v_subrev_co_u32_e32 v6, vcc, s75, v0
	v_subb_co_u32_e64 v7, s[4:5], 0, 0, vcc
	s_waitcnt lgkmcnt(0)
	s_sub_u32 s4, s10, s75
	v_mov_b32_e32 v8, s9
	v_add_co_u32_e32 v6, vcc, s8, v6
	s_subb_u32 s5, s11, 0
	v_addc_co_u32_e32 v7, vcc, v8, v7, vcc
	v_cmp_gt_i64_e32 vcc, s[4:5], v[6:7]
	v_readlane_b32 s12, v36, 8
	v_readlane_b32 s13, v36, 9
	;; [unrolled: 1-line block ×4, first 2 shown]
	s_and_saveexec_b64 s[6:7], vcc
	s_cbranch_execz .LBB255_44
; %bb.30:
	v_readlane_b32 s12, v36, 4
	v_readlane_b32 s13, v36, 5
	;; [unrolled: 1-line block ×8, first 2 shown]
	s_mov_b64 s[10:11], s[14:15]
	s_mov_b64 s[12:13], s[16:17]
	;; [unrolled: 1-line block ×3, first 2 shown]
	v_mov_b32_e32 v12, s11
	v_mov_b32_e32 v13, s13
	s_movk_i32 s22, 0x89
	s_mov_b64 s[14:15], s[18:19]
	s_branch .LBB255_32
.LBB255_31:                             ;   in Loop: Header=BB255_32 Depth=1
	s_or_b64 exec, exec, s[10:11]
	v_add_co_u32_e32 v6, vcc, 0x400, v6
	v_addc_co_u32_e32 v7, vcc, 0, v7, vcc
	v_cmp_le_i64_e32 vcc, s[4:5], v[6:7]
	s_or_b64 s[8:9], vcc, s[8:9]
	s_andn2_b64 exec, exec, s[8:9]
	s_cbranch_execz .LBB255_44
.LBB255_32:                             ; =>This Loop Header: Depth=1
                                        ;     Child Loop BB255_34 Depth 2
	v_readlane_b32 s12, v36, 4
	v_readlane_b32 s14, v36, 6
	v_lshlrev_b64 v[8:9], 2, v[6:7]
	s_mov_b32 s10, s14
	v_add_co_u32_e32 v8, vcc, s10, v8
	v_readlane_b32 s16, v36, 8
	v_addc_co_u32_e32 v9, vcc, v12, v9, vcc
	s_mov_b32 s12, s16
	global_load_dword v10, v[8:9], off
	v_lshlrev_b64 v[8:9], 4, v[6:7]
	v_add_co_u32_e32 v8, vcc, s12, v8
	v_addc_co_u32_e32 v9, vcc, v13, v9, vcc
	global_load_dwordx4 v[16:19], v[8:9], off
	s_mov_b64 s[10:11], 0
	v_readlane_b32 s13, v36, 5
	v_readlane_b32 s15, v36, 7
	;; [unrolled: 1-line block ×5, first 2 shown]
	s_waitcnt vmcnt(1)
	v_subrev_u32_e32 v14, s75, v10
	v_mul_lo_u32 v15, v14, s22
	v_and_b32_e32 v15, 0x7fff, v15
	s_waitcnt vmcnt(0)
	v_mul_f64 v[8:9], v[18:19], -v[2:3]
	v_mul_f64 v[10:11], v[4:5], v[18:19]
	v_fmac_f64_e32 v[8:9], v[4:5], v[16:17]
	v_fmac_f64_e32 v[10:11], v[2:3], v[16:17]
	s_branch .LBB255_34
.LBB255_33:                             ;   in Loop: Header=BB255_34 Depth=2
	s_or_b64 exec, exec, s[12:13]
	s_xor_b64 s[12:13], s[14:15], -1
	s_and_b64 s[12:13], exec, s[12:13]
	s_or_b64 s[10:11], s[12:13], s[10:11]
	s_andn2_b64 exec, exec, s[10:11]
	s_cbranch_execz .LBB255_31
.LBB255_34:                             ;   Parent Loop BB255_32 Depth=1
                                        ; =>  This Inner Loop Header: Depth=2
	v_lshl_add_u32 v16, v15, 2, 0
	ds_read_b32 v17, v16
                                        ; implicit-def: $sgpr14_sgpr15
	s_waitcnt lgkmcnt(0)
	v_cmp_ne_u32_e32 vcc, v17, v14
	s_and_saveexec_b64 s[12:13], vcc
	s_xor_b64 s[12:13], exec, s[12:13]
	s_cbranch_execz .LBB255_42
; %bb.35:                               ;   in Loop: Header=BB255_34 Depth=2
	v_cmp_ne_u32_e32 vcc, s33, v17
                                        ; implicit-def: $sgpr14_sgpr15
	s_and_saveexec_b64 s[16:17], vcc
	s_xor_b64 s[16:17], exec, s[16:17]
; %bb.36:                               ;   in Loop: Header=BB255_34 Depth=2
	v_add_u32_e32 v15, 1, v15
	v_and_b32_e32 v15, 0x7fff, v15
	s_mov_b64 s[14:15], -1
                                        ; implicit-def: $vgpr16
; %bb.37:                               ;   in Loop: Header=BB255_34 Depth=2
	s_andn2_saveexec_b64 s[16:17], s[16:17]
	s_cbranch_execz .LBB255_41
; %bb.38:                               ;   in Loop: Header=BB255_34 Depth=2
	v_mov_b32_e32 v17, s33
	ds_cmpst_rtn_b32 v16, v16, v17, v14
	s_mov_b64 s[20:21], -1
	s_waitcnt lgkmcnt(0)
	v_cmp_eq_u32_e32 vcc, s33, v16
	s_and_saveexec_b64 s[18:19], vcc
	s_cbranch_execz .LBB255_40
; %bb.39:                               ;   in Loop: Header=BB255_34 Depth=2
	v_lshl_add_u32 v16, v15, 4, 0
	v_add_u32_e32 v16, 0x20000, v16
	ds_add_f64 v16, v[8:9]
	ds_add_f64 v16, v[10:11] offset:8
	s_xor_b64 s[20:21], exec, -1
.LBB255_40:                             ;   in Loop: Header=BB255_34 Depth=2
	s_or_b64 exec, exec, s[18:19]
	s_andn2_b64 s[14:15], s[14:15], exec
	s_and_b64 s[18:19], s[20:21], exec
	s_or_b64 s[14:15], s[14:15], s[18:19]
.LBB255_41:                             ;   in Loop: Header=BB255_34 Depth=2
	s_or_b64 exec, exec, s[16:17]
	s_and_b64 s[14:15], s[14:15], exec
.LBB255_42:                             ;   in Loop: Header=BB255_34 Depth=2
	s_andn2_saveexec_b64 s[12:13], s[12:13]
	s_cbranch_execz .LBB255_33
; %bb.43:                               ;   in Loop: Header=BB255_34 Depth=2
	v_lshl_add_u32 v16, v15, 4, 0
	v_add_u32_e32 v16, 0x20000, v16
	ds_add_f64 v16, v[8:9]
	ds_add_f64 v16, v[10:11] offset:8
	s_andn2_b64 s[14:15], s[14:15], exec
	s_branch .LBB255_33
.LBB255_44:
	s_or_b64 exec, exec, s[6:7]
.LBB255_45:
	s_add_i32 s4, 0, 0xa0000
	v_writelane_b32 v36, s4, 14
	s_add_i32 s64, 0, 0xa0004
	v_writelane_b32 v36, s64, 15
	;; [unrolled: 2-line block ×5, first 2 shown]
	s_add_i32 s64, 0, 0xa0014
	s_waitcnt vmcnt(0)
	v_lshrrev_b32_e32 v5, 3, v0
	v_writelane_b32 v36, s64, 19
	s_add_i32 s64, 0, 0xa0018
	v_mbcnt_lo_u32_b32 v2, -1, 0
	v_and_b32_e32 v5, 0x7c, v5
	v_writelane_b32 v36, s64, 20
	s_add_i32 s64, 0, 0xa001c
	v_mbcnt_hi_u32_b32 v2, -1, v2
	v_add_u32_e32 v5, s4, v5
	s_movk_i32 s4, 0x3ff
	v_writelane_b32 v36, s64, 21
	s_add_i32 s64, 0, 0xa0020
	v_sub_u32_e32 v2, 63, v2
	v_cmp_eq_u32_e32 vcc, s4, v0
	s_movk_i32 s4, 0x5f
	s_movk_i32 s6, 0x7f
	;; [unrolled: 1-line block ×29, first 2 shown]
	v_writelane_b32 v36, s64, 22
	s_add_i32 s64, 0, 0xa0024
	v_mov_b32_e32 v4, 0
	v_lshrrev_b64 v[2:3], v2, -1
	v_cmp_lt_u32_e64 s[4:5], s4, v0
	v_cmp_lt_u32_e64 s[6:7], s6, v0
	;; [unrolled: 1-line block ×29, first 2 shown]
	v_add_u32_e32 v6, 0x20000, v25
	v_writelane_b32 v36, s64, 23
	s_add_i32 s92, 0, 0xa0028
	s_add_i32 s93, 0, 0xa002c
	s_add_i32 s94, 0, 0xa0030
	s_add_i32 s95, 0, 0xa0034
	s_add_i32 s96, 0, 0xa0038
	s_add_i32 s97, 0, 0xa003c
	s_add_i32 s98, 0, 0xa0040
	s_add_i32 s99, 0, 0xa0044
	s_add_i32 s80, 0, 0xa0048
	s_add_i32 s70, 0, 0xa004c
	s_add_i32 s71, 0, 0xa0050
	s_add_i32 s76, 0, 0xa0054
	s_add_i32 s77, 0, 0xa0058
	s_add_i32 s78, 0, 0xa005c
	s_add_i32 s79, 0, 0xa0060
	s_add_i32 s75, 0, 0xa0064
	s_add_i32 s81, 0, 0xa0068
	s_add_i32 s84, 0, 0xa006c
	s_add_i32 s85, 0, 0xa0070
	s_add_i32 s86, 0, 0xa0074
	s_add_i32 s87, 0, 0xa0078
	s_add_i32 s88, 0, 0xa007c
	s_movk_i32 s89, 0x7bff
	v_cmp_lt_u32_e64 s[64:65], 31, v0
	v_cmp_lt_u32_e64 s[66:67], 63, v0
	s_mov_b64 s[72:73], 0
	s_waitcnt lgkmcnt(0)
	s_barrier
	s_branch .LBB255_47
.LBB255_46:                             ;   in Loop: Header=BB255_47 Depth=1
	s_or_b64 exec, exec, s[68:69]
	v_mov_b32_e32 v7, s88
	s_waitcnt lgkmcnt(0)
	s_barrier
	ds_read_b32 v7, v7
	v_add_u32_e32 v1, 0x400, v1
	v_cmp_lt_u32_e64 s[68:69], s89, v1
	v_add_u32_e32 v6, 0x4000, v6
	s_or_b64 s[72:73], s[68:69], s[72:73]
	s_waitcnt lgkmcnt(0)
	v_add_u32_e32 v4, v7, v4
	v_add_u32_e32 v24, 0x1000, v24
	s_andn2_b64 exec, exec, s[72:73]
	s_cbranch_execz .LBB255_113
.LBB255_47:                             ; =>This Inner Loop Header: Depth=1
	ds_read2_b64 v[10:13], v6 offset1:1
	ds_read_b32 v8, v24
	s_waitcnt lgkmcnt(1)
	buffer_store_dword v13, off, s[0:3], 0 offset:12
	buffer_store_dword v12, off, s[0:3], 0 offset:8
	;; [unrolled: 1-line block ×3, first 2 shown]
	buffer_store_dword v10, off, s[0:3], 0
	s_waitcnt lgkmcnt(0)
	v_cmp_gt_i32_e64 s[68:69], s33, v8
	v_and_b32_e32 v9, s68, v2
	s_bcnt1_i32_b64 s82, s[68:69]
	v_and_b32_e32 v7, s69, v3
	v_bcnt_u32_b32 v9, v9, 0
	v_bcnt_u32_b32 v7, v7, v9
	v_mov_b32_e32 v9, s82
	s_barrier
	ds_write_b32 v5, v9
	s_waitcnt lgkmcnt(0)
	s_barrier
	s_and_saveexec_b64 s[82:83], s[64:65]
	s_cbranch_execnz .LBB255_80
; %bb.48:                               ;   in Loop: Header=BB255_47 Depth=1
	s_or_b64 exec, exec, s[82:83]
	s_and_saveexec_b64 s[82:83], s[66:67]
	s_cbranch_execnz .LBB255_81
.LBB255_49:                             ;   in Loop: Header=BB255_47 Depth=1
	s_or_b64 exec, exec, s[82:83]
	s_and_saveexec_b64 s[82:83], s[4:5]
	s_cbranch_execnz .LBB255_82
.LBB255_50:                             ;   in Loop: Header=BB255_47 Depth=1
	s_or_b64 exec, exec, s[82:83]
	s_and_saveexec_b64 s[82:83], s[6:7]
	s_cbranch_execnz .LBB255_83
.LBB255_51:                             ;   in Loop: Header=BB255_47 Depth=1
	s_or_b64 exec, exec, s[82:83]
	s_and_saveexec_b64 s[82:83], s[8:9]
	s_cbranch_execnz .LBB255_84
.LBB255_52:                             ;   in Loop: Header=BB255_47 Depth=1
	s_or_b64 exec, exec, s[82:83]
	s_and_saveexec_b64 s[82:83], s[10:11]
	s_cbranch_execnz .LBB255_85
.LBB255_53:                             ;   in Loop: Header=BB255_47 Depth=1
	s_or_b64 exec, exec, s[82:83]
	s_and_saveexec_b64 s[82:83], s[12:13]
	s_cbranch_execnz .LBB255_86
.LBB255_54:                             ;   in Loop: Header=BB255_47 Depth=1
	s_or_b64 exec, exec, s[82:83]
	s_and_saveexec_b64 s[82:83], s[14:15]
	s_cbranch_execnz .LBB255_87
.LBB255_55:                             ;   in Loop: Header=BB255_47 Depth=1
	s_or_b64 exec, exec, s[82:83]
	s_and_saveexec_b64 s[82:83], s[16:17]
	s_cbranch_execnz .LBB255_88
.LBB255_56:                             ;   in Loop: Header=BB255_47 Depth=1
	s_or_b64 exec, exec, s[82:83]
	s_and_saveexec_b64 s[82:83], s[18:19]
	s_cbranch_execnz .LBB255_89
.LBB255_57:                             ;   in Loop: Header=BB255_47 Depth=1
	s_or_b64 exec, exec, s[82:83]
	s_and_saveexec_b64 s[82:83], s[20:21]
	s_cbranch_execnz .LBB255_90
.LBB255_58:                             ;   in Loop: Header=BB255_47 Depth=1
	s_or_b64 exec, exec, s[82:83]
	s_and_saveexec_b64 s[82:83], s[22:23]
	s_cbranch_execnz .LBB255_91
.LBB255_59:                             ;   in Loop: Header=BB255_47 Depth=1
	s_or_b64 exec, exec, s[82:83]
	s_and_saveexec_b64 s[82:83], s[24:25]
	s_cbranch_execnz .LBB255_92
.LBB255_60:                             ;   in Loop: Header=BB255_47 Depth=1
	s_or_b64 exec, exec, s[82:83]
	s_and_saveexec_b64 s[82:83], s[26:27]
	s_cbranch_execnz .LBB255_93
.LBB255_61:                             ;   in Loop: Header=BB255_47 Depth=1
	s_or_b64 exec, exec, s[82:83]
	s_and_saveexec_b64 s[82:83], s[28:29]
	s_cbranch_execnz .LBB255_94
.LBB255_62:                             ;   in Loop: Header=BB255_47 Depth=1
	s_or_b64 exec, exec, s[82:83]
	s_and_saveexec_b64 s[82:83], s[30:31]
	s_cbranch_execnz .LBB255_95
.LBB255_63:                             ;   in Loop: Header=BB255_47 Depth=1
	s_or_b64 exec, exec, s[82:83]
	s_and_saveexec_b64 s[82:83], s[34:35]
	s_cbranch_execnz .LBB255_96
.LBB255_64:                             ;   in Loop: Header=BB255_47 Depth=1
	s_or_b64 exec, exec, s[82:83]
	s_and_saveexec_b64 s[82:83], s[36:37]
	s_cbranch_execnz .LBB255_97
.LBB255_65:                             ;   in Loop: Header=BB255_47 Depth=1
	s_or_b64 exec, exec, s[82:83]
	s_and_saveexec_b64 s[82:83], s[38:39]
	s_cbranch_execnz .LBB255_98
.LBB255_66:                             ;   in Loop: Header=BB255_47 Depth=1
	s_or_b64 exec, exec, s[82:83]
	s_and_saveexec_b64 s[82:83], s[40:41]
	s_cbranch_execnz .LBB255_99
.LBB255_67:                             ;   in Loop: Header=BB255_47 Depth=1
	s_or_b64 exec, exec, s[82:83]
	s_and_saveexec_b64 s[82:83], s[42:43]
	s_cbranch_execnz .LBB255_100
.LBB255_68:                             ;   in Loop: Header=BB255_47 Depth=1
	s_or_b64 exec, exec, s[82:83]
	s_and_saveexec_b64 s[82:83], s[44:45]
	s_cbranch_execnz .LBB255_101
.LBB255_69:                             ;   in Loop: Header=BB255_47 Depth=1
	s_or_b64 exec, exec, s[82:83]
	s_and_saveexec_b64 s[82:83], s[46:47]
	s_cbranch_execnz .LBB255_102
.LBB255_70:                             ;   in Loop: Header=BB255_47 Depth=1
	s_or_b64 exec, exec, s[82:83]
	s_and_saveexec_b64 s[82:83], s[48:49]
	s_cbranch_execnz .LBB255_103
.LBB255_71:                             ;   in Loop: Header=BB255_47 Depth=1
	s_or_b64 exec, exec, s[82:83]
	s_and_saveexec_b64 s[82:83], s[50:51]
	s_cbranch_execnz .LBB255_104
.LBB255_72:                             ;   in Loop: Header=BB255_47 Depth=1
	s_or_b64 exec, exec, s[82:83]
	s_and_saveexec_b64 s[82:83], s[52:53]
	s_cbranch_execnz .LBB255_105
.LBB255_73:                             ;   in Loop: Header=BB255_47 Depth=1
	s_or_b64 exec, exec, s[82:83]
	s_and_saveexec_b64 s[82:83], s[54:55]
	s_cbranch_execnz .LBB255_106
.LBB255_74:                             ;   in Loop: Header=BB255_47 Depth=1
	s_or_b64 exec, exec, s[82:83]
	s_and_saveexec_b64 s[82:83], s[56:57]
	s_cbranch_execnz .LBB255_107
.LBB255_75:                             ;   in Loop: Header=BB255_47 Depth=1
	s_or_b64 exec, exec, s[82:83]
	s_and_saveexec_b64 s[82:83], s[58:59]
	s_cbranch_execnz .LBB255_108
.LBB255_76:                             ;   in Loop: Header=BB255_47 Depth=1
	s_or_b64 exec, exec, s[82:83]
	s_and_saveexec_b64 s[82:83], s[60:61]
	s_cbranch_execnz .LBB255_109
.LBB255_77:                             ;   in Loop: Header=BB255_47 Depth=1
	s_or_b64 exec, exec, s[82:83]
	s_and_saveexec_b64 s[82:83], s[62:63]
	s_cbranch_execnz .LBB255_110
.LBB255_78:                             ;   in Loop: Header=BB255_47 Depth=1
	s_or_b64 exec, exec, s[82:83]
	s_and_saveexec_b64 s[82:83], s[68:69]
	s_cbranch_execnz .LBB255_111
.LBB255_79:                             ;   in Loop: Header=BB255_47 Depth=1
	s_or_b64 exec, exec, s[82:83]
	s_and_saveexec_b64 s[68:69], vcc
	s_cbranch_execz .LBB255_46
	s_branch .LBB255_112
.LBB255_80:                             ;   in Loop: Header=BB255_47 Depth=1
	v_readlane_b32 s90, v36, 14
	v_mov_b32_e32 v9, s90
	ds_read_b32 v9, v9
	s_waitcnt lgkmcnt(0)
	v_add_u32_e32 v7, v9, v7
	s_or_b64 exec, exec, s[82:83]
	s_and_saveexec_b64 s[82:83], s[66:67]
	s_cbranch_execz .LBB255_49
.LBB255_81:                             ;   in Loop: Header=BB255_47 Depth=1
	v_readlane_b32 s90, v36, 15
	v_mov_b32_e32 v9, s90
	ds_read_b32 v9, v9
	s_waitcnt lgkmcnt(0)
	v_add_u32_e32 v7, v9, v7
	s_or_b64 exec, exec, s[82:83]
	s_and_saveexec_b64 s[82:83], s[4:5]
	s_cbranch_execz .LBB255_50
.LBB255_82:                             ;   in Loop: Header=BB255_47 Depth=1
	v_readlane_b32 s90, v36, 16
	v_mov_b32_e32 v9, s90
	ds_read_b32 v9, v9
	s_waitcnt lgkmcnt(0)
	v_add_u32_e32 v7, v9, v7
	s_or_b64 exec, exec, s[82:83]
	s_and_saveexec_b64 s[82:83], s[6:7]
	s_cbranch_execz .LBB255_51
.LBB255_83:                             ;   in Loop: Header=BB255_47 Depth=1
	v_readlane_b32 s90, v36, 17
	v_mov_b32_e32 v9, s90
	ds_read_b32 v9, v9
	s_waitcnt lgkmcnt(0)
	v_add_u32_e32 v7, v9, v7
	s_or_b64 exec, exec, s[82:83]
	s_and_saveexec_b64 s[82:83], s[8:9]
	s_cbranch_execz .LBB255_52
.LBB255_84:                             ;   in Loop: Header=BB255_47 Depth=1
	v_readlane_b32 s90, v36, 18
	v_mov_b32_e32 v9, s90
	ds_read_b32 v9, v9
	s_waitcnt lgkmcnt(0)
	v_add_u32_e32 v7, v9, v7
	s_or_b64 exec, exec, s[82:83]
	s_and_saveexec_b64 s[82:83], s[10:11]
	s_cbranch_execz .LBB255_53
.LBB255_85:                             ;   in Loop: Header=BB255_47 Depth=1
	v_readlane_b32 s90, v36, 19
	v_mov_b32_e32 v9, s90
	ds_read_b32 v9, v9
	s_waitcnt lgkmcnt(0)
	v_add_u32_e32 v7, v9, v7
	s_or_b64 exec, exec, s[82:83]
	s_and_saveexec_b64 s[82:83], s[12:13]
	s_cbranch_execz .LBB255_54
.LBB255_86:                             ;   in Loop: Header=BB255_47 Depth=1
	v_readlane_b32 s90, v36, 20
	v_mov_b32_e32 v9, s90
	ds_read_b32 v9, v9
	s_waitcnt lgkmcnt(0)
	v_add_u32_e32 v7, v9, v7
	s_or_b64 exec, exec, s[82:83]
	s_and_saveexec_b64 s[82:83], s[14:15]
	s_cbranch_execz .LBB255_55
.LBB255_87:                             ;   in Loop: Header=BB255_47 Depth=1
	v_readlane_b32 s90, v36, 21
	v_mov_b32_e32 v9, s90
	ds_read_b32 v9, v9
	s_waitcnt lgkmcnt(0)
	v_add_u32_e32 v7, v9, v7
	s_or_b64 exec, exec, s[82:83]
	s_and_saveexec_b64 s[82:83], s[16:17]
	s_cbranch_execz .LBB255_56
.LBB255_88:                             ;   in Loop: Header=BB255_47 Depth=1
	v_readlane_b32 s90, v36, 22
	v_mov_b32_e32 v9, s90
	ds_read_b32 v9, v9
	s_waitcnt lgkmcnt(0)
	v_add_u32_e32 v7, v9, v7
	s_or_b64 exec, exec, s[82:83]
	s_and_saveexec_b64 s[82:83], s[18:19]
	s_cbranch_execz .LBB255_57
.LBB255_89:                             ;   in Loop: Header=BB255_47 Depth=1
	v_readlane_b32 s90, v36, 23
	v_mov_b32_e32 v9, s90
	ds_read_b32 v9, v9
	s_waitcnt lgkmcnt(0)
	v_add_u32_e32 v7, v9, v7
	s_or_b64 exec, exec, s[82:83]
	s_and_saveexec_b64 s[82:83], s[20:21]
	s_cbranch_execz .LBB255_58
.LBB255_90:                             ;   in Loop: Header=BB255_47 Depth=1
	v_mov_b32_e32 v9, s92
	ds_read_b32 v9, v9
	s_waitcnt lgkmcnt(0)
	v_add_u32_e32 v7, v9, v7
	s_or_b64 exec, exec, s[82:83]
	s_and_saveexec_b64 s[82:83], s[22:23]
	s_cbranch_execz .LBB255_59
.LBB255_91:                             ;   in Loop: Header=BB255_47 Depth=1
	v_mov_b32_e32 v9, s93
	ds_read_b32 v9, v9
	s_waitcnt lgkmcnt(0)
	v_add_u32_e32 v7, v9, v7
	s_or_b64 exec, exec, s[82:83]
	s_and_saveexec_b64 s[82:83], s[24:25]
	s_cbranch_execz .LBB255_60
.LBB255_92:                             ;   in Loop: Header=BB255_47 Depth=1
	v_mov_b32_e32 v9, s94
	ds_read_b32 v9, v9
	s_waitcnt lgkmcnt(0)
	v_add_u32_e32 v7, v9, v7
	s_or_b64 exec, exec, s[82:83]
	s_and_saveexec_b64 s[82:83], s[26:27]
	s_cbranch_execz .LBB255_61
.LBB255_93:                             ;   in Loop: Header=BB255_47 Depth=1
	v_mov_b32_e32 v9, s95
	ds_read_b32 v9, v9
	s_waitcnt lgkmcnt(0)
	v_add_u32_e32 v7, v9, v7
	s_or_b64 exec, exec, s[82:83]
	s_and_saveexec_b64 s[82:83], s[28:29]
	s_cbranch_execz .LBB255_62
.LBB255_94:                             ;   in Loop: Header=BB255_47 Depth=1
	v_mov_b32_e32 v9, s96
	ds_read_b32 v9, v9
	s_waitcnt lgkmcnt(0)
	v_add_u32_e32 v7, v9, v7
	s_or_b64 exec, exec, s[82:83]
	s_and_saveexec_b64 s[82:83], s[30:31]
	s_cbranch_execz .LBB255_63
.LBB255_95:                             ;   in Loop: Header=BB255_47 Depth=1
	v_mov_b32_e32 v9, s97
	ds_read_b32 v9, v9
	s_waitcnt lgkmcnt(0)
	v_add_u32_e32 v7, v9, v7
	s_or_b64 exec, exec, s[82:83]
	s_and_saveexec_b64 s[82:83], s[34:35]
	s_cbranch_execz .LBB255_64
.LBB255_96:                             ;   in Loop: Header=BB255_47 Depth=1
	v_mov_b32_e32 v9, s98
	ds_read_b32 v9, v9
	s_waitcnt lgkmcnt(0)
	v_add_u32_e32 v7, v9, v7
	s_or_b64 exec, exec, s[82:83]
	s_and_saveexec_b64 s[82:83], s[36:37]
	s_cbranch_execz .LBB255_65
.LBB255_97:                             ;   in Loop: Header=BB255_47 Depth=1
	v_mov_b32_e32 v9, s99
	ds_read_b32 v9, v9
	s_waitcnt lgkmcnt(0)
	v_add_u32_e32 v7, v9, v7
	s_or_b64 exec, exec, s[82:83]
	s_and_saveexec_b64 s[82:83], s[38:39]
	s_cbranch_execz .LBB255_66
.LBB255_98:                             ;   in Loop: Header=BB255_47 Depth=1
	v_mov_b32_e32 v9, s80
	ds_read_b32 v9, v9
	s_waitcnt lgkmcnt(0)
	v_add_u32_e32 v7, v9, v7
	s_or_b64 exec, exec, s[82:83]
	s_and_saveexec_b64 s[82:83], s[40:41]
	s_cbranch_execz .LBB255_67
.LBB255_99:                             ;   in Loop: Header=BB255_47 Depth=1
	v_mov_b32_e32 v9, s70
	ds_read_b32 v9, v9
	s_waitcnt lgkmcnt(0)
	v_add_u32_e32 v7, v9, v7
	s_or_b64 exec, exec, s[82:83]
	s_and_saveexec_b64 s[82:83], s[42:43]
	s_cbranch_execz .LBB255_68
.LBB255_100:                            ;   in Loop: Header=BB255_47 Depth=1
	v_mov_b32_e32 v9, s71
	ds_read_b32 v9, v9
	s_waitcnt lgkmcnt(0)
	v_add_u32_e32 v7, v9, v7
	s_or_b64 exec, exec, s[82:83]
	s_and_saveexec_b64 s[82:83], s[44:45]
	s_cbranch_execz .LBB255_69
.LBB255_101:                            ;   in Loop: Header=BB255_47 Depth=1
	v_mov_b32_e32 v9, s76
	ds_read_b32 v9, v9
	s_waitcnt lgkmcnt(0)
	v_add_u32_e32 v7, v9, v7
	s_or_b64 exec, exec, s[82:83]
	s_and_saveexec_b64 s[82:83], s[46:47]
	s_cbranch_execz .LBB255_70
.LBB255_102:                            ;   in Loop: Header=BB255_47 Depth=1
	v_mov_b32_e32 v9, s77
	ds_read_b32 v9, v9
	s_waitcnt lgkmcnt(0)
	v_add_u32_e32 v7, v9, v7
	s_or_b64 exec, exec, s[82:83]
	s_and_saveexec_b64 s[82:83], s[48:49]
	s_cbranch_execz .LBB255_71
.LBB255_103:                            ;   in Loop: Header=BB255_47 Depth=1
	v_mov_b32_e32 v9, s78
	ds_read_b32 v9, v9
	s_waitcnt lgkmcnt(0)
	v_add_u32_e32 v7, v9, v7
	s_or_b64 exec, exec, s[82:83]
	s_and_saveexec_b64 s[82:83], s[50:51]
	s_cbranch_execz .LBB255_72
.LBB255_104:                            ;   in Loop: Header=BB255_47 Depth=1
	v_mov_b32_e32 v9, s79
	ds_read_b32 v9, v9
	s_waitcnt lgkmcnt(0)
	v_add_u32_e32 v7, v9, v7
	s_or_b64 exec, exec, s[82:83]
	s_and_saveexec_b64 s[82:83], s[52:53]
	s_cbranch_execz .LBB255_73
.LBB255_105:                            ;   in Loop: Header=BB255_47 Depth=1
	v_mov_b32_e32 v9, s75
	ds_read_b32 v9, v9
	s_waitcnt lgkmcnt(0)
	v_add_u32_e32 v7, v9, v7
	s_or_b64 exec, exec, s[82:83]
	s_and_saveexec_b64 s[82:83], s[54:55]
	s_cbranch_execz .LBB255_74
.LBB255_106:                            ;   in Loop: Header=BB255_47 Depth=1
	v_mov_b32_e32 v9, s81
	ds_read_b32 v9, v9
	s_waitcnt lgkmcnt(0)
	v_add_u32_e32 v7, v9, v7
	s_or_b64 exec, exec, s[82:83]
	s_and_saveexec_b64 s[82:83], s[56:57]
	s_cbranch_execz .LBB255_75
.LBB255_107:                            ;   in Loop: Header=BB255_47 Depth=1
	v_mov_b32_e32 v9, s84
	ds_read_b32 v9, v9
	s_waitcnt lgkmcnt(0)
	v_add_u32_e32 v7, v9, v7
	s_or_b64 exec, exec, s[82:83]
	s_and_saveexec_b64 s[82:83], s[58:59]
	s_cbranch_execz .LBB255_76
.LBB255_108:                            ;   in Loop: Header=BB255_47 Depth=1
	v_mov_b32_e32 v9, s85
	ds_read_b32 v9, v9
	s_waitcnt lgkmcnt(0)
	v_add_u32_e32 v7, v9, v7
	s_or_b64 exec, exec, s[82:83]
	s_and_saveexec_b64 s[82:83], s[60:61]
	s_cbranch_execz .LBB255_77
.LBB255_109:                            ;   in Loop: Header=BB255_47 Depth=1
	v_mov_b32_e32 v9, s86
	ds_read_b32 v9, v9
	s_waitcnt lgkmcnt(0)
	v_add_u32_e32 v7, v9, v7
	s_or_b64 exec, exec, s[82:83]
	s_and_saveexec_b64 s[82:83], s[62:63]
	s_cbranch_execz .LBB255_78
.LBB255_110:                            ;   in Loop: Header=BB255_47 Depth=1
	v_mov_b32_e32 v9, s87
	ds_read_b32 v9, v9
	s_waitcnt lgkmcnt(0)
	v_add_u32_e32 v7, v9, v7
	s_or_b64 exec, exec, s[82:83]
	s_and_saveexec_b64 s[82:83], s[68:69]
	s_cbranch_execz .LBB255_79
.LBB255_111:                            ;   in Loop: Header=BB255_47 Depth=1
	buffer_load_dword v10, off, s[0:3], 0
	buffer_load_dword v11, off, s[0:3], 0 offset:4
	buffer_load_dword v12, off, s[0:3], 0 offset:8
	;; [unrolled: 1-line block ×3, first 2 shown]
	v_add3_u32 v9, v4, -1, v7
	v_lshl_add_u32 v14, v9, 2, 0
	v_lshl_add_u32 v9, v9, 4, 0
	v_add_u32_e32 v9, 0x20000, v9
	ds_write_b32 v14, v8
	s_waitcnt vmcnt(0)
	ds_write2_b64 v9, v[10:11], v[12:13] offset1:1
	s_or_b64 exec, exec, s[82:83]
	s_and_saveexec_b64 s[68:69], vcc
	s_cbranch_execz .LBB255_46
.LBB255_112:                            ;   in Loop: Header=BB255_47 Depth=1
	v_mov_b32_e32 v8, s88
	ds_write_b32 v8, v7
	s_branch .LBB255_46
.LBB255_113:
	s_or_b64 exec, exec, s[72:73]
	v_readlane_b32 s4, v36, 12
	v_readlane_b32 s5, v36, 13
	;; [unrolled: 1-line block ×3, first 2 shown]
	s_ashr_i32 s5, s4, 31
	v_readlane_b32 s10, v36, 6
	v_readlane_b32 s11, v36, 7
	;; [unrolled: 1-line block ×4, first 2 shown]
	s_lshl_b64 s[4:5], s[4:5], 3
	s_mov_b64 s[10:11], s[14:15]
	s_add_u32 s4, s10, s4
	s_addc_u32 s5, s11, s5
	s_load_dwordx4 s[4:7], s[4:5], 0x0
	v_readlane_b32 s12, v36, 8
	v_readlane_b32 s9, v36, 5
	;; [unrolled: 1-line block ×3, first 2 shown]
	s_waitcnt lgkmcnt(0)
	s_sub_i32 s12, s6, s4
	v_cmp_gt_i32_e32 vcc, s12, v0
	s_and_saveexec_b64 s[8:9], vcc
	s_cbranch_execz .LBB255_123
; %bb.114:
	s_sub_u32 s8, s4, s74
	s_subb_u32 s9, s5, 0
	s_and_b32 s13, s12, 7
	s_sub_i32 s4, s4, s6
	s_cmp_lt_u32 s4, -7
	s_cselect_b64 s[4:5], -1, 0
	s_and_b32 s14, s12, -8
	s_cmp_lg_u32 s13, 0
	v_cndmask_b32_e64 v1, 0, 1, s[4:5]
	s_cselect_b64 s[6:7], -1, 0
	v_readlane_b32 s16, v36, 0
	v_cmp_ne_u32_e64 s[4:5], 1, v1
	v_cndmask_b32_e64 v1, 0, 1, s[6:7]
	v_readlane_b32 s17, v36, 1
	v_readlane_b32 s19, v36, 3
	s_mov_b64 s[10:11], 0
	v_cmp_ne_u32_e64 s[6:7], 1, v1
	v_mov_b32_e32 v1, s17
	v_mov_b32_e32 v4, s19
	v_readlane_b32 s18, v36, 2
	s_branch .LBB255_116
.LBB255_115:                            ;   in Loop: Header=BB255_116 Depth=1
	v_lshl_add_u32 v6, v0, 4, 0
	v_add_u32_e32 v8, 0x20000, v6
	v_lshlrev_b64 v[6:7], 2, v[2:3]
	v_readlane_b32 s16, v36, 0
	v_add_co_u32_e32 v6, vcc, s16, v6
	s_waitcnt lgkmcnt(0)
	v_add_u32_e32 v5, s74, v5
	v_addc_co_u32_e32 v7, vcc, v1, v7, vcc
	v_readlane_b32 s18, v36, 2
	global_store_dword v[6:7], v5, off
	v_lshlrev_b64 v[2:3], 4, v[2:3]
	ds_read2_b64 v[6:9], v8 offset1:1
	v_add_co_u32_e32 v2, vcc, s18, v2
	v_addc_co_u32_e32 v3, vcc, v4, v3, vcc
	v_add_u32_e32 v0, 0x400, v0
	v_cmp_le_i32_e32 vcc, s12, v0
	s_or_b64 s[10:11], vcc, s[10:11]
	v_readlane_b32 s17, v36, 1
	v_readlane_b32 s19, v36, 3
	s_waitcnt lgkmcnt(0)
	global_store_dwordx4 v[2:3], v[6:9], off
	s_andn2_b64 exec, exec, s[10:11]
	s_cbranch_execz .LBB255_123
.LBB255_116:                            ; =>This Loop Header: Depth=1
                                        ;     Child Loop BB255_118 Depth 2
                                        ;     Child Loop BB255_122 Depth 2
	v_lshl_add_u32 v2, v0, 2, 0
	ds_read_b32 v5, v2
	s_and_b64 vcc, exec, s[4:5]
	v_pk_mov_b32 v[2:3], s[8:9], s[8:9] op_sel:[0,1]
	s_mov_b32 s15, 0
	s_cbranch_vccnz .LBB255_120
; %bb.117:                              ;   in Loop: Header=BB255_116 Depth=1
	s_mov_b32 s16, 0
	v_pk_mov_b32 v[2:3], s[8:9], s[8:9] op_sel:[0,1]
.LBB255_118:                            ;   Parent Loop BB255_116 Depth=1
                                        ; =>  This Inner Loop Header: Depth=2
	v_mov_b32_e32 v12, s16
	ds_read2_b32 v[6:7], v12 offset1:1
	ds_read2_b32 v[8:9], v12 offset0:2 offset1:3
	ds_read2_b32 v[10:11], v12 offset0:4 offset1:5
	;; [unrolled: 1-line block ×3, first 2 shown]
	s_add_i32 s15, s15, 8
	s_waitcnt lgkmcnt(3)
	v_cmp_gt_i32_e32 vcc, v5, v6
	v_cndmask_b32_e64 v6, 0, 1, vcc
	v_cmp_gt_i32_e32 vcc, v5, v7
	v_cndmask_b32_e64 v7, 0, 1, vcc
	s_waitcnt lgkmcnt(2)
	v_cmp_gt_i32_e32 vcc, v5, v8
	v_cndmask_b32_e64 v8, 0, 1, vcc
	v_cmp_gt_i32_e32 vcc, v5, v9
	v_cndmask_b32_e64 v9, 0, 1, vcc
	;; [unrolled: 5-line block ×4, first 2 shown]
	v_add_co_u32_e32 v2, vcc, v2, v6
	v_addc_co_u32_e32 v3, vcc, 0, v3, vcc
	v_add_co_u32_e32 v2, vcc, v2, v7
	v_addc_co_u32_e32 v3, vcc, 0, v3, vcc
	;; [unrolled: 2-line block ×7, first 2 shown]
	s_add_i32 s16, s16, 32
	v_add_co_u32_e32 v2, vcc, v2, v13
	s_cmp_eq_u32 s14, s15
	v_addc_co_u32_e32 v3, vcc, 0, v3, vcc
	s_cbranch_scc0 .LBB255_118
; %bb.119:                              ;   in Loop: Header=BB255_116 Depth=1
	s_mov_b32 s15, s14
.LBB255_120:                            ;   in Loop: Header=BB255_116 Depth=1
	s_and_b64 vcc, exec, s[6:7]
	s_cbranch_vccnz .LBB255_115
; %bb.121:                              ;   in Loop: Header=BB255_116 Depth=1
	s_lshl_b32 s15, s15, 2
	s_add_i32 s15, s15, 0
	s_mov_b32 s16, s13
.LBB255_122:                            ;   Parent Loop BB255_116 Depth=1
                                        ; =>  This Inner Loop Header: Depth=2
	v_mov_b32_e32 v6, s15
	ds_read_b32 v6, v6
	s_add_i32 s15, s15, 4
	s_add_i32 s16, s16, -1
	s_cmp_lg_u32 s16, 0
	s_waitcnt lgkmcnt(0)
	v_cmp_gt_i32_e32 vcc, v5, v6
	v_cndmask_b32_e64 v6, 0, 1, vcc
	v_add_co_u32_e32 v2, vcc, v2, v6
	v_addc_co_u32_e32 v3, vcc, 0, v3, vcc
	s_cbranch_scc1 .LBB255_122
	s_branch .LBB255_115
.LBB255_123:
	s_endpgm
	.section	.rodata,"a",@progbits
	.p2align	6, 0x0
	.amdhsa_kernel _ZN9rocsparseL26csrgemm_fill_block_per_rowILj1024ELj64ELj32768ELj137ELj32Eli21rocsparse_complex_numIdEEEvT5_PKS3_S5_NS_24const_host_device_scalarIT6_EEPKT4_S5_PKS7_SB_S5_SD_S8_SB_S5_SD_SB_PS3_PS7_21rocsparse_index_base_SG_SG_SG_bbb
		.amdhsa_group_segment_fixed_size 0
		.amdhsa_private_segment_fixed_size 40
		.amdhsa_kernarg_size 172
		.amdhsa_user_sgpr_count 8
		.amdhsa_user_sgpr_private_segment_buffer 1
		.amdhsa_user_sgpr_dispatch_ptr 0
		.amdhsa_user_sgpr_queue_ptr 0
		.amdhsa_user_sgpr_kernarg_segment_ptr 1
		.amdhsa_user_sgpr_dispatch_id 0
		.amdhsa_user_sgpr_flat_scratch_init 1
		.amdhsa_user_sgpr_kernarg_preload_length 0
		.amdhsa_user_sgpr_kernarg_preload_offset 0
		.amdhsa_user_sgpr_private_segment_size 0
		.amdhsa_uses_dynamic_stack 0
		.amdhsa_system_sgpr_private_segment_wavefront_offset 1
		.amdhsa_system_sgpr_workgroup_id_x 1
		.amdhsa_system_sgpr_workgroup_id_y 0
		.amdhsa_system_sgpr_workgroup_id_z 0
		.amdhsa_system_sgpr_workgroup_info 0
		.amdhsa_system_vgpr_workitem_id 0
		.amdhsa_next_free_vgpr 37
		.amdhsa_next_free_sgpr 100
		.amdhsa_accum_offset 40
		.amdhsa_reserve_vcc 1
		.amdhsa_reserve_flat_scratch 1
		.amdhsa_float_round_mode_32 0
		.amdhsa_float_round_mode_16_64 0
		.amdhsa_float_denorm_mode_32 3
		.amdhsa_float_denorm_mode_16_64 3
		.amdhsa_dx10_clamp 1
		.amdhsa_ieee_mode 1
		.amdhsa_fp16_overflow 0
		.amdhsa_tg_split 0
		.amdhsa_exception_fp_ieee_invalid_op 0
		.amdhsa_exception_fp_denorm_src 0
		.amdhsa_exception_fp_ieee_div_zero 0
		.amdhsa_exception_fp_ieee_overflow 0
		.amdhsa_exception_fp_ieee_underflow 0
		.amdhsa_exception_fp_ieee_inexact 0
		.amdhsa_exception_int_div_zero 0
	.end_amdhsa_kernel
	.section	.text._ZN9rocsparseL26csrgemm_fill_block_per_rowILj1024ELj64ELj32768ELj137ELj32Eli21rocsparse_complex_numIdEEEvT5_PKS3_S5_NS_24const_host_device_scalarIT6_EEPKT4_S5_PKS7_SB_S5_SD_S8_SB_S5_SD_SB_PS3_PS7_21rocsparse_index_base_SG_SG_SG_bbb,"axG",@progbits,_ZN9rocsparseL26csrgemm_fill_block_per_rowILj1024ELj64ELj32768ELj137ELj32Eli21rocsparse_complex_numIdEEEvT5_PKS3_S5_NS_24const_host_device_scalarIT6_EEPKT4_S5_PKS7_SB_S5_SD_S8_SB_S5_SD_SB_PS3_PS7_21rocsparse_index_base_SG_SG_SG_bbb,comdat
.Lfunc_end255:
	.size	_ZN9rocsparseL26csrgemm_fill_block_per_rowILj1024ELj64ELj32768ELj137ELj32Eli21rocsparse_complex_numIdEEEvT5_PKS3_S5_NS_24const_host_device_scalarIT6_EEPKT4_S5_PKS7_SB_S5_SD_S8_SB_S5_SD_SB_PS3_PS7_21rocsparse_index_base_SG_SG_SG_bbb, .Lfunc_end255-_ZN9rocsparseL26csrgemm_fill_block_per_rowILj1024ELj64ELj32768ELj137ELj32Eli21rocsparse_complex_numIdEEEvT5_PKS3_S5_NS_24const_host_device_scalarIT6_EEPKT4_S5_PKS7_SB_S5_SD_S8_SB_S5_SD_SB_PS3_PS7_21rocsparse_index_base_SG_SG_SG_bbb
                                        ; -- End function
	.section	.AMDGPU.csdata,"",@progbits
; Kernel info:
; codeLenInByte = 5492
; NumSgprs: 106
; NumVgprs: 37
; NumAgprs: 0
; TotalNumVgprs: 37
; ScratchSize: 40
; MemoryBound: 0
; FloatMode: 240
; IeeeMode: 1
; LDSByteSize: 0 bytes/workgroup (compile time only)
; SGPRBlocks: 13
; VGPRBlocks: 4
; NumSGPRsForWavesPerEU: 106
; NumVGPRsForWavesPerEU: 37
; AccumOffset: 40
; Occupancy: 7
; WaveLimiterHint : 1
; COMPUTE_PGM_RSRC2:SCRATCH_EN: 1
; COMPUTE_PGM_RSRC2:USER_SGPR: 8
; COMPUTE_PGM_RSRC2:TRAP_HANDLER: 0
; COMPUTE_PGM_RSRC2:TGID_X_EN: 1
; COMPUTE_PGM_RSRC2:TGID_Y_EN: 0
; COMPUTE_PGM_RSRC2:TGID_Z_EN: 0
; COMPUTE_PGM_RSRC2:TIDIG_COMP_CNT: 0
; COMPUTE_PGM_RSRC3_GFX90A:ACCUM_OFFSET: 9
; COMPUTE_PGM_RSRC3_GFX90A:TG_SPLIT: 0
	.section	.text._ZN9rocsparseL26csrgemm_fill_block_per_rowILj1024ELj64ELj32768ELj137ELj64Eli21rocsparse_complex_numIdEEEvT5_PKS3_S5_NS_24const_host_device_scalarIT6_EEPKT4_S5_PKS7_SB_S5_SD_S8_SB_S5_SD_SB_PS3_PS7_21rocsparse_index_base_SG_SG_SG_bbb,"axG",@progbits,_ZN9rocsparseL26csrgemm_fill_block_per_rowILj1024ELj64ELj32768ELj137ELj64Eli21rocsparse_complex_numIdEEEvT5_PKS3_S5_NS_24const_host_device_scalarIT6_EEPKT4_S5_PKS7_SB_S5_SD_S8_SB_S5_SD_SB_PS3_PS7_21rocsparse_index_base_SG_SG_SG_bbb,comdat
	.globl	_ZN9rocsparseL26csrgemm_fill_block_per_rowILj1024ELj64ELj32768ELj137ELj64Eli21rocsparse_complex_numIdEEEvT5_PKS3_S5_NS_24const_host_device_scalarIT6_EEPKT4_S5_PKS7_SB_S5_SD_S8_SB_S5_SD_SB_PS3_PS7_21rocsparse_index_base_SG_SG_SG_bbb ; -- Begin function _ZN9rocsparseL26csrgemm_fill_block_per_rowILj1024ELj64ELj32768ELj137ELj64Eli21rocsparse_complex_numIdEEEvT5_PKS3_S5_NS_24const_host_device_scalarIT6_EEPKT4_S5_PKS7_SB_S5_SD_S8_SB_S5_SD_SB_PS3_PS7_21rocsparse_index_base_SG_SG_SG_bbb
	.p2align	8
	.type	_ZN9rocsparseL26csrgemm_fill_block_per_rowILj1024ELj64ELj32768ELj137ELj64Eli21rocsparse_complex_numIdEEEvT5_PKS3_S5_NS_24const_host_device_scalarIT6_EEPKT4_S5_PKS7_SB_S5_SD_S8_SB_S5_SD_SB_PS3_PS7_21rocsparse_index_base_SG_SG_SG_bbb,@function
_ZN9rocsparseL26csrgemm_fill_block_per_rowILj1024ELj64ELj32768ELj137ELj64Eli21rocsparse_complex_numIdEEEvT5_PKS3_S5_NS_24const_host_device_scalarIT6_EEPKT4_S5_PKS7_SB_S5_SD_S8_SB_S5_SD_SB_PS3_PS7_21rocsparse_index_base_SG_SG_SG_bbb: ; @_ZN9rocsparseL26csrgemm_fill_block_per_rowILj1024ELj64ELj32768ELj137ELj64Eli21rocsparse_complex_numIdEEEvT5_PKS3_S5_NS_24const_host_device_scalarIT6_EEPKT4_S5_PKS7_SB_S5_SD_S8_SB_S5_SD_SB_PS3_PS7_21rocsparse_index_base_SG_SG_SG_bbb
; %bb.0:
	s_add_u32 flat_scratch_lo, s6, s9
	s_addc_u32 flat_scratch_hi, s7, 0
	s_load_dwordx4 s[12:15], s[4:5], 0x18
	s_load_dwordx4 s[28:31], s[4:5], 0x58
	s_add_u32 s0, s0, s9
	s_load_dword s9, s[4:5], 0xa8
	s_load_dwordx4 s[44:47], s[4:5], 0x98
	s_addc_u32 s1, s1, 0
	s_waitcnt lgkmcnt(0)
	v_mov_b32_e32 v1, s13
	buffer_store_dword v1, off, s[0:3], 0 offset:20
	s_bitcmp1_b32 s9, 0
	s_cselect_b64 s[54:55], -1, 0
	s_bitcmp1_b32 s9, 16
	v_mov_b32_e32 v1, s12
	s_cselect_b64 s[6:7], -1, 0
	buffer_store_dword v1, off, s[0:3], 0 offset:16
	v_mov_b32_e32 v1, s29
	buffer_store_dword v1, off, s[0:3], 0 offset:28
	v_mov_b32_e32 v1, s28
	s_xor_b64 s[10:11], s[6:7], -1
	buffer_store_dword v1, off, s[0:3], 0 offset:24
	v_pk_mov_b32 v[2:3], 0, 0
	v_cndmask_b32_e64 v1, 0, 1, s[10:11]
	s_bitcmp0_b32 s9, 0
	v_cmp_ne_u32_e64 s[10:11], 1, v1
	v_pk_mov_b32 v[6:7], v[2:3], v[2:3] op_sel:[0,1]
	v_pk_mov_b32 v[8:9], v[2:3], v[2:3] op_sel:[0,1]
	s_cbranch_scc1 .LBB256_3
; %bb.1:
	s_mov_b64 s[16:17], src_private_base
	s_and_b64 s[18:19], s[6:7], exec
	s_cselect_b32 s16, s17, s13
	v_mov_b32_e32 v1, 16
	v_mov_b32_e32 v4, s12
	v_cndmask_b32_e64 v4, v4, v1, s[6:7]
	v_mov_b32_e32 v5, s16
	flat_load_dwordx2 v[6:7], v[4:5]
	s_and_b64 vcc, exec, s[10:11]
	v_pk_mov_b32 v[8:9], s[14:15], s[14:15] op_sel:[0,1]
	s_cbranch_vccnz .LBB256_3
; %bb.2:
	v_pk_mov_b32 v[4:5], s[12:13], s[12:13] op_sel:[0,1]
	flat_load_dwordx2 v[8:9], v[4:5] offset:8
.LBB256_3:
	s_load_dwordx4 s[48:51], s[4:5], 0x88
	s_load_dwordx8 s[36:43], s[4:5], 0x68
	s_load_dwordx4 s[20:23], s[4:5], 0x48
	s_load_dwordx4 s[24:27], s[4:5], 0x8
	s_load_dwordx8 s[12:19], s[4:5], 0x28
	s_bitcmp1_b32 s9, 8
	s_cselect_b64 s[34:35], -1, 0
	s_bfe_u32 s9, s9, 0x10008
	s_mov_b64 s[52:53], 0
	s_cmp_eq_u32 s9, 0
	v_pk_mov_b32 v[4:5], v[2:3], v[2:3] op_sel:[0,1]
	s_cbranch_scc1 .LBB256_6
; %bb.4:
	s_mov_b64 s[56:57], src_private_base
	s_and_b64 s[58:59], s[6:7], exec
	s_cselect_b32 s9, s57, s29
	v_mov_b32_e32 v1, 24
	v_mov_b32_e32 v2, s28
	v_cndmask_b32_e64 v2, v2, v1, s[6:7]
	v_mov_b32_e32 v3, s9
	flat_load_dwordx2 v[4:5], v[2:3]
	s_and_b64 vcc, exec, s[10:11]
	v_pk_mov_b32 v[2:3], s[30:31], s[30:31] op_sel:[0,1]
	s_cbranch_vccnz .LBB256_6
; %bb.5:
	v_pk_mov_b32 v[2:3], s[28:29], s[28:29] op_sel:[0,1]
	flat_load_dwordx2 v[2:3], v[2:3] offset:8
.LBB256_6:
	s_load_dword s33, s[4:5], 0x0
	v_lshlrev_b32_e32 v10, 4, v0
	s_mov_b32 s4, 0
	v_or_b32_e32 v1, 0xfffffc00, v0
	v_add_u32_e32 v25, 0, v10
	v_lshl_add_u32 v24, v0, 2, 0
	s_mov_b32 s5, s4
	s_mov_b32 s6, s4
	;; [unrolled: 1-line block ×3, first 2 shown]
	v_add_u32_e32 v14, 0x20008, v25
	s_waitcnt lgkmcnt(0)
	v_mov_b32_e32 v15, s33
	v_pk_mov_b32 v[10:11], s[4:5], s[4:5] op_sel:[0,1]
	v_pk_mov_b32 v[12:13], s[6:7], s[6:7] op_sel:[0,1]
	s_movk_i32 s4, 0x7bff
	v_mov_b32_e32 v16, v24
	v_mov_b32_e32 v17, v1
.LBB256_7:                              ; =>This Inner Loop Header: Depth=1
	v_add_u32_e32 v17, 0x400, v17
	v_cmp_lt_u32_e32 vcc, s4, v17
	ds_write_b32 v16, v15
	v_add_u32_e32 v18, -8, v14
	v_add_u32_e32 v14, 0x4000, v14
	v_add_u32_e32 v16, 0x1000, v16
	s_or_b64 s[52:53], vcc, s[52:53]
	ds_write2_b64 v18, v[10:11], v[12:13] offset1:1
	s_andn2_b64 exec, exec, s[52:53]
	s_cbranch_execnz .LBB256_7
; %bb.8:
	s_or_b64 exec, exec, s[52:53]
	s_waitcnt lgkmcnt(0)
	s_barrier
	s_load_dword s4, s[24:25], 0x0
	s_mov_b32 s5, 0
	v_lshrrev_b32_e32 v26, 6, v0
	s_waitcnt lgkmcnt(0)
	s_add_i32 s4, s4, s8
	s_lshl_b64 s[4:5], s[4:5], 2
	s_add_u32 s4, s26, s4
	s_addc_u32 s5, s27, s5
	s_load_dword s52, s[4:5], 0x0
	s_and_b64 vcc, exec, s[54:55]
	s_cbranch_vccz .LBB256_28
; %bb.9:
	s_waitcnt lgkmcnt(0)
	s_ashr_i32 s53, s52, 31
	s_lshl_b64 s[4:5], s[52:53], 3
	s_add_u32 s4, s12, s4
	s_addc_u32 s5, s13, s5
	s_load_dwordx4 s[8:11], s[4:5], 0x0
	v_subrev_co_u32_e32 v10, vcc, s44, v26
	v_subb_co_u32_e64 v11, s[4:5], 0, 0, vcc
	s_waitcnt lgkmcnt(0)
	s_sub_u32 s4, s10, s44
	v_mov_b32_e32 v12, s9
	v_add_co_u32_e32 v10, vcc, s8, v10
	s_subb_u32 s5, s11, 0
	v_addc_co_u32_e32 v11, vcc, v12, v11, vcc
	v_cmp_gt_i64_e32 vcc, s[4:5], v[10:11]
	s_and_saveexec_b64 s[6:7], vcc
	s_cbranch_execz .LBB256_27
; %bb.10:
	v_and_b32_e32 v12, 63, v0
	v_subrev_co_u32_e32 v27, vcc, s45, v12
	s_mov_b32 s10, 0
	v_subb_co_u32_e64 v28, s[8:9], 0, 0, vcc
	s_mov_b32 s53, s45
	s_mov_b64 s[8:9], 0
	v_mov_b32_e32 v29, s15
	v_mov_b32_e32 v30, s19
	;; [unrolled: 1-line block ×3, first 2 shown]
	s_movk_i32 s15, 0x89
	s_branch .LBB256_12
.LBB256_11:                             ;   in Loop: Header=BB256_12 Depth=1
	s_or_b64 exec, exec, s[10:11]
	v_add_co_u32_e32 v10, vcc, 16, v10
	v_addc_co_u32_e32 v11, vcc, 0, v11, vcc
	v_cmp_le_i64_e32 vcc, s[4:5], v[10:11]
	s_or_b64 s[8:9], vcc, s[8:9]
	s_andn2_b64 exec, exec, s[8:9]
	s_cbranch_execz .LBB256_27
.LBB256_12:                             ; =>This Loop Header: Depth=1
                                        ;     Child Loop BB256_15 Depth 2
                                        ;       Child Loop BB256_17 Depth 3
	v_lshlrev_b64 v[12:13], 2, v[10:11]
	v_add_co_u32_e32 v12, vcc, s14, v12
	v_addc_co_u32_e32 v13, vcc, v29, v13, vcc
	global_load_dword v12, v[12:13], off
	s_waitcnt vmcnt(0)
	v_subrev_u32_e32 v12, s44, v12
	v_ashrrev_i32_e32 v13, 31, v12
	v_lshlrev_b64 v[12:13], 3, v[12:13]
	v_add_co_u32_e32 v12, vcc, s18, v12
	v_addc_co_u32_e32 v13, vcc, v30, v13, vcc
	global_load_dwordx4 v[14:17], v[12:13], off
	s_waitcnt vmcnt(0)
	v_subrev_co_u32_e32 v12, vcc, s53, v16
	v_subb_co_u32_e32 v13, vcc, v17, v31, vcc
	v_add_co_u32_e32 v14, vcc, v14, v27
	v_addc_co_u32_e32 v15, vcc, v15, v28, vcc
	v_cmp_lt_i64_e32 vcc, v[14:15], v[12:13]
	s_and_saveexec_b64 s[10:11], vcc
	s_cbranch_execz .LBB256_11
; %bb.13:                               ;   in Loop: Header=BB256_12 Depth=1
	v_lshlrev_b64 v[16:17], 4, v[10:11]
	v_mov_b32_e32 v18, s17
	v_add_co_u32_e32 v16, vcc, s16, v16
	v_addc_co_u32_e32 v17, vcc, v18, v17, vcc
	global_load_dwordx4 v[20:23], v[16:17], off
	s_mov_b64 s[12:13], 0
	s_waitcnt vmcnt(0)
	v_mul_f64 v[16:17], v[22:23], -v[8:9]
	v_mul_f64 v[18:19], v[6:7], v[22:23]
	v_fmac_f64_e32 v[16:17], v[6:7], v[20:21]
	v_fmac_f64_e32 v[18:19], v[8:9], v[20:21]
	s_branch .LBB256_15
.LBB256_14:                             ;   in Loop: Header=BB256_15 Depth=2
	s_or_b64 exec, exec, s[24:25]
	v_add_co_u32_e32 v14, vcc, 64, v14
	v_addc_co_u32_e32 v15, vcc, 0, v15, vcc
	v_cmp_ge_i64_e32 vcc, v[14:15], v[12:13]
	s_or_b64 s[12:13], vcc, s[12:13]
	s_andn2_b64 exec, exec, s[12:13]
	s_cbranch_execz .LBB256_11
.LBB256_15:                             ;   Parent Loop BB256_12 Depth=1
                                        ; =>  This Loop Header: Depth=2
                                        ;       Child Loop BB256_17 Depth 3
	v_lshlrev_b64 v[20:21], 2, v[14:15]
	v_mov_b32_e32 v22, s21
	v_add_co_u32_e32 v20, vcc, s20, v20
	v_addc_co_u32_e32 v21, vcc, v22, v21, vcc
	global_load_dword v22, v[20:21], off
	v_lshlrev_b64 v[20:21], 4, v[14:15]
	v_mov_b32_e32 v23, s23
	v_add_co_u32_e32 v20, vcc, s22, v20
	v_addc_co_u32_e32 v21, vcc, v23, v21, vcc
	global_load_dwordx4 v[34:37], v[20:21], off
	s_mov_b64 s[24:25], 0
	s_waitcnt vmcnt(1)
	v_subrev_u32_e32 v32, s45, v22
	v_mul_lo_u32 v33, v32, s15
	v_and_b32_e32 v33, 0x7fff, v33
	s_waitcnt vmcnt(0)
	v_mul_f64 v[20:21], v[36:37], -v[18:19]
	v_mul_f64 v[22:23], v[16:17], v[36:37]
	v_fmac_f64_e32 v[20:21], v[16:17], v[34:35]
	v_fmac_f64_e32 v[22:23], v[18:19], v[34:35]
	s_branch .LBB256_17
.LBB256_16:                             ;   in Loop: Header=BB256_17 Depth=3
	s_or_b64 exec, exec, s[26:27]
	s_xor_b64 s[26:27], s[28:29], -1
	s_and_b64 s[26:27], exec, s[26:27]
	s_or_b64 s[24:25], s[26:27], s[24:25]
	s_andn2_b64 exec, exec, s[24:25]
	s_cbranch_execz .LBB256_14
.LBB256_17:                             ;   Parent Loop BB256_12 Depth=1
                                        ;     Parent Loop BB256_15 Depth=2
                                        ; =>    This Inner Loop Header: Depth=3
	v_lshl_add_u32 v34, v33, 2, 0
	ds_read_b32 v35, v34
                                        ; implicit-def: $sgpr28_sgpr29
	s_waitcnt lgkmcnt(0)
	v_cmp_ne_u32_e32 vcc, v35, v32
	s_and_saveexec_b64 s[26:27], vcc
	s_xor_b64 s[26:27], exec, s[26:27]
	s_cbranch_execz .LBB256_25
; %bb.18:                               ;   in Loop: Header=BB256_17 Depth=3
	v_cmp_ne_u32_e32 vcc, s33, v35
                                        ; implicit-def: $sgpr28_sgpr29
	s_and_saveexec_b64 s[30:31], vcc
	s_xor_b64 s[30:31], exec, s[30:31]
; %bb.19:                               ;   in Loop: Header=BB256_17 Depth=3
	v_add_u32_e32 v33, 1, v33
	v_and_b32_e32 v33, 0x7fff, v33
	s_mov_b64 s[28:29], -1
                                        ; implicit-def: $vgpr34
; %bb.20:                               ;   in Loop: Header=BB256_17 Depth=3
	s_andn2_saveexec_b64 s[30:31], s[30:31]
	s_cbranch_execz .LBB256_24
; %bb.21:                               ;   in Loop: Header=BB256_17 Depth=3
	v_mov_b32_e32 v35, s33
	ds_cmpst_rtn_b32 v34, v34, v35, v32
	s_mov_b64 s[56:57], -1
	s_waitcnt lgkmcnt(0)
	v_cmp_eq_u32_e32 vcc, s33, v34
	s_and_saveexec_b64 s[54:55], vcc
	s_cbranch_execz .LBB256_23
; %bb.22:                               ;   in Loop: Header=BB256_17 Depth=3
	v_lshl_add_u32 v34, v33, 4, 0
	v_add_u32_e32 v34, 0x20000, v34
	ds_add_f64 v34, v[20:21]
	ds_add_f64 v34, v[22:23] offset:8
	s_xor_b64 s[56:57], exec, -1
.LBB256_23:                             ;   in Loop: Header=BB256_17 Depth=3
	s_or_b64 exec, exec, s[54:55]
	s_andn2_b64 s[28:29], s[28:29], exec
	s_and_b64 s[54:55], s[56:57], exec
	s_or_b64 s[28:29], s[28:29], s[54:55]
.LBB256_24:                             ;   in Loop: Header=BB256_17 Depth=3
	s_or_b64 exec, exec, s[30:31]
	s_and_b64 s[28:29], s[28:29], exec
.LBB256_25:                             ;   in Loop: Header=BB256_17 Depth=3
	s_andn2_saveexec_b64 s[26:27], s[26:27]
	s_cbranch_execz .LBB256_16
; %bb.26:                               ;   in Loop: Header=BB256_17 Depth=3
	v_lshl_add_u32 v34, v33, 4, 0
	v_add_u32_e32 v34, 0x20000, v34
	ds_add_f64 v34, v[20:21]
	ds_add_f64 v34, v[22:23] offset:8
	s_andn2_b64 s[28:29], s[28:29], exec
	s_branch .LBB256_16
.LBB256_27:
	s_or_b64 exec, exec, s[6:7]
.LBB256_28:
	s_andn2_b64 vcc, exec, s[34:35]
	s_cbranch_vccnz .LBB256_45
; %bb.29:
	s_waitcnt lgkmcnt(0)
	s_ashr_i32 s53, s52, 31
	s_lshl_b64 s[4:5], s[52:53], 3
	s_add_u32 s4, s36, s4
	s_addc_u32 s5, s37, s5
	s_load_dwordx4 s[8:11], s[4:5], 0x0
	s_waitcnt vmcnt(0)
	v_subrev_co_u32_e32 v6, vcc, s47, v0
	v_subb_co_u32_e64 v7, s[4:5], 0, 0, vcc
	s_waitcnt lgkmcnt(0)
	s_sub_u32 s4, s10, s47
	v_mov_b32_e32 v8, s9
	v_add_co_u32_e32 v6, vcc, s8, v6
	s_subb_u32 s5, s11, 0
	v_addc_co_u32_e32 v7, vcc, v8, v7, vcc
	v_cmp_gt_i64_e32 vcc, s[4:5], v[6:7]
	s_and_saveexec_b64 s[6:7], vcc
	s_cbranch_execz .LBB256_44
; %bb.30:
	s_mov_b64 s[8:9], 0
	v_mov_b32_e32 v12, s39
	v_mov_b32_e32 v13, s41
	s_movk_i32 s22, 0x89
	s_branch .LBB256_32
.LBB256_31:                             ;   in Loop: Header=BB256_32 Depth=1
	s_or_b64 exec, exec, s[10:11]
	v_add_co_u32_e32 v6, vcc, 0x400, v6
	v_addc_co_u32_e32 v7, vcc, 0, v7, vcc
	v_cmp_le_i64_e32 vcc, s[4:5], v[6:7]
	s_or_b64 s[8:9], vcc, s[8:9]
	s_andn2_b64 exec, exec, s[8:9]
	s_cbranch_execz .LBB256_44
.LBB256_32:                             ; =>This Loop Header: Depth=1
                                        ;     Child Loop BB256_34 Depth 2
	v_lshlrev_b64 v[8:9], 2, v[6:7]
	v_add_co_u32_e32 v8, vcc, s38, v8
	v_addc_co_u32_e32 v9, vcc, v12, v9, vcc
	global_load_dword v10, v[8:9], off
	v_lshlrev_b64 v[8:9], 4, v[6:7]
	v_add_co_u32_e32 v8, vcc, s40, v8
	v_addc_co_u32_e32 v9, vcc, v13, v9, vcc
	global_load_dwordx4 v[16:19], v[8:9], off
	s_mov_b64 s[10:11], 0
	s_waitcnt vmcnt(1)
	v_subrev_u32_e32 v14, s47, v10
	v_mul_lo_u32 v15, v14, s22
	v_and_b32_e32 v15, 0x7fff, v15
	s_waitcnt vmcnt(0)
	v_mul_f64 v[8:9], v[18:19], -v[2:3]
	v_mul_f64 v[10:11], v[4:5], v[18:19]
	v_fmac_f64_e32 v[8:9], v[4:5], v[16:17]
	v_fmac_f64_e32 v[10:11], v[2:3], v[16:17]
	s_branch .LBB256_34
.LBB256_33:                             ;   in Loop: Header=BB256_34 Depth=2
	s_or_b64 exec, exec, s[12:13]
	s_xor_b64 s[12:13], s[14:15], -1
	s_and_b64 s[12:13], exec, s[12:13]
	s_or_b64 s[10:11], s[12:13], s[10:11]
	s_andn2_b64 exec, exec, s[10:11]
	s_cbranch_execz .LBB256_31
.LBB256_34:                             ;   Parent Loop BB256_32 Depth=1
                                        ; =>  This Inner Loop Header: Depth=2
	v_lshl_add_u32 v16, v15, 2, 0
	ds_read_b32 v17, v16
                                        ; implicit-def: $sgpr14_sgpr15
	s_waitcnt lgkmcnt(0)
	v_cmp_ne_u32_e32 vcc, v17, v14
	s_and_saveexec_b64 s[12:13], vcc
	s_xor_b64 s[12:13], exec, s[12:13]
	s_cbranch_execz .LBB256_42
; %bb.35:                               ;   in Loop: Header=BB256_34 Depth=2
	v_cmp_ne_u32_e32 vcc, s33, v17
                                        ; implicit-def: $sgpr14_sgpr15
	s_and_saveexec_b64 s[16:17], vcc
	s_xor_b64 s[16:17], exec, s[16:17]
; %bb.36:                               ;   in Loop: Header=BB256_34 Depth=2
	v_add_u32_e32 v15, 1, v15
	v_and_b32_e32 v15, 0x7fff, v15
	s_mov_b64 s[14:15], -1
                                        ; implicit-def: $vgpr16
; %bb.37:                               ;   in Loop: Header=BB256_34 Depth=2
	s_andn2_saveexec_b64 s[16:17], s[16:17]
	s_cbranch_execz .LBB256_41
; %bb.38:                               ;   in Loop: Header=BB256_34 Depth=2
	v_mov_b32_e32 v17, s33
	ds_cmpst_rtn_b32 v16, v16, v17, v14
	s_mov_b64 s[20:21], -1
	s_waitcnt lgkmcnt(0)
	v_cmp_eq_u32_e32 vcc, s33, v16
	s_and_saveexec_b64 s[18:19], vcc
	s_cbranch_execz .LBB256_40
; %bb.39:                               ;   in Loop: Header=BB256_34 Depth=2
	v_lshl_add_u32 v16, v15, 4, 0
	v_add_u32_e32 v16, 0x20000, v16
	ds_add_f64 v16, v[8:9]
	ds_add_f64 v16, v[10:11] offset:8
	s_xor_b64 s[20:21], exec, -1
.LBB256_40:                             ;   in Loop: Header=BB256_34 Depth=2
	s_or_b64 exec, exec, s[18:19]
	s_andn2_b64 s[14:15], s[14:15], exec
	s_and_b64 s[18:19], s[20:21], exec
	s_or_b64 s[14:15], s[14:15], s[18:19]
.LBB256_41:                             ;   in Loop: Header=BB256_34 Depth=2
	s_or_b64 exec, exec, s[16:17]
	s_and_b64 s[14:15], s[14:15], exec
.LBB256_42:                             ;   in Loop: Header=BB256_34 Depth=2
	s_andn2_saveexec_b64 s[12:13], s[12:13]
	s_cbranch_execz .LBB256_33
; %bb.43:                               ;   in Loop: Header=BB256_34 Depth=2
	v_lshl_add_u32 v16, v15, 4, 0
	v_add_u32_e32 v16, 0x20000, v16
	ds_add_f64 v16, v[8:9]
	ds_add_f64 v16, v[10:11] offset:8
	s_andn2_b64 s[14:15], s[14:15], exec
	s_branch .LBB256_33
.LBB256_44:
	s_or_b64 exec, exec, s[6:7]
.LBB256_45:
	s_waitcnt vmcnt(0)
	v_mbcnt_lo_u32_b32 v2, -1, 0
	v_mbcnt_hi_u32_b32 v2, -1, v2
	v_sub_u32_e32 v2, 63, v2
	s_add_i32 s44, 0, 0xa0000
	s_movk_i32 s4, 0x3ff
	s_movk_i32 s6, 0x7f
	;; [unrolled: 1-line block ×15, first 2 shown]
	s_add_i32 s65, 0, 0xa003c
	v_mov_b32_e32 v4, 0
	v_lshrrev_b64 v[2:3], v2, -1
	v_lshl_add_u32 v5, v26, 2, s44
	v_cmp_eq_u32_e32 vcc, s4, v0
	v_cmp_lt_u32_e64 s[4:5], 63, v0
	v_cmp_lt_u32_e64 s[6:7], s6, v0
	;; [unrolled: 1-line block ×15, first 2 shown]
	v_add_u32_e32 v6, 0x20000, v25
	s_mov_b64 s[38:39], 0
	s_add_i32 s45, 0, 0xa0004
	s_add_i32 s47, 0, 0xa0008
	;; [unrolled: 1-line block ×14, first 2 shown]
	v_mov_b32_e32 v7, s65
	s_movk_i32 s66, 0x7bff
	s_waitcnt lgkmcnt(0)
	s_barrier
	s_branch .LBB256_47
.LBB256_46:                             ;   in Loop: Header=BB256_47 Depth=1
	s_or_b64 exec, exec, s[36:37]
	s_waitcnt lgkmcnt(0)
	s_barrier
	ds_read_b32 v8, v7
	v_add_u32_e32 v1, 0x400, v1
	v_cmp_lt_u32_e64 s[36:37], s66, v1
	v_add_u32_e32 v6, 0x4000, v6
	s_or_b64 s[38:39], s[36:37], s[38:39]
	s_waitcnt lgkmcnt(0)
	v_add_u32_e32 v4, v8, v4
	v_add_u32_e32 v24, 0x1000, v24
	s_andn2_b64 exec, exec, s[38:39]
	s_cbranch_execz .LBB256_81
.LBB256_47:                             ; =>This Inner Loop Header: Depth=1
	ds_read2_b64 v[10:13], v6 offset1:1
	ds_read_b32 v9, v24
	s_waitcnt lgkmcnt(1)
	buffer_store_dword v13, off, s[0:3], 0 offset:12
	buffer_store_dword v12, off, s[0:3], 0 offset:8
	;; [unrolled: 1-line block ×3, first 2 shown]
	buffer_store_dword v10, off, s[0:3], 0
	s_waitcnt lgkmcnt(0)
	v_cmp_gt_i32_e64 s[36:37], s33, v9
	v_and_b32_e32 v10, s36, v2
	s_bcnt1_i32_b64 s40, s[36:37]
	v_and_b32_e32 v8, s37, v3
	v_bcnt_u32_b32 v10, v10, 0
	v_bcnt_u32_b32 v8, v8, v10
	v_mov_b32_e32 v10, s40
	s_barrier
	ds_write_b32 v5, v10
	s_waitcnt lgkmcnt(0)
	s_barrier
	s_and_saveexec_b64 s[40:41], s[4:5]
	s_cbranch_execnz .LBB256_64
; %bb.48:                               ;   in Loop: Header=BB256_47 Depth=1
	s_or_b64 exec, exec, s[40:41]
	s_and_saveexec_b64 s[40:41], s[6:7]
	s_cbranch_execnz .LBB256_65
.LBB256_49:                             ;   in Loop: Header=BB256_47 Depth=1
	s_or_b64 exec, exec, s[40:41]
	s_and_saveexec_b64 s[40:41], s[8:9]
	s_cbranch_execnz .LBB256_66
.LBB256_50:                             ;   in Loop: Header=BB256_47 Depth=1
	s_or_b64 exec, exec, s[40:41]
	s_and_saveexec_b64 s[40:41], s[10:11]
	s_cbranch_execnz .LBB256_67
.LBB256_51:                             ;   in Loop: Header=BB256_47 Depth=1
	s_or_b64 exec, exec, s[40:41]
	s_and_saveexec_b64 s[40:41], s[12:13]
	s_cbranch_execnz .LBB256_68
.LBB256_52:                             ;   in Loop: Header=BB256_47 Depth=1
	s_or_b64 exec, exec, s[40:41]
	s_and_saveexec_b64 s[40:41], s[14:15]
	s_cbranch_execnz .LBB256_69
.LBB256_53:                             ;   in Loop: Header=BB256_47 Depth=1
	s_or_b64 exec, exec, s[40:41]
	s_and_saveexec_b64 s[40:41], s[16:17]
	s_cbranch_execnz .LBB256_70
.LBB256_54:                             ;   in Loop: Header=BB256_47 Depth=1
	s_or_b64 exec, exec, s[40:41]
	s_and_saveexec_b64 s[40:41], s[18:19]
	s_cbranch_execnz .LBB256_71
.LBB256_55:                             ;   in Loop: Header=BB256_47 Depth=1
	s_or_b64 exec, exec, s[40:41]
	s_and_saveexec_b64 s[40:41], s[20:21]
	s_cbranch_execnz .LBB256_72
.LBB256_56:                             ;   in Loop: Header=BB256_47 Depth=1
	s_or_b64 exec, exec, s[40:41]
	s_and_saveexec_b64 s[40:41], s[22:23]
	s_cbranch_execnz .LBB256_73
.LBB256_57:                             ;   in Loop: Header=BB256_47 Depth=1
	s_or_b64 exec, exec, s[40:41]
	s_and_saveexec_b64 s[40:41], s[24:25]
	s_cbranch_execnz .LBB256_74
.LBB256_58:                             ;   in Loop: Header=BB256_47 Depth=1
	s_or_b64 exec, exec, s[40:41]
	s_and_saveexec_b64 s[40:41], s[26:27]
	s_cbranch_execnz .LBB256_75
.LBB256_59:                             ;   in Loop: Header=BB256_47 Depth=1
	s_or_b64 exec, exec, s[40:41]
	s_and_saveexec_b64 s[40:41], s[28:29]
	s_cbranch_execnz .LBB256_76
.LBB256_60:                             ;   in Loop: Header=BB256_47 Depth=1
	s_or_b64 exec, exec, s[40:41]
	s_and_saveexec_b64 s[40:41], s[30:31]
	s_cbranch_execnz .LBB256_77
.LBB256_61:                             ;   in Loop: Header=BB256_47 Depth=1
	s_or_b64 exec, exec, s[40:41]
	s_and_saveexec_b64 s[40:41], s[34:35]
	s_cbranch_execnz .LBB256_78
.LBB256_62:                             ;   in Loop: Header=BB256_47 Depth=1
	s_or_b64 exec, exec, s[40:41]
	s_and_saveexec_b64 s[40:41], s[36:37]
	s_cbranch_execnz .LBB256_79
.LBB256_63:                             ;   in Loop: Header=BB256_47 Depth=1
	s_or_b64 exec, exec, s[40:41]
	s_and_saveexec_b64 s[36:37], vcc
	s_cbranch_execz .LBB256_46
	s_branch .LBB256_80
.LBB256_64:                             ;   in Loop: Header=BB256_47 Depth=1
	v_mov_b32_e32 v10, s44
	ds_read_b32 v10, v10
	s_waitcnt lgkmcnt(0)
	v_add_u32_e32 v8, v10, v8
	s_or_b64 exec, exec, s[40:41]
	s_and_saveexec_b64 s[40:41], s[6:7]
	s_cbranch_execz .LBB256_49
.LBB256_65:                             ;   in Loop: Header=BB256_47 Depth=1
	v_mov_b32_e32 v10, s45
	ds_read_b32 v10, v10
	s_waitcnt lgkmcnt(0)
	v_add_u32_e32 v8, v10, v8
	s_or_b64 exec, exec, s[40:41]
	s_and_saveexec_b64 s[40:41], s[8:9]
	s_cbranch_execz .LBB256_50
.LBB256_66:                             ;   in Loop: Header=BB256_47 Depth=1
	v_mov_b32_e32 v10, s47
	ds_read_b32 v10, v10
	s_waitcnt lgkmcnt(0)
	v_add_u32_e32 v8, v10, v8
	s_or_b64 exec, exec, s[40:41]
	s_and_saveexec_b64 s[40:41], s[10:11]
	s_cbranch_execz .LBB256_51
.LBB256_67:                             ;   in Loop: Header=BB256_47 Depth=1
	v_mov_b32_e32 v10, s53
	ds_read_b32 v10, v10
	s_waitcnt lgkmcnt(0)
	v_add_u32_e32 v8, v10, v8
	s_or_b64 exec, exec, s[40:41]
	s_and_saveexec_b64 s[40:41], s[12:13]
	s_cbranch_execz .LBB256_52
.LBB256_68:                             ;   in Loop: Header=BB256_47 Depth=1
	v_mov_b32_e32 v10, s54
	ds_read_b32 v10, v10
	s_waitcnt lgkmcnt(0)
	v_add_u32_e32 v8, v10, v8
	s_or_b64 exec, exec, s[40:41]
	s_and_saveexec_b64 s[40:41], s[14:15]
	s_cbranch_execz .LBB256_53
.LBB256_69:                             ;   in Loop: Header=BB256_47 Depth=1
	v_mov_b32_e32 v10, s55
	ds_read_b32 v10, v10
	s_waitcnt lgkmcnt(0)
	v_add_u32_e32 v8, v10, v8
	s_or_b64 exec, exec, s[40:41]
	s_and_saveexec_b64 s[40:41], s[16:17]
	s_cbranch_execz .LBB256_54
.LBB256_70:                             ;   in Loop: Header=BB256_47 Depth=1
	v_mov_b32_e32 v10, s56
	ds_read_b32 v10, v10
	s_waitcnt lgkmcnt(0)
	v_add_u32_e32 v8, v10, v8
	s_or_b64 exec, exec, s[40:41]
	s_and_saveexec_b64 s[40:41], s[18:19]
	s_cbranch_execz .LBB256_55
.LBB256_71:                             ;   in Loop: Header=BB256_47 Depth=1
	v_mov_b32_e32 v10, s57
	ds_read_b32 v10, v10
	s_waitcnt lgkmcnt(0)
	v_add_u32_e32 v8, v10, v8
	s_or_b64 exec, exec, s[40:41]
	s_and_saveexec_b64 s[40:41], s[20:21]
	s_cbranch_execz .LBB256_56
.LBB256_72:                             ;   in Loop: Header=BB256_47 Depth=1
	v_mov_b32_e32 v10, s58
	ds_read_b32 v10, v10
	s_waitcnt lgkmcnt(0)
	v_add_u32_e32 v8, v10, v8
	s_or_b64 exec, exec, s[40:41]
	s_and_saveexec_b64 s[40:41], s[22:23]
	s_cbranch_execz .LBB256_57
.LBB256_73:                             ;   in Loop: Header=BB256_47 Depth=1
	v_mov_b32_e32 v10, s59
	ds_read_b32 v10, v10
	s_waitcnt lgkmcnt(0)
	v_add_u32_e32 v8, v10, v8
	s_or_b64 exec, exec, s[40:41]
	s_and_saveexec_b64 s[40:41], s[24:25]
	s_cbranch_execz .LBB256_58
.LBB256_74:                             ;   in Loop: Header=BB256_47 Depth=1
	v_mov_b32_e32 v10, s60
	ds_read_b32 v10, v10
	s_waitcnt lgkmcnt(0)
	v_add_u32_e32 v8, v10, v8
	s_or_b64 exec, exec, s[40:41]
	s_and_saveexec_b64 s[40:41], s[26:27]
	s_cbranch_execz .LBB256_59
.LBB256_75:                             ;   in Loop: Header=BB256_47 Depth=1
	v_mov_b32_e32 v10, s61
	ds_read_b32 v10, v10
	s_waitcnt lgkmcnt(0)
	v_add_u32_e32 v8, v10, v8
	s_or_b64 exec, exec, s[40:41]
	s_and_saveexec_b64 s[40:41], s[28:29]
	s_cbranch_execz .LBB256_60
.LBB256_76:                             ;   in Loop: Header=BB256_47 Depth=1
	v_mov_b32_e32 v10, s62
	ds_read_b32 v10, v10
	s_waitcnt lgkmcnt(0)
	v_add_u32_e32 v8, v10, v8
	s_or_b64 exec, exec, s[40:41]
	s_and_saveexec_b64 s[40:41], s[30:31]
	s_cbranch_execz .LBB256_61
.LBB256_77:                             ;   in Loop: Header=BB256_47 Depth=1
	v_mov_b32_e32 v10, s63
	ds_read_b32 v10, v10
	s_waitcnt lgkmcnt(0)
	v_add_u32_e32 v8, v10, v8
	s_or_b64 exec, exec, s[40:41]
	s_and_saveexec_b64 s[40:41], s[34:35]
	s_cbranch_execz .LBB256_62
.LBB256_78:                             ;   in Loop: Header=BB256_47 Depth=1
	v_mov_b32_e32 v10, s64
	ds_read_b32 v10, v10
	s_waitcnt lgkmcnt(0)
	v_add_u32_e32 v8, v10, v8
	s_or_b64 exec, exec, s[40:41]
	s_and_saveexec_b64 s[40:41], s[36:37]
	s_cbranch_execz .LBB256_63
.LBB256_79:                             ;   in Loop: Header=BB256_47 Depth=1
	buffer_load_dword v10, off, s[0:3], 0
	buffer_load_dword v11, off, s[0:3], 0 offset:4
	buffer_load_dword v12, off, s[0:3], 0 offset:8
	;; [unrolled: 1-line block ×3, first 2 shown]
	v_add3_u32 v14, v4, -1, v8
	v_lshl_add_u32 v15, v14, 2, 0
	v_lshl_add_u32 v14, v14, 4, 0
	v_add_u32_e32 v14, 0x20000, v14
	ds_write_b32 v15, v9
	s_waitcnt vmcnt(0)
	ds_write2_b64 v14, v[10:11], v[12:13] offset1:1
	s_or_b64 exec, exec, s[40:41]
	s_and_saveexec_b64 s[36:37], vcc
	s_cbranch_execz .LBB256_46
.LBB256_80:                             ;   in Loop: Header=BB256_47 Depth=1
	v_mov_b32_e32 v9, s65
	ds_write_b32 v9, v8
	s_branch .LBB256_46
.LBB256_81:
	s_or_b64 exec, exec, s[38:39]
	s_ashr_i32 s53, s52, 31
	s_lshl_b64 s[4:5], s[52:53], 3
	s_add_u32 s4, s42, s4
	s_addc_u32 s5, s43, s5
	s_load_dwordx4 s[4:7], s[4:5], 0x0
	s_waitcnt lgkmcnt(0)
	s_sub_i32 s12, s6, s4
	v_cmp_gt_i32_e32 vcc, s12, v0
	s_and_saveexec_b64 s[8:9], vcc
	s_cbranch_execz .LBB256_91
; %bb.82:
	s_sub_u32 s8, s4, s46
	s_subb_u32 s9, s5, 0
	s_and_b32 s13, s12, 7
	s_sub_i32 s4, s4, s6
	s_cmp_lt_u32 s4, -7
	s_cselect_b64 s[4:5], -1, 0
	s_and_b32 s14, s12, -8
	s_cmp_lg_u32 s13, 0
	v_cndmask_b32_e64 v1, 0, 1, s[4:5]
	s_cselect_b64 s[6:7], -1, 0
	v_cmp_ne_u32_e64 s[4:5], 1, v1
	v_cndmask_b32_e64 v1, 0, 1, s[6:7]
	s_mov_b64 s[10:11], 0
	v_cmp_ne_u32_e64 s[6:7], 1, v1
	v_mov_b32_e32 v1, s49
	v_mov_b32_e32 v4, s51
	s_branch .LBB256_84
.LBB256_83:                             ;   in Loop: Header=BB256_84 Depth=1
	v_lshl_add_u32 v6, v0, 4, 0
	v_add_u32_e32 v8, 0x20000, v6
	v_lshlrev_b64 v[6:7], 2, v[2:3]
	v_add_co_u32_e32 v6, vcc, s48, v6
	s_waitcnt lgkmcnt(0)
	v_add_u32_e32 v5, s46, v5
	v_addc_co_u32_e32 v7, vcc, v1, v7, vcc
	global_store_dword v[6:7], v5, off
	v_lshlrev_b64 v[2:3], 4, v[2:3]
	ds_read2_b64 v[6:9], v8 offset1:1
	v_add_co_u32_e32 v2, vcc, s50, v2
	v_addc_co_u32_e32 v3, vcc, v4, v3, vcc
	v_add_u32_e32 v0, 0x400, v0
	v_cmp_le_i32_e32 vcc, s12, v0
	s_or_b64 s[10:11], vcc, s[10:11]
	s_waitcnt lgkmcnt(0)
	global_store_dwordx4 v[2:3], v[6:9], off
	s_andn2_b64 exec, exec, s[10:11]
	s_cbranch_execz .LBB256_91
.LBB256_84:                             ; =>This Loop Header: Depth=1
                                        ;     Child Loop BB256_86 Depth 2
                                        ;     Child Loop BB256_90 Depth 2
	v_lshl_add_u32 v2, v0, 2, 0
	ds_read_b32 v5, v2
	s_and_b64 vcc, exec, s[4:5]
	v_pk_mov_b32 v[2:3], s[8:9], s[8:9] op_sel:[0,1]
	s_mov_b32 s15, 0
	s_cbranch_vccnz .LBB256_88
; %bb.85:                               ;   in Loop: Header=BB256_84 Depth=1
	s_mov_b32 s16, 0
	v_pk_mov_b32 v[2:3], s[8:9], s[8:9] op_sel:[0,1]
.LBB256_86:                             ;   Parent Loop BB256_84 Depth=1
                                        ; =>  This Inner Loop Header: Depth=2
	v_mov_b32_e32 v12, s16
	ds_read2_b32 v[6:7], v12 offset1:1
	ds_read2_b32 v[8:9], v12 offset0:2 offset1:3
	ds_read2_b32 v[10:11], v12 offset0:4 offset1:5
	;; [unrolled: 1-line block ×3, first 2 shown]
	s_add_i32 s15, s15, 8
	s_waitcnt lgkmcnt(3)
	v_cmp_gt_i32_e32 vcc, v5, v6
	v_cndmask_b32_e64 v6, 0, 1, vcc
	v_cmp_gt_i32_e32 vcc, v5, v7
	v_cndmask_b32_e64 v7, 0, 1, vcc
	s_waitcnt lgkmcnt(2)
	v_cmp_gt_i32_e32 vcc, v5, v8
	v_cndmask_b32_e64 v8, 0, 1, vcc
	v_cmp_gt_i32_e32 vcc, v5, v9
	v_cndmask_b32_e64 v9, 0, 1, vcc
	;; [unrolled: 5-line block ×4, first 2 shown]
	v_add_co_u32_e32 v2, vcc, v2, v6
	v_addc_co_u32_e32 v3, vcc, 0, v3, vcc
	v_add_co_u32_e32 v2, vcc, v2, v7
	v_addc_co_u32_e32 v3, vcc, 0, v3, vcc
	;; [unrolled: 2-line block ×7, first 2 shown]
	s_add_i32 s16, s16, 32
	v_add_co_u32_e32 v2, vcc, v2, v13
	s_cmp_eq_u32 s14, s15
	v_addc_co_u32_e32 v3, vcc, 0, v3, vcc
	s_cbranch_scc0 .LBB256_86
; %bb.87:                               ;   in Loop: Header=BB256_84 Depth=1
	s_mov_b32 s15, s14
.LBB256_88:                             ;   in Loop: Header=BB256_84 Depth=1
	s_and_b64 vcc, exec, s[6:7]
	s_cbranch_vccnz .LBB256_83
; %bb.89:                               ;   in Loop: Header=BB256_84 Depth=1
	s_lshl_b32 s15, s15, 2
	s_add_i32 s15, s15, 0
	s_mov_b32 s16, s13
.LBB256_90:                             ;   Parent Loop BB256_84 Depth=1
                                        ; =>  This Inner Loop Header: Depth=2
	v_mov_b32_e32 v6, s15
	ds_read_b32 v6, v6
	s_add_i32 s15, s15, 4
	s_add_i32 s16, s16, -1
	s_cmp_lg_u32 s16, 0
	s_waitcnt lgkmcnt(0)
	v_cmp_gt_i32_e32 vcc, v5, v6
	v_cndmask_b32_e64 v6, 0, 1, vcc
	v_add_co_u32_e32 v2, vcc, v2, v6
	v_addc_co_u32_e32 v3, vcc, 0, v3, vcc
	s_cbranch_scc1 .LBB256_90
	s_branch .LBB256_83
.LBB256_91:
	s_endpgm
	.section	.rodata,"a",@progbits
	.p2align	6, 0x0
	.amdhsa_kernel _ZN9rocsparseL26csrgemm_fill_block_per_rowILj1024ELj64ELj32768ELj137ELj64Eli21rocsparse_complex_numIdEEEvT5_PKS3_S5_NS_24const_host_device_scalarIT6_EEPKT4_S5_PKS7_SB_S5_SD_S8_SB_S5_SD_SB_PS3_PS7_21rocsparse_index_base_SG_SG_SG_bbb
		.amdhsa_group_segment_fixed_size 0
		.amdhsa_private_segment_fixed_size 40
		.amdhsa_kernarg_size 172
		.amdhsa_user_sgpr_count 8
		.amdhsa_user_sgpr_private_segment_buffer 1
		.amdhsa_user_sgpr_dispatch_ptr 0
		.amdhsa_user_sgpr_queue_ptr 0
		.amdhsa_user_sgpr_kernarg_segment_ptr 1
		.amdhsa_user_sgpr_dispatch_id 0
		.amdhsa_user_sgpr_flat_scratch_init 1
		.amdhsa_user_sgpr_kernarg_preload_length 0
		.amdhsa_user_sgpr_kernarg_preload_offset 0
		.amdhsa_user_sgpr_private_segment_size 0
		.amdhsa_uses_dynamic_stack 0
		.amdhsa_system_sgpr_private_segment_wavefront_offset 1
		.amdhsa_system_sgpr_workgroup_id_x 1
		.amdhsa_system_sgpr_workgroup_id_y 0
		.amdhsa_system_sgpr_workgroup_id_z 0
		.amdhsa_system_sgpr_workgroup_info 0
		.amdhsa_system_vgpr_workitem_id 0
		.amdhsa_next_free_vgpr 38
		.amdhsa_next_free_sgpr 67
		.amdhsa_accum_offset 40
		.amdhsa_reserve_vcc 1
		.amdhsa_reserve_flat_scratch 1
		.amdhsa_float_round_mode_32 0
		.amdhsa_float_round_mode_16_64 0
		.amdhsa_float_denorm_mode_32 3
		.amdhsa_float_denorm_mode_16_64 3
		.amdhsa_dx10_clamp 1
		.amdhsa_ieee_mode 1
		.amdhsa_fp16_overflow 0
		.amdhsa_tg_split 0
		.amdhsa_exception_fp_ieee_invalid_op 0
		.amdhsa_exception_fp_denorm_src 0
		.amdhsa_exception_fp_ieee_div_zero 0
		.amdhsa_exception_fp_ieee_overflow 0
		.amdhsa_exception_fp_ieee_underflow 0
		.amdhsa_exception_fp_ieee_inexact 0
		.amdhsa_exception_int_div_zero 0
	.end_amdhsa_kernel
	.section	.text._ZN9rocsparseL26csrgemm_fill_block_per_rowILj1024ELj64ELj32768ELj137ELj64Eli21rocsparse_complex_numIdEEEvT5_PKS3_S5_NS_24const_host_device_scalarIT6_EEPKT4_S5_PKS7_SB_S5_SD_S8_SB_S5_SD_SB_PS3_PS7_21rocsparse_index_base_SG_SG_SG_bbb,"axG",@progbits,_ZN9rocsparseL26csrgemm_fill_block_per_rowILj1024ELj64ELj32768ELj137ELj64Eli21rocsparse_complex_numIdEEEvT5_PKS3_S5_NS_24const_host_device_scalarIT6_EEPKT4_S5_PKS7_SB_S5_SD_S8_SB_S5_SD_SB_PS3_PS7_21rocsparse_index_base_SG_SG_SG_bbb,comdat
.Lfunc_end256:
	.size	_ZN9rocsparseL26csrgemm_fill_block_per_rowILj1024ELj64ELj32768ELj137ELj64Eli21rocsparse_complex_numIdEEEvT5_PKS3_S5_NS_24const_host_device_scalarIT6_EEPKT4_S5_PKS7_SB_S5_SD_S8_SB_S5_SD_SB_PS3_PS7_21rocsparse_index_base_SG_SG_SG_bbb, .Lfunc_end256-_ZN9rocsparseL26csrgemm_fill_block_per_rowILj1024ELj64ELj32768ELj137ELj64Eli21rocsparse_complex_numIdEEEvT5_PKS3_S5_NS_24const_host_device_scalarIT6_EEPKT4_S5_PKS7_SB_S5_SD_S8_SB_S5_SD_SB_PS3_PS7_21rocsparse_index_base_SG_SG_SG_bbb
                                        ; -- End function
	.section	.AMDGPU.csdata,"",@progbits
; Kernel info:
; codeLenInByte = 3756
; NumSgprs: 73
; NumVgprs: 38
; NumAgprs: 0
; TotalNumVgprs: 38
; ScratchSize: 40
; MemoryBound: 0
; FloatMode: 240
; IeeeMode: 1
; LDSByteSize: 0 bytes/workgroup (compile time only)
; SGPRBlocks: 9
; VGPRBlocks: 4
; NumSGPRsForWavesPerEU: 73
; NumVGPRsForWavesPerEU: 38
; AccumOffset: 40
; Occupancy: 8
; WaveLimiterHint : 1
; COMPUTE_PGM_RSRC2:SCRATCH_EN: 1
; COMPUTE_PGM_RSRC2:USER_SGPR: 8
; COMPUTE_PGM_RSRC2:TRAP_HANDLER: 0
; COMPUTE_PGM_RSRC2:TGID_X_EN: 1
; COMPUTE_PGM_RSRC2:TGID_Y_EN: 0
; COMPUTE_PGM_RSRC2:TGID_Z_EN: 0
; COMPUTE_PGM_RSRC2:TIDIG_COMP_CNT: 0
; COMPUTE_PGM_RSRC3_GFX90A:ACCUM_OFFSET: 9
; COMPUTE_PGM_RSRC3_GFX90A:TG_SPLIT: 0
	.section	.text._ZN9rocsparseL36csrgemm_fill_block_per_row_multipassILj512ELj16ELj2048ELj32Eli21rocsparse_complex_numIdEEEvT4_PKS3_S5_NS_24const_host_device_scalarIT5_EEPKT3_S5_PKS7_SB_S5_SD_S8_SB_S5_SD_SB_PS3_PS7_PS9_21rocsparse_index_base_SH_SH_SH_bbb,"axG",@progbits,_ZN9rocsparseL36csrgemm_fill_block_per_row_multipassILj512ELj16ELj2048ELj32Eli21rocsparse_complex_numIdEEEvT4_PKS3_S5_NS_24const_host_device_scalarIT5_EEPKT3_S5_PKS7_SB_S5_SD_S8_SB_S5_SD_SB_PS3_PS7_PS9_21rocsparse_index_base_SH_SH_SH_bbb,comdat
	.globl	_ZN9rocsparseL36csrgemm_fill_block_per_row_multipassILj512ELj16ELj2048ELj32Eli21rocsparse_complex_numIdEEEvT4_PKS3_S5_NS_24const_host_device_scalarIT5_EEPKT3_S5_PKS7_SB_S5_SD_S8_SB_S5_SD_SB_PS3_PS7_PS9_21rocsparse_index_base_SH_SH_SH_bbb ; -- Begin function _ZN9rocsparseL36csrgemm_fill_block_per_row_multipassILj512ELj16ELj2048ELj32Eli21rocsparse_complex_numIdEEEvT4_PKS3_S5_NS_24const_host_device_scalarIT5_EEPKT3_S5_PKS7_SB_S5_SD_S8_SB_S5_SD_SB_PS3_PS7_PS9_21rocsparse_index_base_SH_SH_SH_bbb
	.p2align	8
	.type	_ZN9rocsparseL36csrgemm_fill_block_per_row_multipassILj512ELj16ELj2048ELj32Eli21rocsparse_complex_numIdEEEvT4_PKS3_S5_NS_24const_host_device_scalarIT5_EEPKT3_S5_PKS7_SB_S5_SD_S8_SB_S5_SD_SB_PS3_PS7_PS9_21rocsparse_index_base_SH_SH_SH_bbb,@function
_ZN9rocsparseL36csrgemm_fill_block_per_row_multipassILj512ELj16ELj2048ELj32Eli21rocsparse_complex_numIdEEEvT4_PKS3_S5_NS_24const_host_device_scalarIT5_EEPKT3_S5_PKS7_SB_S5_SD_S8_SB_S5_SD_SB_PS3_PS7_PS9_21rocsparse_index_base_SH_SH_SH_bbb: ; @_ZN9rocsparseL36csrgemm_fill_block_per_row_multipassILj512ELj16ELj2048ELj32Eli21rocsparse_complex_numIdEEEvT4_PKS3_S5_NS_24const_host_device_scalarIT5_EEPKT3_S5_PKS7_SB_S5_SD_S8_SB_S5_SD_SB_PS3_PS7_PS9_21rocsparse_index_base_SH_SH_SH_bbb
; %bb.0:
	s_load_dword s9, s[6:7], 0xb0
	s_load_dwordx8 s[12:19], s[6:7], 0x8
	s_load_dwordx2 s[2:3], s[4:5], 0x4
	s_load_dwordx4 s[56:59], s[6:7], 0xa0
	s_load_dwordx4 s[20:23], s[6:7], 0x58
	v_and_b32_e32 v17, 0x3ff, v0
	s_waitcnt lgkmcnt(0)
	s_bitcmp1_b32 s9, 0
	s_cselect_b64 s[10:11], -1, 0
	s_bitcmp1_b32 s9, 16
	s_cselect_b64 s[0:1], -1, 0
	s_lshr_b32 s2, s2, 16
	s_mul_i32 s2, s2, s3
	v_bfe_u32 v2, v0, 10, 10
	v_mul_lo_u32 v1, s2, v17
	v_mul_u32_u24_e32 v2, s3, v2
	v_bfe_u32 v0, v0, 20, 10
	v_add3_u32 v0, v1, v2, v0
	s_xor_b64 s[4:5], s[0:1], -1
	v_lshlrev_b32_e32 v1, 3, v0
	v_pk_mov_b32 v[10:11], 0, 0
	v_pk_mov_b32 v[2:3], s[16:17], s[16:17] op_sel:[0,1]
	v_pk_mov_b32 v[4:5], s[20:21], s[20:21] op_sel:[0,1]
	v_add_u32_e32 v6, 8, v1
	s_bitcmp0_b32 s9, 0
	v_pk_mov_b32 v[8:9], v[10:11], v[10:11] op_sel:[0,1]
	v_pk_mov_b32 v[12:13], v[10:11], v[10:11] op_sel:[0,1]
	ds_write2st64_b64 v6, v[4:5], v[2:3] offset0:68 offset1:76
	s_cbranch_scc1 .LBB257_3
; %bb.1:
	s_mov_b64 s[2:3], src_shared_base
	s_and_b64 s[24:25], s[0:1], exec
	v_add_u32_e32 v2, 0x9808, v1
	s_cselect_b32 s2, s3, s17
	v_mov_b32_e32 v3, s16
	v_cndmask_b32_e64 v2, v3, v2, s[0:1]
	v_mov_b32_e32 v3, s2
	flat_load_dwordx2 v[8:9], v[2:3]
	s_andn2_b64 vcc, exec, s[4:5]
	v_pk_mov_b32 v[12:13], s[18:19], s[18:19] op_sel:[0,1]
	s_cbranch_vccnz .LBB257_3
; %bb.2:
	v_pk_mov_b32 v[2:3], s[16:17], s[16:17] op_sel:[0,1]
	flat_load_dwordx2 v[12:13], v[2:3] offset:8
.LBB257_3:
	s_load_dwordx2 s[16:17], s[6:7], 0x28
	s_bitcmp1_b32 s9, 8
	s_cselect_b64 s[64:65], -1, 0
	s_bfe_u32 s9, s9, 0x10008
	s_mov_b64 s[2:3], 0
	s_cmp_eq_u32 s9, 0
	v_pk_mov_b32 v[14:15], v[10:11], v[10:11] op_sel:[0,1]
	s_cbranch_scc1 .LBB257_6
; %bb.4:
	s_mov_b64 s[18:19], src_shared_base
	s_and_b64 s[24:25], s[0:1], exec
	v_add_u32_e32 v1, 0x8808, v1
	s_cselect_b32 s9, s19, s21
	v_mov_b32_e32 v2, s20
	v_cndmask_b32_e64 v2, v2, v1, s[0:1]
	v_mov_b32_e32 v3, s9
	flat_load_dwordx2 v[14:15], v[2:3]
	s_andn2_b64 vcc, exec, s[4:5]
	v_pk_mov_b32 v[10:11], s[22:23], s[22:23] op_sel:[0,1]
	s_cbranch_vccnz .LBB257_6
; %bb.5:
	v_pk_mov_b32 v[2:3], s[20:21], s[20:21] op_sel:[0,1]
	flat_load_dwordx2 v[10:11], v[2:3] offset:8
.LBB257_6:
	s_load_dword s0, s[12:13], 0x0
	s_mov_b32 s1, 0
	v_cndmask_b32_e64 v1, 0, 1, s[10:11]
	s_waitcnt lgkmcnt(0)
	s_add_i32 s0, s0, s8
	s_lshl_b64 s[0:1], s[0:1], 2
	s_add_u32 s0, s14, s0
	s_addc_u32 s1, s15, s1
	s_load_dword s4, s[0:1], 0x0
	v_cmp_ne_u32_e64 s[0:1], 1, v1
	s_andn2_b64 vcc, exec, s[10:11]
	s_cbranch_vccz .LBB257_9
; %bb.7:
	s_and_b64 vcc, exec, s[0:1]
	s_mov_b64 s[66:67], 0
	s_cbranch_vccz .LBB257_10
.LBB257_8:
	s_load_dword s33, s[6:7], 0x0
	s_waitcnt lgkmcnt(0)
	s_cmp_lt_i32 s33, 1
	s_cbranch_scc0 .LBB257_11
	s_branch .LBB257_64
.LBB257_9:
	s_waitcnt lgkmcnt(0)
	s_ashr_i32 s5, s4, 31
	s_lshl_b64 s[2:3], s[4:5], 3
	s_add_u32 s2, s16, s2
	s_addc_u32 s3, s17, s3
	s_load_dwordx2 s[2:3], s[2:3], 0x0
	s_waitcnt lgkmcnt(0)
	s_sub_u32 s2, s2, s56
	s_subb_u32 s3, s3, 0
	s_and_b64 vcc, exec, s[0:1]
	s_mov_b64 s[66:67], 0
	s_cbranch_vccnz .LBB257_8
.LBB257_10:
	s_waitcnt lgkmcnt(0)
	s_ashr_i32 s5, s4, 31
	s_lshl_b64 s[0:1], s[4:5], 3
	s_add_u32 s0, s16, s0
	s_addc_u32 s1, s17, s1
	s_load_dwordx2 s[0:1], s[0:1], 0x8
	s_waitcnt lgkmcnt(0)
	s_sub_u32 s66, s0, s56
	s_subb_u32 s67, s1, 0
	s_load_dword s33, s[6:7], 0x0
	s_waitcnt lgkmcnt(0)
	s_cmp_lt_i32 s33, 1
	s_cbranch_scc1 .LBB257_64
.LBB257_11:
	s_load_dwordx2 s[68:69], s[6:7], 0x98
	s_load_dwordx4 s[60:63], s[6:7], 0x88
	s_load_dwordx8 s[40:47], s[6:7], 0x68
	s_load_dwordx2 s[38:39], s[6:7], 0x50
	s_load_dwordx8 s[48:55], s[6:7], 0x30
	s_ashr_i32 s5, s4, 31
	s_lshl_b64 s[4:5], s[4:5], 3
	s_waitcnt lgkmcnt(0)
	s_add_u32 s0, s46, s4
	s_addc_u32 s1, s47, s5
	s_load_dwordx2 s[0:1], s[0:1], 0x0
	v_lshrrev_b32_e32 v1, 4, v17
	v_mov_b32_e32 v2, 0xa808
	v_lshl_add_u32 v42, v0, 4, v2
	v_mov_b32_e32 v2, s3
	s_waitcnt lgkmcnt(0)
	s_sub_u32 s70, s0, s58
	v_add_co_u32_e32 v18, vcc, s2, v1
	s_subb_u32 s71, s1, 0
	v_addc_co_u32_e32 v19, vcc, 0, v2, vcc
	v_cmp_gt_i64_e32 vcc, s[66:67], v[18:19]
	s_add_u32 s40, s40, s4
	s_addc_u32 s41, s41, s5
	s_and_b64 s[46:47], s[10:11], vcc
	s_add_u32 s85, s52, 8
	s_addc_u32 s86, s53, 0
	s_add_u32 s87, s60, -4
	s_addc_u32 s88, s61, -1
	s_add_u32 s89, s62, -16
	s_addc_u32 s90, s63, -1
	s_add_u32 s91, s38, 8
	s_addc_u32 s92, s39, 0
	s_add_u32 s38, s44, 8
                                        ; implicit-def: $vgpr55 : SGPR spill to VGPR lane
	v_mbcnt_lo_u32_b32 v1, -1, 0
	v_writelane_b32 v55, s38, 0
	v_writelane_b32 v55, s40, 1
	;; [unrolled: 1-line block ×4, first 2 shown]
	v_subrev_co_u32_e64 v43, s[4:5], s59, v17
	v_mbcnt_hi_u32_b32 v1, -1, v1
	v_writelane_b32 v55, s43, 4
	v_subb_co_u32_e64 v44, s[4:5], 0, 0, s[4:5]
	v_sub_u32_e32 v1, 63, v1
	v_writelane_b32 v55, s44, 5
	v_and_b32_e32 v16, 15, v17
	s_mov_b32 s93, 0
	v_mov_b32_e32 v0, 0
	v_lshrrev_b64 v[20:21], v1, -1
	v_lshrrev_b32_e32 v1, 3, v17
	s_movk_i32 s4, 0x1ff
	s_movk_i32 s10, 0x60
	;; [unrolled: 1-line block ×14, first 2 shown]
	v_writelane_b32 v55, s45, 6
	v_cmp_eq_u32_e64 s[0:1], 0, v17
	s_mov_b32 s83, s57
	v_cmp_eq_u32_e64 s[2:3], 15, v16
	s_mov_b32 s84, s59
	v_and_b32_e32 v45, 60, v1
	v_cmp_eq_u32_e64 s[4:5], s4, v17
	v_cmp_gt_u32_e64 s[6:7], 32, v17
	v_cmp_gt_u32_e64 s[8:9], 64, v17
	;; [unrolled: 1-line block ×15, first 2 shown]
	v_or_b32_e32 v46, 0xfffffe00, v17
	v_lshlrev_b32_e32 v47, 4, v17
	v_writelane_b32 v55, s46, 7
	s_addc_u32 s94, s45, 0
	v_mov_b32_e32 v49, 0x800
	v_pk_mov_b32 v[22:23], s[70:71], s[70:71] op_sel:[0,1]
	v_mov_b32_e32 v1, v0
	v_mov_b32_e32 v2, v0
	;; [unrolled: 1-line block ×3, first 2 shown]
	s_movk_i32 s95, 0x5ff
	v_mov_b32_e32 v48, 1
	s_mov_b32 s82, s93
	v_writelane_b32 v55, s47, 8
	s_branch .LBB257_13
.LBB257_12:                             ;   in Loop: Header=BB257_13 Depth=1
	s_or_b64 exec, exec, s[38:39]
	ds_read_b32 v4, v0 offset:34816
	s_waitcnt lgkmcnt(0)
	s_barrier
	v_cmp_le_i32_e32 vcc, s33, v4
	v_readfirstlane_b32 s82, v4
	v_add_u32_e32 v49, 0x800, v4
	s_cbranch_vccnz .LBB257_64
.LBB257_13:                             ; =>This Loop Header: Depth=1
                                        ;     Child Loop BB257_14 Depth 2
                                        ;     Child Loop BB257_20 Depth 2
                                        ;       Child Loop BB257_26 Depth 3
                                        ;     Child Loop BB257_43 Depth 2
                                        ;     Child Loop BB257_55 Depth 2
	;; [unrolled: 1-line block ×3, first 2 shown]
	s_mov_b64 s[38:39], 0
	v_mov_b32_e32 v4, v47
	v_mov_b32_e32 v5, v46
.LBB257_14:                             ;   Parent Loop BB257_13 Depth=1
                                        ; =>  This Inner Loop Header: Depth=2
	ds_write_b8 v5, v0 offset:33280
	ds_write_b128 v4, v[0:3]
	v_add_u32_e32 v5, 0x200, v5
	v_cmp_lt_u32_e32 vcc, s95, v5
	s_or_b64 s[38:39], vcc, s[38:39]
	v_add_u32_e32 v4, 0x2000, v4
	s_andn2_b64 exec, exec, s[38:39]
	s_cbranch_execnz .LBB257_14
; %bb.15:                               ;   in Loop: Header=BB257_13 Depth=1
	s_or_b64 exec, exec, s[38:39]
	s_and_saveexec_b64 s[38:39], s[0:1]
	s_cbranch_execz .LBB257_17
; %bb.16:                               ;   in Loop: Header=BB257_13 Depth=1
	v_mov_b32_e32 v4, s33
	ds_write_b32 v0, v4 offset:34816
.LBB257_17:                             ;   in Loop: Header=BB257_13 Depth=1
	s_or_b64 exec, exec, s[38:39]
	v_mov_b32_e32 v50, s33
	s_waitcnt lgkmcnt(0)
	s_barrier
	s_and_saveexec_b64 s[44:45], s[46:47]
	s_cbranch_execz .LBB257_39
; %bb.18:                               ;   in Loop: Header=BB257_13 Depth=1
	s_cmp_lg_u32 s82, 0
	s_mov_b64 s[60:61], 0
	s_cselect_b64 s[62:63], -1, 0
	v_mov_b32_e32 v50, s33
	v_pk_mov_b32 v[24:25], v[18:19], v[18:19] op_sel:[0,1]
	s_branch .LBB257_20
.LBB257_19:                             ;   in Loop: Header=BB257_20 Depth=2
	s_or_b64 exec, exec, s[38:39]
	v_add_co_u32_e32 v24, vcc, 32, v24
	v_addc_co_u32_e32 v25, vcc, 0, v25, vcc
	v_cmp_le_i64_e32 vcc, s[66:67], v[24:25]
	s_or_b64 s[60:61], vcc, s[60:61]
	s_andn2_b64 exec, exec, s[60:61]
	s_cbranch_execz .LBB257_38
.LBB257_20:                             ;   Parent Loop BB257_13 Depth=1
                                        ; =>  This Loop Header: Depth=2
                                        ;       Child Loop BB257_26 Depth 3
	v_lshlrev_b64 v[4:5], 2, v[24:25]
	v_mov_b32_e32 v6, s49
	v_add_co_u32_e32 v4, vcc, s48, v4
	v_addc_co_u32_e32 v5, vcc, v6, v5, vcc
	global_load_dword v28, v[4:5], off
	v_lshlrev_b64 v[4:5], 4, v[24:25]
	v_mov_b32_e32 v6, s51
	v_add_co_u32_e32 v4, vcc, s50, v4
	v_addc_co_u32_e32 v5, vcc, v6, v5, vcc
	global_load_dwordx4 v[4:7], v[4:5], off
	s_and_b64 vcc, exec, s[62:63]
	v_lshlrev_b64 v[26:27], 3, v[24:25]
	s_waitcnt vmcnt(0)
	v_subrev_u32_e32 v28, s56, v28
	v_ashrrev_i32_e32 v29, 31, v28
	s_cbranch_vccz .LBB257_37
; %bb.21:                               ;   in Loop: Header=BB257_20 Depth=2
	v_mov_b32_e32 v31, s69
	v_add_co_u32_e32 v30, vcc, s68, v26
	v_addc_co_u32_e32 v31, vcc, v31, v27, vcc
	global_load_dwordx2 v[32:33], v[30:31], off
	s_cbranch_execnz .LBB257_23
.LBB257_22:                             ;   in Loop: Header=BB257_20 Depth=2
	v_lshlrev_b64 v[30:31], 3, v[28:29]
	s_waitcnt vmcnt(0)
	v_mov_b32_e32 v32, s53
	v_add_co_u32_e32 v30, vcc, s52, v30
	v_addc_co_u32_e32 v31, vcc, v32, v31, vcc
	global_load_dwordx2 v[30:31], v[30:31], off
	v_mov_b32_e32 v33, s93
	s_waitcnt vmcnt(0)
	v_subrev_co_u32_e32 v32, vcc, s83, v30
	v_subb_co_u32_e32 v33, vcc, v31, v33, vcc
.LBB257_23:                             ;   in Loop: Header=BB257_20 Depth=2
	v_lshlrev_b64 v[28:29], 3, v[28:29]
	v_mov_b32_e32 v30, s86
	v_add_co_u32_e32 v28, vcc, s85, v28
	v_addc_co_u32_e32 v29, vcc, v30, v29, vcc
	global_load_dwordx2 v[28:29], v[28:29], off
	v_mov_b32_e32 v31, s93
	s_waitcnt vmcnt(0)
	v_subrev_co_u32_e32 v30, vcc, s83, v28
	v_subb_co_u32_e32 v31, vcc, v29, v31, vcc
	v_add_co_u32_e32 v28, vcc, v32, v16
	v_addc_co_u32_e32 v29, vcc, 0, v33, vcc
	v_cmp_lt_i64_e32 vcc, v[28:29], v[30:31]
	s_and_saveexec_b64 s[70:71], vcc
	s_cbranch_execz .LBB257_35
; %bb.24:                               ;   in Loop: Header=BB257_20 Depth=2
	v_mul_f64 v[32:33], v[6:7], -v[12:13]
	v_mul_f64 v[6:7], v[8:9], v[6:7]
	v_fmac_f64_e32 v[32:33], v[8:9], v[4:5]
	v_fmac_f64_e32 v[6:7], v[12:13], v[4:5]
	v_lshlrev_b64 v[4:5], 2, v[28:29]
	v_mov_b32_e32 v34, s55
	v_add_co_u32_e32 v4, vcc, s54, v4
	v_addc_co_u32_e32 v5, vcc, v34, v5, vcc
	v_lshlrev_b64 v[34:35], 4, v[28:29]
	v_mov_b32_e32 v36, s92
	v_add_co_u32_e32 v34, vcc, s91, v34
	v_addc_co_u32_e32 v35, vcc, v36, v35, vcc
	s_mov_b64 s[74:75], 0
	v_pk_mov_b32 v[36:37], v[28:29], v[28:29] op_sel:[0,1]
                                        ; implicit-def: $sgpr72_sgpr73
                                        ; implicit-def: $sgpr76_sgpr77
	s_branch .LBB257_26
.LBB257_25:                             ;   in Loop: Header=BB257_26 Depth=3
	s_or_b64 exec, exec, s[78:79]
	s_and_b64 s[38:39], exec, s[80:81]
	s_or_b64 s[74:75], s[38:39], s[74:75]
	s_andn2_b64 s[38:39], s[72:73], exec
	s_and_b64 s[42:43], s[76:77], exec
	s_or_b64 s[72:73], s[38:39], s[42:43]
	v_pk_mov_b32 v[36:37], v[38:39], v[38:39] op_sel:[0,1]
	s_andn2_b64 exec, exec, s[74:75]
	s_cbranch_execz .LBB257_32
.LBB257_26:                             ;   Parent Loop BB257_13 Depth=1
                                        ;     Parent Loop BB257_20 Depth=2
                                        ; =>    This Inner Loop Header: Depth=3
	global_load_dword v38, v[4:5], off
                                        ; implicit-def: $sgpr78_sgpr79
	s_waitcnt vmcnt(0)
	v_subrev_u32_e32 v51, s57, v38
	v_cmp_gt_i32_e32 vcc, s82, v51
	v_cmp_ge_i32_e64 s[38:39], v51, v49
	s_or_b64 s[80:81], vcc, s[38:39]
	s_mov_b64 s[38:39], 0
	s_and_saveexec_b64 vcc, s[80:81]
	s_xor_b64 s[80:81], exec, vcc
; %bb.27:                               ;   in Loop: Header=BB257_26 Depth=3
	v_cmp_lt_i32_e32 vcc, v51, v49
	s_mov_b64 s[78:79], -1
	s_and_b64 s[38:39], vcc, exec
; %bb.28:                               ;   in Loop: Header=BB257_26 Depth=3
	s_andn2_saveexec_b64 s[80:81], s[80:81]
	s_cbranch_execz .LBB257_30
; %bb.29:                               ;   in Loop: Header=BB257_26 Depth=3
	global_load_dwordx4 v[38:41], v[34:35], off offset:-8
	v_subrev_u32_e32 v52, s82, v51
	ds_write_b8 v52, v48 offset:32768
	v_lshlrev_b32_e32 v54, 4, v52
	s_or_b64 s[38:39], s[38:39], exec
	s_waitcnt vmcnt(0)
	v_mul_f64 v[52:53], v[40:41], -v[6:7]
	v_mul_f64 v[40:41], v[32:33], v[40:41]
	v_fmac_f64_e32 v[52:53], v[32:33], v[38:39]
	v_fmac_f64_e32 v[40:41], v[6:7], v[38:39]
	ds_add_f64 v54, v[52:53]
	ds_add_f64 v54, v[40:41] offset:8
.LBB257_30:                             ;   in Loop: Header=BB257_26 Depth=3
	s_or_b64 exec, exec, s[80:81]
	s_andn2_b64 s[42:43], s[76:77], exec
	s_and_b64 s[76:77], s[78:79], exec
	s_mov_b64 s[80:81], -1
	s_or_b64 s[76:77], s[42:43], s[76:77]
	v_pk_mov_b32 v[40:41], v[36:37], v[36:37] op_sel:[0,1]
                                        ; implicit-def: $vgpr38_vgpr39
	s_and_saveexec_b64 s[78:79], s[38:39]
	s_cbranch_execz .LBB257_25
; %bb.31:                               ;   in Loop: Header=BB257_26 Depth=3
	v_add_co_u32_e32 v38, vcc, 16, v36
	v_addc_co_u32_e32 v39, vcc, 0, v37, vcc
	v_add_co_u32_e32 v4, vcc, 64, v4
	v_addc_co_u32_e32 v5, vcc, 0, v5, vcc
	;; [unrolled: 2-line block ×3, first 2 shown]
	v_cmp_ge_i64_e32 vcc, v[38:39], v[30:31]
	s_andn2_b64 s[76:77], s[76:77], exec
	s_orn2_b64 s[80:81], vcc, exec
	v_pk_mov_b32 v[40:41], v[36:37], v[36:37] op_sel:[0,1]
	s_branch .LBB257_25
.LBB257_32:                             ;   in Loop: Header=BB257_20 Depth=2
	s_or_b64 exec, exec, s[74:75]
	s_and_saveexec_b64 s[38:39], s[72:73]
	s_xor_b64 s[38:39], exec, s[38:39]
; %bb.33:                               ;   in Loop: Header=BB257_20 Depth=2
	v_min_i32_e32 v50, v51, v50
	v_pk_mov_b32 v[28:29], v[40:41], v[40:41] op_sel:[0,1]
; %bb.34:                               ;   in Loop: Header=BB257_20 Depth=2
	s_or_b64 exec, exec, s[38:39]
.LBB257_35:                             ;   in Loop: Header=BB257_20 Depth=2
	s_or_b64 exec, exec, s[70:71]
	v_mov_b32_dpp v4, v28 row_shr:1 row_mask:0xf bank_mask:0xf
	v_mov_b32_dpp v5, v29 row_shr:1 row_mask:0xf bank_mask:0xf
	v_cmp_lt_i64_e32 vcc, v[4:5], v[28:29]
	v_cndmask_b32_e32 v5, v29, v5, vcc
	v_cndmask_b32_e32 v4, v28, v4, vcc
	s_nop 0
	v_mov_b32_dpp v7, v5 row_shr:2 row_mask:0xf bank_mask:0xf
	v_mov_b32_dpp v6, v4 row_shr:2 row_mask:0xf bank_mask:0xf
	v_cmp_lt_i64_e32 vcc, v[6:7], v[4:5]
	v_cndmask_b32_e32 v5, v5, v7, vcc
	v_cndmask_b32_e32 v4, v4, v6, vcc
	s_nop 0
	;; [unrolled: 6-line block ×3, first 2 shown]
	v_mov_b32_dpp v7, v5 row_shr:8 row_mask:0xf bank_mask:0xc
	v_mov_b32_dpp v6, v4 row_shr:8 row_mask:0xf bank_mask:0xc
	s_and_saveexec_b64 s[38:39], s[2:3]
	s_cbranch_execz .LBB257_19
; %bb.36:                               ;   in Loop: Header=BB257_20 Depth=2
	v_cmp_lt_i64_e32 vcc, v[6:7], v[4:5]
	v_cndmask_b32_e32 v5, v5, v7, vcc
	v_cndmask_b32_e32 v4, v4, v6, vcc
	v_mov_b32_e32 v7, s69
	v_add_co_u32_e32 v6, vcc, s68, v26
	v_addc_co_u32_e32 v7, vcc, v7, v27, vcc
	global_store_dwordx2 v[6:7], v[4:5], off
	s_branch .LBB257_19
.LBB257_37:                             ;   in Loop: Header=BB257_20 Depth=2
                                        ; implicit-def: $vgpr32_vgpr33
	s_branch .LBB257_22
.LBB257_38:                             ;   in Loop: Header=BB257_13 Depth=1
	s_or_b64 exec, exec, s[60:61]
.LBB257_39:                             ;   in Loop: Header=BB257_13 Depth=1
	s_or_b64 exec, exec, s[44:45]
	s_andn2_b64 vcc, exec, s[64:65]
	s_cbranch_vccnz .LBB257_53
; %bb.40:                               ;   in Loop: Header=BB257_13 Depth=1
	s_load_dwordx4 s[72:75], s[40:41], 0x0
	s_waitcnt lgkmcnt(0)
	s_sub_u32 s60, s74, s84
	v_mov_b32_e32 v5, s73
	v_add_co_u32_e32 v4, vcc, s72, v43
	s_subb_u32 s61, s75, 0
	v_addc_co_u32_e32 v5, vcc, v5, v44, vcc
	v_cmp_gt_i64_e32 vcc, s[60:61], v[4:5]
	s_and_saveexec_b64 s[44:45], vcc
	s_cbranch_execz .LBB257_52
; %bb.41:                               ;   in Loop: Header=BB257_13 Depth=1
	v_readlane_b32 s72, v55, 1
	v_readlane_b32 s74, v55, 3
	;; [unrolled: 1-line block ×3, first 2 shown]
	v_lshlrev_b64 v[6:7], 2, v[4:5]
	s_mov_b64 s[38:39], s[74:75]
	v_mov_b32_e32 v24, s39
	v_add_co_u32_e32 v6, vcc, s38, v6
	v_addc_co_u32_e32 v7, vcc, v24, v7, vcc
	v_lshlrev_b64 v[24:25], 4, v[4:5]
	v_readlane_b32 s38, v55, 0
	v_mov_b32_e32 v26, s94
	v_add_co_u32_e32 v24, vcc, s38, v24
	v_readlane_b32 s73, v55, 2
	v_addc_co_u32_e32 v25, vcc, v26, v25, vcc
	s_mov_b64 s[62:63], 0
	v_readlane_b32 s76, v55, 5
	v_readlane_b32 s77, v55, 6
	;; [unrolled: 1-line block ×4, first 2 shown]
                                        ; implicit-def: $sgpr70_sgpr71
                                        ; implicit-def: $sgpr72_sgpr73
	s_branch .LBB257_43
.LBB257_42:                             ;   in Loop: Header=BB257_43 Depth=2
	s_or_b64 exec, exec, s[74:75]
	s_and_b64 s[38:39], exec, s[76:77]
	s_or_b64 s[62:63], s[38:39], s[62:63]
	s_andn2_b64 s[38:39], s[70:71], exec
	s_and_b64 s[42:43], s[72:73], exec
	s_or_b64 s[70:71], s[38:39], s[42:43]
	s_andn2_b64 exec, exec, s[62:63]
	s_cbranch_execz .LBB257_49
.LBB257_43:                             ;   Parent Loop BB257_13 Depth=1
                                        ; =>  This Inner Loop Header: Depth=2
	global_load_dword v26, v[6:7], off
                                        ; implicit-def: $sgpr74_sgpr75
	s_waitcnt vmcnt(0)
	v_subrev_u32_e32 v26, s59, v26
	v_cmp_gt_i32_e32 vcc, s82, v26
	v_cmp_ge_i32_e64 s[38:39], v26, v49
	s_or_b64 s[42:43], vcc, s[38:39]
	s_mov_b64 s[38:39], 0
	s_and_saveexec_b64 s[76:77], s[42:43]
	s_xor_b64 s[76:77], exec, s[76:77]
; %bb.44:                               ;   in Loop: Header=BB257_43 Depth=2
	v_cmp_lt_i32_e32 vcc, v26, v49
	s_mov_b64 s[74:75], -1
	s_and_b64 s[38:39], vcc, exec
; %bb.45:                               ;   in Loop: Header=BB257_43 Depth=2
	s_andn2_saveexec_b64 s[76:77], s[76:77]
	s_cbranch_execz .LBB257_47
; %bb.46:                               ;   in Loop: Header=BB257_43 Depth=2
	global_load_dwordx4 v[28:31], v[24:25], off offset:-8
	v_subrev_u32_e32 v27, s82, v26
	ds_write_b8 v27, v48 offset:32768
	v_lshlrev_b32_e32 v27, 4, v27
	s_or_b64 s[38:39], s[38:39], exec
	s_waitcnt vmcnt(0)
	v_mul_f64 v[32:33], v[30:31], -v[10:11]
	v_mul_f64 v[30:31], v[14:15], v[30:31]
	v_fmac_f64_e32 v[32:33], v[14:15], v[28:29]
	v_fmac_f64_e32 v[30:31], v[10:11], v[28:29]
	ds_add_f64 v27, v[32:33]
	ds_add_f64 v27, v[30:31] offset:8
.LBB257_47:                             ;   in Loop: Header=BB257_43 Depth=2
	s_or_b64 exec, exec, s[76:77]
	s_andn2_b64 s[42:43], s[72:73], exec
	s_and_b64 s[72:73], s[74:75], exec
	s_mov_b64 s[76:77], -1
	s_or_b64 s[72:73], s[42:43], s[72:73]
	s_and_saveexec_b64 s[74:75], s[38:39]
	s_cbranch_execz .LBB257_42
; %bb.48:                               ;   in Loop: Header=BB257_43 Depth=2
	v_add_co_u32_e32 v4, vcc, 0x200, v4
	v_addc_co_u32_e32 v5, vcc, 0, v5, vcc
	v_add_co_u32_e32 v6, vcc, 0x800, v6
	v_addc_co_u32_e32 v7, vcc, 0, v7, vcc
	v_add_co_u32_e32 v24, vcc, 0x2000, v24
	v_addc_co_u32_e32 v25, vcc, 0, v25, vcc
	v_cmp_le_i64_e32 vcc, s[60:61], v[4:5]
	s_andn2_b64 s[72:73], s[72:73], exec
	s_orn2_b64 s[76:77], vcc, exec
	s_branch .LBB257_42
.LBB257_49:                             ;   in Loop: Header=BB257_13 Depth=1
	s_or_b64 exec, exec, s[62:63]
	s_and_saveexec_b64 s[38:39], s[70:71]
	s_xor_b64 s[38:39], exec, s[38:39]
; %bb.50:                               ;   in Loop: Header=BB257_13 Depth=1
	v_min_i32_e32 v50, v26, v50
; %bb.51:                               ;   in Loop: Header=BB257_13 Depth=1
	s_or_b64 exec, exec, s[38:39]
.LBB257_52:                             ;   in Loop: Header=BB257_13 Depth=1
	s_or_b64 exec, exec, s[44:45]
.LBB257_53:                             ;   in Loop: Header=BB257_13 Depth=1
	v_mov_b32_dpp v4, v50 row_shr:1 row_mask:0xf bank_mask:0xf
	v_min_i32_e32 v4, v4, v50
	s_nop 1
	v_mov_b32_dpp v5, v4 row_shr:2 row_mask:0xf bank_mask:0xf
	v_min_i32_e32 v4, v5, v4
	s_nop 1
	;; [unrolled: 3-line block ×3, first 2 shown]
	v_mov_b32_dpp v5, v4 row_shr:8 row_mask:0xf bank_mask:0xc
	s_and_saveexec_b64 s[38:39], s[2:3]
	s_cbranch_execz .LBB257_58
; %bb.54:                               ;   in Loop: Header=BB257_13 Depth=1
	s_mov_b64 s[44:45], exec
	v_min_i32_e32 v4, v5, v4
	s_brev_b32 s60, -2
.LBB257_55:                             ;   Parent Loop BB257_13 Depth=1
                                        ; =>  This Inner Loop Header: Depth=2
	s_ff1_i32_b64 s42, s[44:45]
	v_readlane_b32 s61, v4, s42
	s_lshl_b64 s[42:43], 1, s42
	s_min_i32 s60, s60, s61
	s_andn2_b64 s[44:45], s[44:45], s[42:43]
	s_cmp_lg_u64 s[44:45], 0
	s_cbranch_scc1 .LBB257_55
; %bb.56:                               ;   in Loop: Header=BB257_13 Depth=1
	v_mbcnt_lo_u32_b32 v4, exec_lo, 0
	v_mbcnt_hi_u32_b32 v4, exec_hi, v4
	v_cmp_eq_u32_e32 vcc, 0, v4
	s_and_saveexec_b64 s[42:43], vcc
	s_xor_b64 s[42:43], exec, s[42:43]
	s_cbranch_execz .LBB257_58
; %bb.57:                               ;   in Loop: Header=BB257_13 Depth=1
	v_mov_b32_e32 v4, s60
	ds_min_i32 v0, v4 offset:34816
.LBB257_58:                             ;   in Loop: Header=BB257_13 Depth=1
	s_or_b64 exec, exec, s[38:39]
	s_add_i32 s60, s58, s82
	s_mov_b64 s[38:39], 0
	v_mov_b32_e32 v4, v47
	v_mov_b32_e32 v5, v17
	s_waitcnt lgkmcnt(0)
	s_barrier
	s_branch .LBB257_60
.LBB257_59:                             ;   in Loop: Header=BB257_60 Depth=2
	s_or_b64 exec, exec, s[44:45]
	s_waitcnt lgkmcnt(0)
	s_barrier
	ds_read_b32 v6, v0 offset:60
	v_add_u32_e32 v4, 0x2000, v4
	s_waitcnt lgkmcnt(0)
	v_ashrrev_i32_e32 v7, 31, v6
	v_add_co_u32_e32 v22, vcc, v22, v6
	v_addc_co_u32_e32 v23, vcc, v23, v7, vcc
	v_add_u32_e32 v6, 0x200, v5
	v_cmp_lt_u32_e32 vcc, s95, v5
	s_or_b64 s[38:39], vcc, s[38:39]
	v_mov_b32_e32 v5, v6
	s_andn2_b64 exec, exec, s[38:39]
	s_cbranch_execz .LBB257_12
.LBB257_60:                             ;   Parent Loop BB257_13 Depth=1
                                        ; =>  This Inner Loop Header: Depth=2
	ds_read2_b64 v[24:27], v4 offset1:1
	ds_read_u8 v7, v5 offset:32768
	s_waitcnt lgkmcnt(0)
	ds_write2_b64 v42, v[24:25], v[26:27] offset1:1
	v_cmp_ne_u16_e32 vcc, 0, v7
	s_bcnt1_i32_b64 s42, vcc
	v_and_b32_e32 v24, vcc_lo, v20
	v_bcnt_u32_b32 v28, v24, 0
	v_mov_b32_e32 v24, s42
	s_waitcnt lgkmcnt(0)
	s_barrier
	ds_write_b32 v45, v24
	s_waitcnt lgkmcnt(0)
	s_barrier
	ds_read_b128 v[24:27], v0
	v_and_b32_e32 v6, vcc_hi, v21
	v_bcnt_u32_b32 v6, v6, v28
	ds_read_b128 v[28:31], v0 offset:16
	ds_read_b128 v[32:35], v0 offset:32
	ds_read_b96 v[36:38], v0 offset:48
	v_and_b32_e32 v7, 1, v7
	s_waitcnt lgkmcnt(0)
	v_cndmask_b32_e64 v24, v24, 0, s[6:7]
	v_add_u32_e32 v6, v24, v6
	v_cndmask_b32_e64 v24, v25, 0, s[8:9]
	v_cndmask_b32_e64 v25, v26, 0, s[10:11]
	v_add3_u32 v6, v6, v24, v25
	v_cndmask_b32_e64 v24, v27, 0, s[12:13]
	v_cndmask_b32_e64 v25, v28, 0, s[14:15]
	v_add3_u32 v6, v6, v24, v25
	;; [unrolled: 3-line block ×7, first 2 shown]
	v_cmp_eq_u32_e32 vcc, 1, v7
	s_and_saveexec_b64 s[44:45], vcc
	s_cbranch_execz .LBB257_62
; %bb.61:                               ;   in Loop: Header=BB257_60 Depth=2
	v_ashrrev_i32_e32 v7, 31, v6
	v_add_co_u32_e32 v24, vcc, v22, v6
	v_addc_co_u32_e32 v25, vcc, v23, v7, vcc
	v_lshlrev_b64 v[26:27], 2, v[24:25]
	v_mov_b32_e32 v7, s88
	v_add_co_u32_e32 v26, vcc, s87, v26
	v_add_u32_e32 v28, s60, v5
	v_addc_co_u32_e32 v27, vcc, v7, v27, vcc
	global_store_dword v[26:27], v28, off
	v_lshlrev_b64 v[28:29], 4, v[24:25]
	ds_read2_b64 v[24:27], v42 offset1:1
	v_mov_b32_e32 v7, s90
	v_add_co_u32_e32 v28, vcc, s89, v28
	v_addc_co_u32_e32 v29, vcc, v7, v29, vcc
	s_waitcnt lgkmcnt(0)
	global_store_dwordx4 v[28:29], v[24:27], off
.LBB257_62:                             ;   in Loop: Header=BB257_60 Depth=2
	s_or_b64 exec, exec, s[44:45]
	s_and_saveexec_b64 s[44:45], s[4:5]
	s_cbranch_execz .LBB257_59
; %bb.63:                               ;   in Loop: Header=BB257_60 Depth=2
	ds_write_b32 v0, v6 offset:60
	s_branch .LBB257_59
.LBB257_64:
	s_endpgm
	.section	.rodata,"a",@progbits
	.p2align	6, 0x0
	.amdhsa_kernel _ZN9rocsparseL36csrgemm_fill_block_per_row_multipassILj512ELj16ELj2048ELj32Eli21rocsparse_complex_numIdEEEvT4_PKS3_S5_NS_24const_host_device_scalarIT5_EEPKT3_S5_PKS7_SB_S5_SD_S8_SB_S5_SD_SB_PS3_PS7_PS9_21rocsparse_index_base_SH_SH_SH_bbb
		.amdhsa_group_segment_fixed_size 51208
		.amdhsa_private_segment_fixed_size 0
		.amdhsa_kernarg_size 180
		.amdhsa_user_sgpr_count 8
		.amdhsa_user_sgpr_private_segment_buffer 1
		.amdhsa_user_sgpr_dispatch_ptr 1
		.amdhsa_user_sgpr_queue_ptr 0
		.amdhsa_user_sgpr_kernarg_segment_ptr 1
		.amdhsa_user_sgpr_dispatch_id 0
		.amdhsa_user_sgpr_flat_scratch_init 0
		.amdhsa_user_sgpr_kernarg_preload_length 0
		.amdhsa_user_sgpr_kernarg_preload_offset 0
		.amdhsa_user_sgpr_private_segment_size 0
		.amdhsa_uses_dynamic_stack 0
		.amdhsa_system_sgpr_private_segment_wavefront_offset 0
		.amdhsa_system_sgpr_workgroup_id_x 1
		.amdhsa_system_sgpr_workgroup_id_y 0
		.amdhsa_system_sgpr_workgroup_id_z 0
		.amdhsa_system_sgpr_workgroup_info 0
		.amdhsa_system_vgpr_workitem_id 2
		.amdhsa_next_free_vgpr 56
		.amdhsa_next_free_sgpr 96
		.amdhsa_accum_offset 56
		.amdhsa_reserve_vcc 1
		.amdhsa_reserve_flat_scratch 0
		.amdhsa_float_round_mode_32 0
		.amdhsa_float_round_mode_16_64 0
		.amdhsa_float_denorm_mode_32 3
		.amdhsa_float_denorm_mode_16_64 3
		.amdhsa_dx10_clamp 1
		.amdhsa_ieee_mode 1
		.amdhsa_fp16_overflow 0
		.amdhsa_tg_split 0
		.amdhsa_exception_fp_ieee_invalid_op 0
		.amdhsa_exception_fp_denorm_src 0
		.amdhsa_exception_fp_ieee_div_zero 0
		.amdhsa_exception_fp_ieee_overflow 0
		.amdhsa_exception_fp_ieee_underflow 0
		.amdhsa_exception_fp_ieee_inexact 0
		.amdhsa_exception_int_div_zero 0
	.end_amdhsa_kernel
	.section	.text._ZN9rocsparseL36csrgemm_fill_block_per_row_multipassILj512ELj16ELj2048ELj32Eli21rocsparse_complex_numIdEEEvT4_PKS3_S5_NS_24const_host_device_scalarIT5_EEPKT3_S5_PKS7_SB_S5_SD_S8_SB_S5_SD_SB_PS3_PS7_PS9_21rocsparse_index_base_SH_SH_SH_bbb,"axG",@progbits,_ZN9rocsparseL36csrgemm_fill_block_per_row_multipassILj512ELj16ELj2048ELj32Eli21rocsparse_complex_numIdEEEvT4_PKS3_S5_NS_24const_host_device_scalarIT5_EEPKT3_S5_PKS7_SB_S5_SD_S8_SB_S5_SD_SB_PS3_PS7_PS9_21rocsparse_index_base_SH_SH_SH_bbb,comdat
.Lfunc_end257:
	.size	_ZN9rocsparseL36csrgemm_fill_block_per_row_multipassILj512ELj16ELj2048ELj32Eli21rocsparse_complex_numIdEEEvT4_PKS3_S5_NS_24const_host_device_scalarIT5_EEPKT3_S5_PKS7_SB_S5_SD_S8_SB_S5_SD_SB_PS3_PS7_PS9_21rocsparse_index_base_SH_SH_SH_bbb, .Lfunc_end257-_ZN9rocsparseL36csrgemm_fill_block_per_row_multipassILj512ELj16ELj2048ELj32Eli21rocsparse_complex_numIdEEEvT4_PKS3_S5_NS_24const_host_device_scalarIT5_EEPKT3_S5_PKS7_SB_S5_SD_S8_SB_S5_SD_SB_PS3_PS7_PS9_21rocsparse_index_base_SH_SH_SH_bbb
                                        ; -- End function
	.section	.AMDGPU.csdata,"",@progbits
; Kernel info:
; codeLenInByte = 3260
; NumSgprs: 100
; NumVgprs: 56
; NumAgprs: 0
; TotalNumVgprs: 56
; ScratchSize: 0
; MemoryBound: 0
; FloatMode: 240
; IeeeMode: 1
; LDSByteSize: 51208 bytes/workgroup (compile time only)
; SGPRBlocks: 12
; VGPRBlocks: 6
; NumSGPRsForWavesPerEU: 100
; NumVGPRsForWavesPerEU: 56
; AccumOffset: 56
; Occupancy: 2
; WaveLimiterHint : 1
; COMPUTE_PGM_RSRC2:SCRATCH_EN: 0
; COMPUTE_PGM_RSRC2:USER_SGPR: 8
; COMPUTE_PGM_RSRC2:TRAP_HANDLER: 0
; COMPUTE_PGM_RSRC2:TGID_X_EN: 1
; COMPUTE_PGM_RSRC2:TGID_Y_EN: 0
; COMPUTE_PGM_RSRC2:TGID_Z_EN: 0
; COMPUTE_PGM_RSRC2:TIDIG_COMP_CNT: 2
; COMPUTE_PGM_RSRC3_GFX90A:ACCUM_OFFSET: 13
; COMPUTE_PGM_RSRC3_GFX90A:TG_SPLIT: 0
	.section	.text._ZN9rocsparseL36csrgemm_fill_block_per_row_multipassILj512ELj16ELj2048ELj64Eli21rocsparse_complex_numIdEEEvT4_PKS3_S5_NS_24const_host_device_scalarIT5_EEPKT3_S5_PKS7_SB_S5_SD_S8_SB_S5_SD_SB_PS3_PS7_PS9_21rocsparse_index_base_SH_SH_SH_bbb,"axG",@progbits,_ZN9rocsparseL36csrgemm_fill_block_per_row_multipassILj512ELj16ELj2048ELj64Eli21rocsparse_complex_numIdEEEvT4_PKS3_S5_NS_24const_host_device_scalarIT5_EEPKT3_S5_PKS7_SB_S5_SD_S8_SB_S5_SD_SB_PS3_PS7_PS9_21rocsparse_index_base_SH_SH_SH_bbb,comdat
	.globl	_ZN9rocsparseL36csrgemm_fill_block_per_row_multipassILj512ELj16ELj2048ELj64Eli21rocsparse_complex_numIdEEEvT4_PKS3_S5_NS_24const_host_device_scalarIT5_EEPKT3_S5_PKS7_SB_S5_SD_S8_SB_S5_SD_SB_PS3_PS7_PS9_21rocsparse_index_base_SH_SH_SH_bbb ; -- Begin function _ZN9rocsparseL36csrgemm_fill_block_per_row_multipassILj512ELj16ELj2048ELj64Eli21rocsparse_complex_numIdEEEvT4_PKS3_S5_NS_24const_host_device_scalarIT5_EEPKT3_S5_PKS7_SB_S5_SD_S8_SB_S5_SD_SB_PS3_PS7_PS9_21rocsparse_index_base_SH_SH_SH_bbb
	.p2align	8
	.type	_ZN9rocsparseL36csrgemm_fill_block_per_row_multipassILj512ELj16ELj2048ELj64Eli21rocsparse_complex_numIdEEEvT4_PKS3_S5_NS_24const_host_device_scalarIT5_EEPKT3_S5_PKS7_SB_S5_SD_S8_SB_S5_SD_SB_PS3_PS7_PS9_21rocsparse_index_base_SH_SH_SH_bbb,@function
_ZN9rocsparseL36csrgemm_fill_block_per_row_multipassILj512ELj16ELj2048ELj64Eli21rocsparse_complex_numIdEEEvT4_PKS3_S5_NS_24const_host_device_scalarIT5_EEPKT3_S5_PKS7_SB_S5_SD_S8_SB_S5_SD_SB_PS3_PS7_PS9_21rocsparse_index_base_SH_SH_SH_bbb: ; @_ZN9rocsparseL36csrgemm_fill_block_per_row_multipassILj512ELj16ELj2048ELj64Eli21rocsparse_complex_numIdEEEvT4_PKS3_S5_NS_24const_host_device_scalarIT5_EEPKT3_S5_PKS7_SB_S5_SD_S8_SB_S5_SD_SB_PS3_PS7_PS9_21rocsparse_index_base_SH_SH_SH_bbb
; %bb.0:
	s_load_dword s9, s[6:7], 0xb0
	s_load_dwordx8 s[12:19], s[6:7], 0x8
	s_load_dwordx2 s[2:3], s[4:5], 0x4
	s_load_dwordx4 s[28:31], s[6:7], 0xa0
	s_load_dwordx4 s[20:23], s[6:7], 0x58
	v_and_b32_e32 v17, 0x3ff, v0
	s_waitcnt lgkmcnt(0)
	s_bitcmp1_b32 s9, 0
	s_cselect_b64 s[10:11], -1, 0
	s_bitcmp1_b32 s9, 16
	s_cselect_b64 s[0:1], -1, 0
	s_lshr_b32 s2, s2, 16
	s_mul_i32 s2, s2, s3
	v_bfe_u32 v2, v0, 10, 10
	v_mul_lo_u32 v1, s2, v17
	v_mul_u32_u24_e32 v2, s3, v2
	v_bfe_u32 v0, v0, 20, 10
	v_add3_u32 v0, v1, v2, v0
	s_xor_b64 s[4:5], s[0:1], -1
	v_lshlrev_b32_e32 v1, 3, v0
	v_pk_mov_b32 v[10:11], 0, 0
	v_pk_mov_b32 v[2:3], s[16:17], s[16:17] op_sel:[0,1]
	v_pk_mov_b32 v[4:5], s[20:21], s[20:21] op_sel:[0,1]
	v_add_u32_e32 v6, 8, v1
	s_bitcmp0_b32 s9, 0
	v_pk_mov_b32 v[8:9], v[10:11], v[10:11] op_sel:[0,1]
	v_pk_mov_b32 v[12:13], v[10:11], v[10:11] op_sel:[0,1]
	ds_write2st64_b64 v6, v[4:5], v[2:3] offset0:68 offset1:76
	s_cbranch_scc1 .LBB258_3
; %bb.1:
	s_mov_b64 s[2:3], src_shared_base
	s_and_b64 s[24:25], s[0:1], exec
	v_add_u32_e32 v2, 0x9808, v1
	s_cselect_b32 s2, s3, s17
	v_mov_b32_e32 v3, s16
	v_cndmask_b32_e64 v2, v3, v2, s[0:1]
	v_mov_b32_e32 v3, s2
	flat_load_dwordx2 v[8:9], v[2:3]
	s_andn2_b64 vcc, exec, s[4:5]
	v_pk_mov_b32 v[12:13], s[18:19], s[18:19] op_sel:[0,1]
	s_cbranch_vccnz .LBB258_3
; %bb.2:
	v_pk_mov_b32 v[2:3], s[16:17], s[16:17] op_sel:[0,1]
	flat_load_dwordx2 v[12:13], v[2:3] offset:8
.LBB258_3:
	s_load_dwordx2 s[16:17], s[6:7], 0x28
	s_bitcmp1_b32 s9, 8
	s_cselect_b64 s[34:35], -1, 0
	s_bfe_u32 s9, s9, 0x10008
	s_mov_b64 s[2:3], 0
	s_cmp_eq_u32 s9, 0
	v_pk_mov_b32 v[14:15], v[10:11], v[10:11] op_sel:[0,1]
	s_cbranch_scc1 .LBB258_6
; %bb.4:
	s_mov_b64 s[18:19], src_shared_base
	s_and_b64 s[24:25], s[0:1], exec
	v_add_u32_e32 v1, 0x8808, v1
	s_cselect_b32 s9, s19, s21
	v_mov_b32_e32 v2, s20
	v_cndmask_b32_e64 v2, v2, v1, s[0:1]
	v_mov_b32_e32 v3, s9
	flat_load_dwordx2 v[14:15], v[2:3]
	s_andn2_b64 vcc, exec, s[4:5]
	v_pk_mov_b32 v[10:11], s[22:23], s[22:23] op_sel:[0,1]
	s_cbranch_vccnz .LBB258_6
; %bb.5:
	v_pk_mov_b32 v[2:3], s[20:21], s[20:21] op_sel:[0,1]
	flat_load_dwordx2 v[10:11], v[2:3] offset:8
.LBB258_6:
	s_load_dword s0, s[12:13], 0x0
	s_mov_b32 s1, 0
	v_cndmask_b32_e64 v1, 0, 1, s[10:11]
	s_waitcnt lgkmcnt(0)
	s_add_i32 s0, s0, s8
	s_lshl_b64 s[0:1], s[0:1], 2
	s_add_u32 s0, s14, s0
	s_addc_u32 s1, s15, s1
	s_load_dword s4, s[0:1], 0x0
	v_cmp_ne_u32_e64 s[0:1], 1, v1
	s_andn2_b64 vcc, exec, s[10:11]
	s_cbranch_vccz .LBB258_9
; %bb.7:
	s_and_b64 vcc, exec, s[0:1]
	s_mov_b64 s[48:49], 0
	s_cbranch_vccz .LBB258_10
.LBB258_8:
	s_load_dword s33, s[6:7], 0x0
	s_waitcnt lgkmcnt(0)
	s_cmp_lt_i32 s33, 1
	s_cbranch_scc0 .LBB258_11
	s_branch .LBB258_64
.LBB258_9:
	s_waitcnt lgkmcnt(0)
	s_ashr_i32 s5, s4, 31
	s_lshl_b64 s[2:3], s[4:5], 3
	s_add_u32 s2, s16, s2
	s_addc_u32 s3, s17, s3
	s_load_dwordx2 s[2:3], s[2:3], 0x0
	s_waitcnt lgkmcnt(0)
	s_sub_u32 s2, s2, s28
	s_subb_u32 s3, s3, 0
	s_and_b64 vcc, exec, s[0:1]
	s_mov_b64 s[48:49], 0
	s_cbranch_vccnz .LBB258_8
.LBB258_10:
	s_waitcnt lgkmcnt(0)
	s_ashr_i32 s5, s4, 31
	s_lshl_b64 s[0:1], s[4:5], 3
	s_add_u32 s0, s16, s0
	s_addc_u32 s1, s17, s1
	s_load_dwordx2 s[0:1], s[0:1], 0x8
	s_waitcnt lgkmcnt(0)
	s_sub_u32 s48, s0, s28
	s_subb_u32 s49, s1, 0
	s_load_dword s33, s[6:7], 0x0
	s_waitcnt lgkmcnt(0)
	s_cmp_lt_i32 s33, 1
	s_cbranch_scc1 .LBB258_64
.LBB258_11:
	s_load_dwordx2 s[50:51], s[6:7], 0x98
	s_load_dwordx4 s[44:47], s[6:7], 0x88
	s_load_dwordx8 s[20:27], s[6:7], 0x68
	s_load_dwordx2 s[54:55], s[6:7], 0x50
	s_load_dwordx8 s[36:43], s[6:7], 0x30
	s_ashr_i32 s5, s4, 31
	s_lshl_b64 s[4:5], s[4:5], 3
	s_waitcnt lgkmcnt(0)
	s_add_u32 s0, s26, s4
	s_addc_u32 s1, s27, s5
	s_load_dwordx2 s[0:1], s[0:1], 0x0
	v_lshrrev_b32_e32 v1, 4, v17
	v_mov_b32_e32 v2, 0xa808
	v_lshl_add_u32 v42, v0, 4, v2
	v_mov_b32_e32 v2, s3
	s_waitcnt lgkmcnt(0)
	s_sub_u32 s56, s0, s30
	v_add_co_u32_e32 v18, vcc, s2, v1
	s_subb_u32 s57, s1, 0
	v_addc_co_u32_e32 v19, vcc, 0, v2, vcc
	v_cmp_gt_i64_e32 vcc, s[48:49], v[18:19]
	s_add_u32 s26, s20, s4
	s_addc_u32 s27, s21, s5
	s_and_b64 s[52:53], s[10:11], vcc
	s_add_u32 s69, s40, 8
	s_addc_u32 s70, s41, 0
	s_add_u32 s71, s44, -4
	s_addc_u32 s72, s45, -1
	s_add_u32 s73, s46, -16
	s_addc_u32 s74, s47, -1
	v_subrev_co_u32_e64 v43, s[4:5], s31, v17
	v_mbcnt_lo_u32_b32 v2, -1, 0
	s_add_u32 s75, s54, 8
	v_subb_co_u32_e64 v44, s[4:5], 0, 0, s[4:5]
	v_mbcnt_hi_u32_b32 v2, -1, v2
	s_addc_u32 s76, s55, 0
	v_and_b32_e32 v16, 15, v17
	s_mov_b32 s66, 0
	v_mov_b32_e32 v0, 0
	v_sub_u32_e32 v2, 63, v2
	s_movk_i32 s4, 0x1ff
	s_movk_i32 s8, 0x80
	;; [unrolled: 1-line block ×7, first 2 shown]
	s_add_u32 s77, s24, 8
	v_cmp_eq_u32_e64 s[0:1], 0, v17
	s_mov_b32 s67, s29
	v_cmp_eq_u32_e64 s[2:3], 15, v16
	s_mov_b32 s68, s31
	v_lshrrev_b64 v[20:21], v2, -1
	v_and_b32_e32 v45, 28, v1
	v_cmp_eq_u32_e64 s[4:5], s4, v17
	v_cmp_gt_u32_e64 s[6:7], 64, v17
	v_cmp_gt_u32_e64 s[8:9], s8, v17
	;; [unrolled: 1-line block ×7, first 2 shown]
	v_or_b32_e32 v46, 0xfffffe00, v17
	v_lshlrev_b32_e32 v47, 4, v17
	s_addc_u32 s78, s25, 0
	v_mov_b32_e32 v49, 0x800
	v_pk_mov_b32 v[22:23], s[56:57], s[56:57] op_sel:[0,1]
	v_mov_b32_e32 v1, v0
	v_mov_b32_e32 v2, v0
	v_mov_b32_e32 v3, v0
	s_movk_i32 s79, 0x5ff
	v_mov_b32_e32 v48, 1
	s_mov_b32 s80, s66
	s_branch .LBB258_13
.LBB258_12:                             ;   in Loop: Header=BB258_13 Depth=1
	s_or_b64 exec, exec, s[20:21]
	ds_read_b32 v4, v0 offset:34816
	s_waitcnt lgkmcnt(0)
	s_barrier
	v_cmp_le_i32_e32 vcc, s33, v4
	v_readfirstlane_b32 s80, v4
	v_add_u32_e32 v49, 0x800, v4
	s_cbranch_vccnz .LBB258_64
.LBB258_13:                             ; =>This Loop Header: Depth=1
                                        ;     Child Loop BB258_14 Depth 2
                                        ;     Child Loop BB258_20 Depth 2
                                        ;       Child Loop BB258_26 Depth 3
                                        ;     Child Loop BB258_43 Depth 2
                                        ;     Child Loop BB258_55 Depth 2
                                        ;     Child Loop BB258_60 Depth 2
	s_mov_b64 s[20:21], 0
	v_mov_b32_e32 v4, v47
	v_mov_b32_e32 v5, v46
.LBB258_14:                             ;   Parent Loop BB258_13 Depth=1
                                        ; =>  This Inner Loop Header: Depth=2
	ds_write_b8 v5, v0 offset:33280
	ds_write_b128 v4, v[0:3]
	v_add_u32_e32 v5, 0x200, v5
	v_cmp_lt_u32_e32 vcc, s79, v5
	s_or_b64 s[20:21], vcc, s[20:21]
	v_add_u32_e32 v4, 0x2000, v4
	s_andn2_b64 exec, exec, s[20:21]
	s_cbranch_execnz .LBB258_14
; %bb.15:                               ;   in Loop: Header=BB258_13 Depth=1
	s_or_b64 exec, exec, s[20:21]
	s_and_saveexec_b64 s[20:21], s[0:1]
	s_cbranch_execz .LBB258_17
; %bb.16:                               ;   in Loop: Header=BB258_13 Depth=1
	v_mov_b32_e32 v4, s33
	ds_write_b32 v0, v4 offset:34816
.LBB258_17:                             ;   in Loop: Header=BB258_13 Depth=1
	s_or_b64 exec, exec, s[20:21]
	v_mov_b32_e32 v50, s33
	s_waitcnt lgkmcnt(0)
	s_barrier
	s_and_saveexec_b64 s[24:25], s[52:53]
	s_cbranch_execz .LBB258_39
; %bb.18:                               ;   in Loop: Header=BB258_13 Depth=1
	s_cmp_lg_u32 s80, 0
	s_mov_b64 s[44:45], 0
	s_cselect_b64 s[46:47], -1, 0
	v_mov_b32_e32 v50, s33
	v_pk_mov_b32 v[24:25], v[18:19], v[18:19] op_sel:[0,1]
	s_branch .LBB258_20
.LBB258_19:                             ;   in Loop: Header=BB258_20 Depth=2
	s_or_b64 exec, exec, s[20:21]
	v_add_co_u32_e32 v24, vcc, 32, v24
	v_addc_co_u32_e32 v25, vcc, 0, v25, vcc
	v_cmp_le_i64_e32 vcc, s[48:49], v[24:25]
	s_or_b64 s[44:45], vcc, s[44:45]
	s_andn2_b64 exec, exec, s[44:45]
	s_cbranch_execz .LBB258_38
.LBB258_20:                             ;   Parent Loop BB258_13 Depth=1
                                        ; =>  This Loop Header: Depth=2
                                        ;       Child Loop BB258_26 Depth 3
	v_lshlrev_b64 v[4:5], 2, v[24:25]
	v_mov_b32_e32 v6, s37
	v_add_co_u32_e32 v4, vcc, s36, v4
	v_addc_co_u32_e32 v5, vcc, v6, v5, vcc
	global_load_dword v28, v[4:5], off
	v_lshlrev_b64 v[4:5], 4, v[24:25]
	v_mov_b32_e32 v6, s39
	v_add_co_u32_e32 v4, vcc, s38, v4
	v_addc_co_u32_e32 v5, vcc, v6, v5, vcc
	global_load_dwordx4 v[4:7], v[4:5], off
	s_and_b64 vcc, exec, s[46:47]
	v_lshlrev_b64 v[26:27], 3, v[24:25]
	s_waitcnt vmcnt(0)
	v_subrev_u32_e32 v28, s28, v28
	v_ashrrev_i32_e32 v29, 31, v28
	s_cbranch_vccz .LBB258_37
; %bb.21:                               ;   in Loop: Header=BB258_20 Depth=2
	v_mov_b32_e32 v31, s51
	v_add_co_u32_e32 v30, vcc, s50, v26
	v_addc_co_u32_e32 v31, vcc, v31, v27, vcc
	global_load_dwordx2 v[32:33], v[30:31], off
	s_cbranch_execnz .LBB258_23
.LBB258_22:                             ;   in Loop: Header=BB258_20 Depth=2
	v_lshlrev_b64 v[30:31], 3, v[28:29]
	s_waitcnt vmcnt(0)
	v_mov_b32_e32 v32, s41
	v_add_co_u32_e32 v30, vcc, s40, v30
	v_addc_co_u32_e32 v31, vcc, v32, v31, vcc
	global_load_dwordx2 v[30:31], v[30:31], off
	v_mov_b32_e32 v33, s66
	s_waitcnt vmcnt(0)
	v_subrev_co_u32_e32 v32, vcc, s67, v30
	v_subb_co_u32_e32 v33, vcc, v31, v33, vcc
.LBB258_23:                             ;   in Loop: Header=BB258_20 Depth=2
	v_lshlrev_b64 v[28:29], 3, v[28:29]
	v_mov_b32_e32 v30, s70
	v_add_co_u32_e32 v28, vcc, s69, v28
	v_addc_co_u32_e32 v29, vcc, v30, v29, vcc
	global_load_dwordx2 v[28:29], v[28:29], off
	v_mov_b32_e32 v31, s66
	s_waitcnt vmcnt(0)
	v_subrev_co_u32_e32 v30, vcc, s67, v28
	v_subb_co_u32_e32 v31, vcc, v29, v31, vcc
	v_add_co_u32_e32 v28, vcc, v32, v16
	v_addc_co_u32_e32 v29, vcc, 0, v33, vcc
	v_cmp_lt_i64_e32 vcc, v[28:29], v[30:31]
	s_and_saveexec_b64 s[54:55], vcc
	s_cbranch_execz .LBB258_35
; %bb.24:                               ;   in Loop: Header=BB258_20 Depth=2
	v_mul_f64 v[32:33], v[6:7], -v[12:13]
	v_mul_f64 v[6:7], v[8:9], v[6:7]
	v_fmac_f64_e32 v[32:33], v[8:9], v[4:5]
	v_fmac_f64_e32 v[6:7], v[12:13], v[4:5]
	v_lshlrev_b64 v[4:5], 2, v[28:29]
	v_mov_b32_e32 v34, s43
	v_add_co_u32_e32 v4, vcc, s42, v4
	v_addc_co_u32_e32 v5, vcc, v34, v5, vcc
	v_lshlrev_b64 v[34:35], 4, v[28:29]
	v_mov_b32_e32 v36, s76
	v_add_co_u32_e32 v34, vcc, s75, v34
	v_addc_co_u32_e32 v35, vcc, v36, v35, vcc
	s_mov_b64 s[58:59], 0
	v_pk_mov_b32 v[36:37], v[28:29], v[28:29] op_sel:[0,1]
                                        ; implicit-def: $sgpr56_sgpr57
                                        ; implicit-def: $sgpr60_sgpr61
	s_branch .LBB258_26
.LBB258_25:                             ;   in Loop: Header=BB258_26 Depth=3
	s_or_b64 exec, exec, s[62:63]
	s_and_b64 s[20:21], exec, s[64:65]
	s_or_b64 s[58:59], s[20:21], s[58:59]
	s_andn2_b64 s[20:21], s[56:57], exec
	s_and_b64 s[56:57], s[60:61], exec
	s_or_b64 s[56:57], s[20:21], s[56:57]
	v_pk_mov_b32 v[36:37], v[38:39], v[38:39] op_sel:[0,1]
	s_andn2_b64 exec, exec, s[58:59]
	s_cbranch_execz .LBB258_32
.LBB258_26:                             ;   Parent Loop BB258_13 Depth=1
                                        ;     Parent Loop BB258_20 Depth=2
                                        ; =>    This Inner Loop Header: Depth=3
	global_load_dword v38, v[4:5], off
                                        ; implicit-def: $sgpr62_sgpr63
	s_waitcnt vmcnt(0)
	v_subrev_u32_e32 v51, s29, v38
	v_cmp_gt_i32_e32 vcc, s80, v51
	v_cmp_ge_i32_e64 s[20:21], v51, v49
	s_or_b64 s[64:65], vcc, s[20:21]
	s_mov_b64 s[20:21], 0
	s_and_saveexec_b64 s[82:83], s[64:65]
	s_xor_b64 s[64:65], exec, s[82:83]
; %bb.27:                               ;   in Loop: Header=BB258_26 Depth=3
	v_cmp_lt_i32_e32 vcc, v51, v49
	s_mov_b64 s[62:63], -1
	s_and_b64 s[20:21], vcc, exec
; %bb.28:                               ;   in Loop: Header=BB258_26 Depth=3
	s_andn2_saveexec_b64 s[64:65], s[64:65]
	s_cbranch_execz .LBB258_30
; %bb.29:                               ;   in Loop: Header=BB258_26 Depth=3
	global_load_dwordx4 v[38:41], v[34:35], off offset:-8
	v_subrev_u32_e32 v52, s80, v51
	ds_write_b8 v52, v48 offset:32768
	v_lshlrev_b32_e32 v54, 4, v52
	s_or_b64 s[20:21], s[20:21], exec
	s_waitcnt vmcnt(0)
	v_mul_f64 v[52:53], v[40:41], -v[6:7]
	v_mul_f64 v[40:41], v[32:33], v[40:41]
	v_fmac_f64_e32 v[52:53], v[32:33], v[38:39]
	v_fmac_f64_e32 v[40:41], v[6:7], v[38:39]
	ds_add_f64 v54, v[52:53]
	ds_add_f64 v54, v[40:41] offset:8
.LBB258_30:                             ;   in Loop: Header=BB258_26 Depth=3
	s_or_b64 exec, exec, s[64:65]
	s_andn2_b64 s[60:61], s[60:61], exec
	s_and_b64 s[62:63], s[62:63], exec
	s_mov_b64 s[64:65], -1
	s_or_b64 s[60:61], s[60:61], s[62:63]
	v_pk_mov_b32 v[40:41], v[36:37], v[36:37] op_sel:[0,1]
                                        ; implicit-def: $vgpr38_vgpr39
	s_and_saveexec_b64 s[62:63], s[20:21]
	s_cbranch_execz .LBB258_25
; %bb.31:                               ;   in Loop: Header=BB258_26 Depth=3
	v_add_co_u32_e32 v38, vcc, 16, v36
	v_addc_co_u32_e32 v39, vcc, 0, v37, vcc
	v_add_co_u32_e32 v4, vcc, 64, v4
	v_addc_co_u32_e32 v5, vcc, 0, v5, vcc
	;; [unrolled: 2-line block ×3, first 2 shown]
	v_cmp_ge_i64_e32 vcc, v[38:39], v[30:31]
	s_andn2_b64 s[60:61], s[60:61], exec
	s_orn2_b64 s[64:65], vcc, exec
	v_pk_mov_b32 v[40:41], v[36:37], v[36:37] op_sel:[0,1]
	s_branch .LBB258_25
.LBB258_32:                             ;   in Loop: Header=BB258_20 Depth=2
	s_or_b64 exec, exec, s[58:59]
	s_and_saveexec_b64 s[20:21], s[56:57]
	s_xor_b64 s[20:21], exec, s[20:21]
; %bb.33:                               ;   in Loop: Header=BB258_20 Depth=2
	v_min_i32_e32 v50, v51, v50
	v_pk_mov_b32 v[28:29], v[40:41], v[40:41] op_sel:[0,1]
; %bb.34:                               ;   in Loop: Header=BB258_20 Depth=2
	s_or_b64 exec, exec, s[20:21]
.LBB258_35:                             ;   in Loop: Header=BB258_20 Depth=2
	s_or_b64 exec, exec, s[54:55]
	v_mov_b32_dpp v4, v28 row_shr:1 row_mask:0xf bank_mask:0xf
	v_mov_b32_dpp v5, v29 row_shr:1 row_mask:0xf bank_mask:0xf
	v_cmp_lt_i64_e32 vcc, v[4:5], v[28:29]
	v_cndmask_b32_e32 v5, v29, v5, vcc
	v_cndmask_b32_e32 v4, v28, v4, vcc
	s_nop 0
	v_mov_b32_dpp v7, v5 row_shr:2 row_mask:0xf bank_mask:0xf
	v_mov_b32_dpp v6, v4 row_shr:2 row_mask:0xf bank_mask:0xf
	v_cmp_lt_i64_e32 vcc, v[6:7], v[4:5]
	v_cndmask_b32_e32 v5, v5, v7, vcc
	v_cndmask_b32_e32 v4, v4, v6, vcc
	s_nop 0
	;; [unrolled: 6-line block ×3, first 2 shown]
	v_mov_b32_dpp v7, v5 row_shr:8 row_mask:0xf bank_mask:0xc
	v_mov_b32_dpp v6, v4 row_shr:8 row_mask:0xf bank_mask:0xc
	s_and_saveexec_b64 s[20:21], s[2:3]
	s_cbranch_execz .LBB258_19
; %bb.36:                               ;   in Loop: Header=BB258_20 Depth=2
	v_cmp_lt_i64_e32 vcc, v[6:7], v[4:5]
	v_cndmask_b32_e32 v5, v5, v7, vcc
	v_cndmask_b32_e32 v4, v4, v6, vcc
	v_mov_b32_e32 v7, s51
	v_add_co_u32_e32 v6, vcc, s50, v26
	v_addc_co_u32_e32 v7, vcc, v7, v27, vcc
	global_store_dwordx2 v[6:7], v[4:5], off
	s_branch .LBB258_19
.LBB258_37:                             ;   in Loop: Header=BB258_20 Depth=2
                                        ; implicit-def: $vgpr32_vgpr33
	s_branch .LBB258_22
.LBB258_38:                             ;   in Loop: Header=BB258_13 Depth=1
	s_or_b64 exec, exec, s[44:45]
.LBB258_39:                             ;   in Loop: Header=BB258_13 Depth=1
	s_or_b64 exec, exec, s[24:25]
	s_andn2_b64 vcc, exec, s[34:35]
	s_cbranch_vccnz .LBB258_53
; %bb.40:                               ;   in Loop: Header=BB258_13 Depth=1
	s_load_dwordx4 s[56:59], s[26:27], 0x0
	s_waitcnt lgkmcnt(0)
	s_sub_u32 s44, s58, s68
	v_mov_b32_e32 v5, s57
	v_add_co_u32_e32 v4, vcc, s56, v43
	s_subb_u32 s45, s59, 0
	v_addc_co_u32_e32 v5, vcc, v5, v44, vcc
	v_cmp_gt_i64_e32 vcc, s[44:45], v[4:5]
	s_and_saveexec_b64 s[24:25], vcc
	s_cbranch_execz .LBB258_52
; %bb.41:                               ;   in Loop: Header=BB258_13 Depth=1
	v_lshlrev_b64 v[6:7], 2, v[4:5]
	v_mov_b32_e32 v24, s23
	v_add_co_u32_e32 v6, vcc, s22, v6
	v_addc_co_u32_e32 v7, vcc, v24, v7, vcc
	v_lshlrev_b64 v[24:25], 4, v[4:5]
	v_mov_b32_e32 v26, s78
	v_add_co_u32_e32 v24, vcc, s77, v24
	v_addc_co_u32_e32 v25, vcc, v26, v25, vcc
	s_mov_b64 s[46:47], 0
                                        ; implicit-def: $sgpr54_sgpr55
                                        ; implicit-def: $sgpr56_sgpr57
	s_branch .LBB258_43
.LBB258_42:                             ;   in Loop: Header=BB258_43 Depth=2
	s_or_b64 exec, exec, s[58:59]
	s_and_b64 s[20:21], exec, s[60:61]
	s_or_b64 s[46:47], s[20:21], s[46:47]
	s_andn2_b64 s[20:21], s[54:55], exec
	s_and_b64 s[54:55], s[56:57], exec
	s_or_b64 s[54:55], s[20:21], s[54:55]
	s_andn2_b64 exec, exec, s[46:47]
	s_cbranch_execz .LBB258_49
.LBB258_43:                             ;   Parent Loop BB258_13 Depth=1
                                        ; =>  This Inner Loop Header: Depth=2
	global_load_dword v26, v[6:7], off
                                        ; implicit-def: $sgpr58_sgpr59
	s_waitcnt vmcnt(0)
	v_subrev_u32_e32 v26, s31, v26
	v_cmp_gt_i32_e32 vcc, s80, v26
	v_cmp_ge_i32_e64 s[20:21], v26, v49
	s_or_b64 s[60:61], vcc, s[20:21]
	s_mov_b64 s[20:21], 0
	s_and_saveexec_b64 s[62:63], s[60:61]
	s_xor_b64 s[60:61], exec, s[62:63]
; %bb.44:                               ;   in Loop: Header=BB258_43 Depth=2
	v_cmp_lt_i32_e32 vcc, v26, v49
	s_mov_b64 s[58:59], -1
	s_and_b64 s[20:21], vcc, exec
; %bb.45:                               ;   in Loop: Header=BB258_43 Depth=2
	s_andn2_saveexec_b64 s[60:61], s[60:61]
	s_cbranch_execz .LBB258_47
; %bb.46:                               ;   in Loop: Header=BB258_43 Depth=2
	global_load_dwordx4 v[28:31], v[24:25], off offset:-8
	v_subrev_u32_e32 v27, s80, v26
	ds_write_b8 v27, v48 offset:32768
	v_lshlrev_b32_e32 v27, 4, v27
	s_or_b64 s[20:21], s[20:21], exec
	s_waitcnt vmcnt(0)
	v_mul_f64 v[32:33], v[30:31], -v[10:11]
	v_mul_f64 v[30:31], v[14:15], v[30:31]
	v_fmac_f64_e32 v[32:33], v[14:15], v[28:29]
	v_fmac_f64_e32 v[30:31], v[10:11], v[28:29]
	ds_add_f64 v27, v[32:33]
	ds_add_f64 v27, v[30:31] offset:8
.LBB258_47:                             ;   in Loop: Header=BB258_43 Depth=2
	s_or_b64 exec, exec, s[60:61]
	s_andn2_b64 s[56:57], s[56:57], exec
	s_and_b64 s[58:59], s[58:59], exec
	s_mov_b64 s[60:61], -1
	s_or_b64 s[56:57], s[56:57], s[58:59]
	s_and_saveexec_b64 s[58:59], s[20:21]
	s_cbranch_execz .LBB258_42
; %bb.48:                               ;   in Loop: Header=BB258_43 Depth=2
	v_add_co_u32_e32 v4, vcc, 0x200, v4
	v_addc_co_u32_e32 v5, vcc, 0, v5, vcc
	v_add_co_u32_e32 v6, vcc, 0x800, v6
	v_addc_co_u32_e32 v7, vcc, 0, v7, vcc
	;; [unrolled: 2-line block ×3, first 2 shown]
	v_cmp_le_i64_e32 vcc, s[44:45], v[4:5]
	s_andn2_b64 s[56:57], s[56:57], exec
	s_orn2_b64 s[60:61], vcc, exec
	s_branch .LBB258_42
.LBB258_49:                             ;   in Loop: Header=BB258_13 Depth=1
	s_or_b64 exec, exec, s[46:47]
	s_and_saveexec_b64 s[20:21], s[54:55]
	s_xor_b64 s[20:21], exec, s[20:21]
; %bb.50:                               ;   in Loop: Header=BB258_13 Depth=1
	v_min_i32_e32 v50, v26, v50
; %bb.51:                               ;   in Loop: Header=BB258_13 Depth=1
	s_or_b64 exec, exec, s[20:21]
.LBB258_52:                             ;   in Loop: Header=BB258_13 Depth=1
	s_or_b64 exec, exec, s[24:25]
.LBB258_53:                             ;   in Loop: Header=BB258_13 Depth=1
	v_mov_b32_dpp v4, v50 row_shr:1 row_mask:0xf bank_mask:0xf
	v_min_i32_e32 v4, v4, v50
	s_nop 1
	v_mov_b32_dpp v5, v4 row_shr:2 row_mask:0xf bank_mask:0xf
	v_min_i32_e32 v4, v5, v4
	s_nop 1
	;; [unrolled: 3-line block ×3, first 2 shown]
	v_mov_b32_dpp v5, v4 row_shr:8 row_mask:0xf bank_mask:0xc
	s_and_saveexec_b64 s[20:21], s[2:3]
	s_cbranch_execz .LBB258_58
; %bb.54:                               ;   in Loop: Header=BB258_13 Depth=1
	s_mov_b64 s[24:25], exec
	v_min_i32_e32 v4, v5, v4
	s_brev_b32 s44, -2
.LBB258_55:                             ;   Parent Loop BB258_13 Depth=1
                                        ; =>  This Inner Loop Header: Depth=2
	s_ff1_i32_b64 s45, s[24:25]
	v_readlane_b32 s54, v4, s45
	s_lshl_b64 s[46:47], 1, s45
	s_min_i32 s44, s44, s54
	s_andn2_b64 s[24:25], s[24:25], s[46:47]
	s_cmp_lg_u64 s[24:25], 0
	s_cbranch_scc1 .LBB258_55
; %bb.56:                               ;   in Loop: Header=BB258_13 Depth=1
	v_mbcnt_lo_u32_b32 v4, exec_lo, 0
	v_mbcnt_hi_u32_b32 v4, exec_hi, v4
	v_cmp_eq_u32_e32 vcc, 0, v4
	s_and_saveexec_b64 s[24:25], vcc
	s_xor_b64 s[24:25], exec, s[24:25]
	s_cbranch_execz .LBB258_58
; %bb.57:                               ;   in Loop: Header=BB258_13 Depth=1
	v_mov_b32_e32 v4, s44
	ds_min_i32 v0, v4 offset:34816
.LBB258_58:                             ;   in Loop: Header=BB258_13 Depth=1
	s_or_b64 exec, exec, s[20:21]
	s_add_i32 s44, s30, s80
	s_mov_b64 s[20:21], 0
	v_mov_b32_e32 v4, v47
	v_mov_b32_e32 v5, v17
	s_waitcnt lgkmcnt(0)
	s_barrier
	s_branch .LBB258_60
.LBB258_59:                             ;   in Loop: Header=BB258_60 Depth=2
	s_or_b64 exec, exec, s[24:25]
	s_waitcnt lgkmcnt(0)
	s_barrier
	ds_read_b32 v6, v0 offset:28
	v_add_u32_e32 v4, 0x2000, v4
	s_waitcnt lgkmcnt(0)
	v_ashrrev_i32_e32 v7, 31, v6
	v_add_co_u32_e32 v22, vcc, v22, v6
	v_addc_co_u32_e32 v23, vcc, v23, v7, vcc
	v_add_u32_e32 v6, 0x200, v5
	v_cmp_lt_u32_e32 vcc, s79, v5
	s_or_b64 s[20:21], vcc, s[20:21]
	v_mov_b32_e32 v5, v6
	s_andn2_b64 exec, exec, s[20:21]
	s_cbranch_execz .LBB258_12
.LBB258_60:                             ;   Parent Loop BB258_13 Depth=1
                                        ; =>  This Inner Loop Header: Depth=2
	ds_read2_b64 v[24:27], v4 offset1:1
	ds_read_u8 v7, v5 offset:32768
	s_waitcnt lgkmcnt(0)
	ds_write2_b64 v42, v[24:25], v[26:27] offset1:1
	v_cmp_ne_u16_e32 vcc, 0, v7
	s_bcnt1_i32_b64 s24, vcc
	v_mov_b32_e32 v24, s24
	s_waitcnt lgkmcnt(0)
	s_barrier
	ds_write_b32 v45, v24
	s_waitcnt lgkmcnt(0)
	s_barrier
	ds_read_b128 v[24:27], v0
	v_and_b32_e32 v28, vcc_lo, v20
	v_and_b32_e32 v6, vcc_hi, v21
	v_bcnt_u32_b32 v28, v28, 0
	v_bcnt_u32_b32 v6, v6, v28
	ds_read_b96 v[28:30], v0 offset:16
	s_waitcnt lgkmcnt(0)
	v_cndmask_b32_e64 v24, v24, 0, s[6:7]
	v_add_u32_e32 v6, v24, v6
	v_cndmask_b32_e64 v24, v25, 0, s[8:9]
	v_cndmask_b32_e64 v25, v26, 0, s[10:11]
	v_add3_u32 v6, v6, v24, v25
	v_cndmask_b32_e64 v24, v27, 0, s[12:13]
	v_cndmask_b32_e64 v25, v28, 0, s[14:15]
	v_add3_u32 v6, v6, v24, v25
	v_cndmask_b32_e64 v24, v29, 0, s[16:17]
	v_cndmask_b32_e64 v25, v30, 0, s[18:19]
	v_and_b32_e32 v7, 1, v7
	v_add3_u32 v6, v6, v24, v25
	v_cmp_eq_u32_e32 vcc, 1, v7
	s_and_saveexec_b64 s[24:25], vcc
	s_cbranch_execz .LBB258_62
; %bb.61:                               ;   in Loop: Header=BB258_60 Depth=2
	v_ashrrev_i32_e32 v7, 31, v6
	v_add_co_u32_e32 v24, vcc, v22, v6
	v_addc_co_u32_e32 v25, vcc, v23, v7, vcc
	v_lshlrev_b64 v[26:27], 2, v[24:25]
	v_mov_b32_e32 v7, s72
	v_add_co_u32_e32 v26, vcc, s71, v26
	v_add_u32_e32 v28, s44, v5
	v_addc_co_u32_e32 v27, vcc, v7, v27, vcc
	global_store_dword v[26:27], v28, off
	v_lshlrev_b64 v[28:29], 4, v[24:25]
	ds_read2_b64 v[24:27], v42 offset1:1
	v_mov_b32_e32 v7, s74
	v_add_co_u32_e32 v28, vcc, s73, v28
	v_addc_co_u32_e32 v29, vcc, v7, v29, vcc
	s_waitcnt lgkmcnt(0)
	global_store_dwordx4 v[28:29], v[24:27], off
.LBB258_62:                             ;   in Loop: Header=BB258_60 Depth=2
	s_or_b64 exec, exec, s[24:25]
	s_and_saveexec_b64 s[24:25], s[4:5]
	s_cbranch_execz .LBB258_59
; %bb.63:                               ;   in Loop: Header=BB258_60 Depth=2
	ds_write_b32 v0, v6 offset:28
	s_branch .LBB258_59
.LBB258_64:
	s_endpgm
	.section	.rodata,"a",@progbits
	.p2align	6, 0x0
	.amdhsa_kernel _ZN9rocsparseL36csrgemm_fill_block_per_row_multipassILj512ELj16ELj2048ELj64Eli21rocsparse_complex_numIdEEEvT4_PKS3_S5_NS_24const_host_device_scalarIT5_EEPKT3_S5_PKS7_SB_S5_SD_S8_SB_S5_SD_SB_PS3_PS7_PS9_21rocsparse_index_base_SH_SH_SH_bbb
		.amdhsa_group_segment_fixed_size 51208
		.amdhsa_private_segment_fixed_size 0
		.amdhsa_kernarg_size 180
		.amdhsa_user_sgpr_count 8
		.amdhsa_user_sgpr_private_segment_buffer 1
		.amdhsa_user_sgpr_dispatch_ptr 1
		.amdhsa_user_sgpr_queue_ptr 0
		.amdhsa_user_sgpr_kernarg_segment_ptr 1
		.amdhsa_user_sgpr_dispatch_id 0
		.amdhsa_user_sgpr_flat_scratch_init 0
		.amdhsa_user_sgpr_kernarg_preload_length 0
		.amdhsa_user_sgpr_kernarg_preload_offset 0
		.amdhsa_user_sgpr_private_segment_size 0
		.amdhsa_uses_dynamic_stack 0
		.amdhsa_system_sgpr_private_segment_wavefront_offset 0
		.amdhsa_system_sgpr_workgroup_id_x 1
		.amdhsa_system_sgpr_workgroup_id_y 0
		.amdhsa_system_sgpr_workgroup_id_z 0
		.amdhsa_system_sgpr_workgroup_info 0
		.amdhsa_system_vgpr_workitem_id 2
		.amdhsa_next_free_vgpr 55
		.amdhsa_next_free_sgpr 84
		.amdhsa_accum_offset 56
		.amdhsa_reserve_vcc 1
		.amdhsa_reserve_flat_scratch 0
		.amdhsa_float_round_mode_32 0
		.amdhsa_float_round_mode_16_64 0
		.amdhsa_float_denorm_mode_32 3
		.amdhsa_float_denorm_mode_16_64 3
		.amdhsa_dx10_clamp 1
		.amdhsa_ieee_mode 1
		.amdhsa_fp16_overflow 0
		.amdhsa_tg_split 0
		.amdhsa_exception_fp_ieee_invalid_op 0
		.amdhsa_exception_fp_denorm_src 0
		.amdhsa_exception_fp_ieee_div_zero 0
		.amdhsa_exception_fp_ieee_overflow 0
		.amdhsa_exception_fp_ieee_underflow 0
		.amdhsa_exception_fp_ieee_inexact 0
		.amdhsa_exception_int_div_zero 0
	.end_amdhsa_kernel
	.section	.text._ZN9rocsparseL36csrgemm_fill_block_per_row_multipassILj512ELj16ELj2048ELj64Eli21rocsparse_complex_numIdEEEvT4_PKS3_S5_NS_24const_host_device_scalarIT5_EEPKT3_S5_PKS7_SB_S5_SD_S8_SB_S5_SD_SB_PS3_PS7_PS9_21rocsparse_index_base_SH_SH_SH_bbb,"axG",@progbits,_ZN9rocsparseL36csrgemm_fill_block_per_row_multipassILj512ELj16ELj2048ELj64Eli21rocsparse_complex_numIdEEEvT4_PKS3_S5_NS_24const_host_device_scalarIT5_EEPKT3_S5_PKS7_SB_S5_SD_S8_SB_S5_SD_SB_PS3_PS7_PS9_21rocsparse_index_base_SH_SH_SH_bbb,comdat
.Lfunc_end258:
	.size	_ZN9rocsparseL36csrgemm_fill_block_per_row_multipassILj512ELj16ELj2048ELj64Eli21rocsparse_complex_numIdEEEvT4_PKS3_S5_NS_24const_host_device_scalarIT5_EEPKT3_S5_PKS7_SB_S5_SD_S8_SB_S5_SD_SB_PS3_PS7_PS9_21rocsparse_index_base_SH_SH_SH_bbb, .Lfunc_end258-_ZN9rocsparseL36csrgemm_fill_block_per_row_multipassILj512ELj16ELj2048ELj64Eli21rocsparse_complex_numIdEEEvT4_PKS3_S5_NS_24const_host_device_scalarIT5_EEPKT3_S5_PKS7_SB_S5_SD_S8_SB_S5_SD_SB_PS3_PS7_PS9_21rocsparse_index_base_SH_SH_SH_bbb
                                        ; -- End function
	.section	.AMDGPU.csdata,"",@progbits
; Kernel info:
; codeLenInByte = 2904
; NumSgprs: 88
; NumVgprs: 55
; NumAgprs: 0
; TotalNumVgprs: 55
; ScratchSize: 0
; MemoryBound: 0
; FloatMode: 240
; IeeeMode: 1
; LDSByteSize: 51208 bytes/workgroup (compile time only)
; SGPRBlocks: 10
; VGPRBlocks: 6
; NumSGPRsForWavesPerEU: 88
; NumVGPRsForWavesPerEU: 55
; AccumOffset: 56
; Occupancy: 2
; WaveLimiterHint : 1
; COMPUTE_PGM_RSRC2:SCRATCH_EN: 0
; COMPUTE_PGM_RSRC2:USER_SGPR: 8
; COMPUTE_PGM_RSRC2:TRAP_HANDLER: 0
; COMPUTE_PGM_RSRC2:TGID_X_EN: 1
; COMPUTE_PGM_RSRC2:TGID_Y_EN: 0
; COMPUTE_PGM_RSRC2:TGID_Z_EN: 0
; COMPUTE_PGM_RSRC2:TIDIG_COMP_CNT: 2
; COMPUTE_PGM_RSRC3_GFX90A:ACCUM_OFFSET: 13
; COMPUTE_PGM_RSRC3_GFX90A:TG_SPLIT: 0
	.text
	.p2alignl 6, 3212836864
	.fill 256, 4, 3212836864
	.type	__hip_cuid_2964eb87ff55baca,@object ; @__hip_cuid_2964eb87ff55baca
	.section	.bss,"aw",@nobits
	.globl	__hip_cuid_2964eb87ff55baca
__hip_cuid_2964eb87ff55baca:
	.byte	0                               ; 0x0
	.size	__hip_cuid_2964eb87ff55baca, 1

	.ident	"AMD clang version 19.0.0git (https://github.com/RadeonOpenCompute/llvm-project roc-6.4.0 25133 c7fe45cf4b819c5991fe208aaa96edf142730f1d)"
	.section	".note.GNU-stack","",@progbits
	.addrsig
	.addrsig_sym _ZN9rocsparse13shared_memoryE
	.addrsig_sym __hip_cuid_2964eb87ff55baca
	.amdgpu_metadata
---
amdhsa.kernels:
  - .agpr_count:     0
    .args:
      - .offset:         0
        .size:           4
        .value_kind:     by_value
      - .actual_access:  read_only
        .address_space:  global
        .offset:         8
        .size:           8
        .value_kind:     global_buffer
      - .actual_access:  write_only
        .address_space:  global
        .offset:         16
        .size:           8
        .value_kind:     global_buffer
      - .offset:         24
        .size:           4
        .value_kind:     hidden_block_count_x
      - .offset:         28
        .size:           4
        .value_kind:     hidden_block_count_y
      - .offset:         32
        .size:           4
        .value_kind:     hidden_block_count_z
      - .offset:         36
        .size:           2
        .value_kind:     hidden_group_size_x
      - .offset:         38
        .size:           2
        .value_kind:     hidden_group_size_y
      - .offset:         40
        .size:           2
        .value_kind:     hidden_group_size_z
      - .offset:         42
        .size:           2
        .value_kind:     hidden_remainder_x
      - .offset:         44
        .size:           2
        .value_kind:     hidden_remainder_y
      - .offset:         46
        .size:           2
        .value_kind:     hidden_remainder_z
      - .offset:         64
        .size:           8
        .value_kind:     hidden_global_offset_x
      - .offset:         72
        .size:           8
        .value_kind:     hidden_global_offset_y
      - .offset:         80
        .size:           8
        .value_kind:     hidden_global_offset_z
      - .offset:         88
        .size:           2
        .value_kind:     hidden_grid_dims
    .group_segment_fixed_size: 1024
    .kernarg_segment_align: 8
    .kernarg_segment_size: 280
    .language:       OpenCL C
    .language_version:
      - 2
      - 0
    .max_flat_workgroup_size: 256
    .name:           _ZN9rocsparseL25csrgemm_max_row_nnz_part1ILj256EiiEEvT1_PKT0_PS1_
    .private_segment_fixed_size: 0
    .sgpr_count:     15
    .sgpr_spill_count: 0
    .symbol:         _ZN9rocsparseL25csrgemm_max_row_nnz_part1ILj256EiiEEvT1_PKT0_PS1_.kd
    .uniform_work_group_size: 1
    .uses_dynamic_stack: false
    .vgpr_count:     8
    .vgpr_spill_count: 0
    .wavefront_size: 64
  - .agpr_count:     0
    .args:
      - .address_space:  global
        .offset:         0
        .size:           8
        .value_kind:     global_buffer
    .group_segment_fixed_size: 1024
    .kernarg_segment_align: 8
    .kernarg_segment_size: 8
    .language:       OpenCL C
    .language_version:
      - 2
      - 0
    .max_flat_workgroup_size: 256
    .name:           _ZN9rocsparseL25csrgemm_max_row_nnz_part2ILj256EiEEvPT0_
    .private_segment_fixed_size: 0
    .sgpr_count:     10
    .sgpr_spill_count: 0
    .symbol:         _ZN9rocsparseL25csrgemm_max_row_nnz_part2ILj256EiEEvPT0_.kd
    .uniform_work_group_size: 1
    .uses_dynamic_stack: false
    .vgpr_count:     4
    .vgpr_spill_count: 0
    .wavefront_size: 64
  - .agpr_count:     0
    .args:
      - .offset:         0
        .size:           4
        .value_kind:     by_value
      - .actual_access:  read_only
        .address_space:  global
        .offset:         8
        .size:           8
        .value_kind:     global_buffer
      - .actual_access:  write_only
        .address_space:  global
        .offset:         16
        .size:           8
        .value_kind:     global_buffer
      - .actual_access:  write_only
        .address_space:  global
        .offset:         24
        .size:           8
        .value_kind:     global_buffer
      - .offset:         32
        .size:           4
        .value_kind:     by_value
      - .offset:         40
        .size:           4
        .value_kind:     hidden_block_count_x
      - .offset:         44
        .size:           4
        .value_kind:     hidden_block_count_y
      - .offset:         48
        .size:           4
        .value_kind:     hidden_block_count_z
      - .offset:         52
        .size:           2
        .value_kind:     hidden_group_size_x
      - .offset:         54
        .size:           2
        .value_kind:     hidden_group_size_y
      - .offset:         56
        .size:           2
        .value_kind:     hidden_group_size_z
      - .offset:         58
        .size:           2
        .value_kind:     hidden_remainder_x
      - .offset:         60
        .size:           2
        .value_kind:     hidden_remainder_y
      - .offset:         62
        .size:           2
        .value_kind:     hidden_remainder_z
      - .offset:         80
        .size:           8
        .value_kind:     hidden_global_offset_x
      - .offset:         88
        .size:           8
        .value_kind:     hidden_global_offset_y
      - .offset:         96
        .size:           8
        .value_kind:     hidden_global_offset_z
      - .offset:         104
        .size:           2
        .value_kind:     hidden_grid_dims
    .group_segment_fixed_size: 11264
    .kernarg_segment_align: 8
    .kernarg_segment_size: 296
    .language:       OpenCL C
    .language_version:
      - 2
      - 0
    .max_flat_workgroup_size: 256
    .name:           _ZN9rocsparseL26csrgemm_group_reduce_part2ILj256ELj11EfiiEEvT3_PKT2_PS1_Pij
    .private_segment_fixed_size: 0
    .sgpr_count:     56
    .sgpr_spill_count: 0
    .symbol:         _ZN9rocsparseL26csrgemm_group_reduce_part2ILj256ELj11EfiiEEvT3_PKT2_PS1_Pij.kd
    .uniform_work_group_size: 1
    .uses_dynamic_stack: false
    .vgpr_count:     22
    .vgpr_spill_count: 0
    .wavefront_size: 64
  - .agpr_count:     0
    .args:
      - .address_space:  global
        .offset:         0
        .size:           8
        .value_kind:     global_buffer
    .group_segment_fixed_size: 11264
    .kernarg_segment_align: 8
    .kernarg_segment_size: 8
    .language:       OpenCL C
    .language_version:
      - 2
      - 0
    .max_flat_workgroup_size: 256
    .name:           _ZN9rocsparseL26csrgemm_group_reduce_part3ILj256ELj11EiEEvPT1_
    .private_segment_fixed_size: 0
    .sgpr_count:     10
    .sgpr_spill_count: 0
    .symbol:         _ZN9rocsparseL26csrgemm_group_reduce_part3ILj256ELj11EiEEvPT1_.kd
    .uniform_work_group_size: 1
    .uses_dynamic_stack: false
    .vgpr_count:     22
    .vgpr_spill_count: 0
    .wavefront_size: 64
  - .agpr_count:     0
    .args:
      - .offset:         0
        .size:           4
        .value_kind:     by_value
      - .offset:         4
        .size:           4
        .value_kind:     by_value
      - .actual_access:  read_only
        .address_space:  global
        .offset:         8
        .size:           8
        .value_kind:     global_buffer
      - .actual_access:  read_only
        .address_space:  global
        .offset:         16
        .size:           8
        .value_kind:     global_buffer
      - .offset:         24
        .size:           8
        .value_kind:     by_value
      - .actual_access:  read_only
        .address_space:  global
        .offset:         32
        .size:           8
        .value_kind:     global_buffer
      - .actual_access:  read_only
        .address_space:  global
        .offset:         40
        .size:           8
        .value_kind:     global_buffer
      - .actual_access:  read_only
        .address_space:  global
        .offset:         48
        .size:           8
        .value_kind:     global_buffer
      - .actual_access:  read_only
        .address_space:  global
        .offset:         56
        .size:           8
        .value_kind:     global_buffer
      - .actual_access:  read_only
        .address_space:  global
        .offset:         64
        .size:           8
        .value_kind:     global_buffer
      - .actual_access:  read_only
        .address_space:  global
        .offset:         72
        .size:           8
        .value_kind:     global_buffer
      - .offset:         80
        .size:           8
        .value_kind:     by_value
      - .actual_access:  read_only
        .address_space:  global
        .offset:         88
        .size:           8
        .value_kind:     global_buffer
      - .actual_access:  read_only
        .address_space:  global
        .offset:         96
        .size:           8
        .value_kind:     global_buffer
      - .actual_access:  read_only
        .address_space:  global
        .offset:         104
        .size:           8
        .value_kind:     global_buffer
      - .actual_access:  read_only
        .address_space:  global
        .offset:         112
        .size:           8
        .value_kind:     global_buffer
      - .actual_access:  write_only
        .address_space:  global
        .offset:         120
        .size:           8
        .value_kind:     global_buffer
      - .actual_access:  write_only
        .address_space:  global
        .offset:         128
        .size:           8
        .value_kind:     global_buffer
      - .offset:         136
        .size:           4
        .value_kind:     by_value
      - .offset:         140
        .size:           4
        .value_kind:     by_value
      - .offset:         144
        .size:           4
        .value_kind:     by_value
      - .offset:         148
        .size:           4
        .value_kind:     by_value
      - .offset:         152
        .size:           1
        .value_kind:     by_value
      - .offset:         153
        .size:           1
        .value_kind:     by_value
      - .offset:         154
        .size:           1
        .value_kind:     by_value
    .group_segment_fixed_size: 4096
    .kernarg_segment_align: 8
    .kernarg_segment_size: 156
    .language:       OpenCL C
    .language_version:
      - 2
      - 0
    .max_flat_workgroup_size: 256
    .name:           _ZN9rocsparseL23csrgemm_fill_wf_per_rowILj256ELj8ELj16ELj137EiifEEvT4_S1_PKS1_S3_NS_24const_host_device_scalarIT5_EEPKT3_S3_PKS5_S9_S3_SB_S6_S9_S3_SB_S9_PS1_PS5_21rocsparse_index_base_SE_SE_SE_bbb
    .private_segment_fixed_size: 0
    .sgpr_count:     56
    .sgpr_spill_count: 0
    .symbol:         _ZN9rocsparseL23csrgemm_fill_wf_per_rowILj256ELj8ELj16ELj137EiifEEvT4_S1_PKS1_S3_NS_24const_host_device_scalarIT5_EEPKT3_S3_PKS5_S9_S3_SB_S6_S9_S3_SB_S9_PS1_PS5_21rocsparse_index_base_SE_SE_SE_bbb.kd
    .uniform_work_group_size: 1
    .uses_dynamic_stack: false
    .vgpr_count:     24
    .vgpr_spill_count: 0
    .wavefront_size: 64
  - .agpr_count:     0
    .args:
      - .offset:         0
        .size:           4
        .value_kind:     by_value
      - .offset:         4
        .size:           4
        .value_kind:     by_value
      - .actual_access:  read_only
        .address_space:  global
        .offset:         8
        .size:           8
        .value_kind:     global_buffer
      - .actual_access:  read_only
        .address_space:  global
        .offset:         16
        .size:           8
        .value_kind:     global_buffer
      - .offset:         24
        .size:           8
        .value_kind:     by_value
      - .actual_access:  read_only
        .address_space:  global
        .offset:         32
        .size:           8
        .value_kind:     global_buffer
      - .actual_access:  read_only
        .address_space:  global
        .offset:         40
        .size:           8
        .value_kind:     global_buffer
      - .actual_access:  read_only
        .address_space:  global
        .offset:         48
        .size:           8
        .value_kind:     global_buffer
      - .actual_access:  read_only
        .address_space:  global
        .offset:         56
        .size:           8
        .value_kind:     global_buffer
      - .actual_access:  read_only
        .address_space:  global
        .offset:         64
        .size:           8
        .value_kind:     global_buffer
      - .actual_access:  read_only
        .address_space:  global
        .offset:         72
        .size:           8
        .value_kind:     global_buffer
      - .offset:         80
        .size:           8
        .value_kind:     by_value
      - .actual_access:  read_only
        .address_space:  global
        .offset:         88
        .size:           8
        .value_kind:     global_buffer
      - .actual_access:  read_only
        .address_space:  global
        .offset:         96
        .size:           8
        .value_kind:     global_buffer
      - .actual_access:  read_only
        .address_space:  global
        .offset:         104
        .size:           8
        .value_kind:     global_buffer
      - .actual_access:  read_only
        .address_space:  global
        .offset:         112
        .size:           8
        .value_kind:     global_buffer
      - .actual_access:  write_only
        .address_space:  global
        .offset:         120
        .size:           8
        .value_kind:     global_buffer
      - .actual_access:  write_only
        .address_space:  global
        .offset:         128
        .size:           8
        .value_kind:     global_buffer
      - .offset:         136
        .size:           4
        .value_kind:     by_value
      - .offset:         140
        .size:           4
        .value_kind:     by_value
      - .offset:         144
        .size:           4
        .value_kind:     by_value
      - .offset:         148
        .size:           4
        .value_kind:     by_value
      - .offset:         152
        .size:           1
        .value_kind:     by_value
      - .offset:         153
        .size:           1
        .value_kind:     by_value
      - .offset:         154
        .size:           1
        .value_kind:     by_value
    .group_segment_fixed_size: 4096
    .kernarg_segment_align: 8
    .kernarg_segment_size: 156
    .language:       OpenCL C
    .language_version:
      - 2
      - 0
    .max_flat_workgroup_size: 256
    .name:           _ZN9rocsparseL23csrgemm_fill_wf_per_rowILj256ELj16ELj32ELj137EiifEEvT4_S1_PKS1_S3_NS_24const_host_device_scalarIT5_EEPKT3_S3_PKS5_S9_S3_SB_S6_S9_S3_SB_S9_PS1_PS5_21rocsparse_index_base_SE_SE_SE_bbb
    .private_segment_fixed_size: 0
    .sgpr_count:     56
    .sgpr_spill_count: 0
    .symbol:         _ZN9rocsparseL23csrgemm_fill_wf_per_rowILj256ELj16ELj32ELj137EiifEEvT4_S1_PKS1_S3_NS_24const_host_device_scalarIT5_EEPKT3_S3_PKS5_S9_S3_SB_S6_S9_S3_SB_S9_PS1_PS5_21rocsparse_index_base_SE_SE_SE_bbb.kd
    .uniform_work_group_size: 1
    .uses_dynamic_stack: false
    .vgpr_count:     24
    .vgpr_spill_count: 0
    .wavefront_size: 64
  - .agpr_count:     0
    .args:
      - .offset:         0
        .size:           4
        .value_kind:     by_value
      - .actual_access:  read_only
        .address_space:  global
        .offset:         8
        .size:           8
        .value_kind:     global_buffer
      - .actual_access:  read_only
        .address_space:  global
        .offset:         16
        .size:           8
        .value_kind:     global_buffer
      - .offset:         24
        .size:           8
        .value_kind:     by_value
      - .actual_access:  read_only
        .address_space:  global
        .offset:         32
        .size:           8
        .value_kind:     global_buffer
      - .actual_access:  read_only
        .address_space:  global
        .offset:         40
        .size:           8
        .value_kind:     global_buffer
      - .actual_access:  read_only
        .address_space:  global
        .offset:         48
        .size:           8
        .value_kind:     global_buffer
      - .actual_access:  read_only
        .address_space:  global
        .offset:         56
        .size:           8
        .value_kind:     global_buffer
      - .actual_access:  read_only
        .address_space:  global
        .offset:         64
        .size:           8
        .value_kind:     global_buffer
      - .actual_access:  read_only
        .address_space:  global
        .offset:         72
        .size:           8
        .value_kind:     global_buffer
      - .offset:         80
        .size:           8
        .value_kind:     by_value
      - .actual_access:  read_only
        .address_space:  global
        .offset:         88
        .size:           8
        .value_kind:     global_buffer
      - .actual_access:  read_only
        .address_space:  global
        .offset:         96
        .size:           8
        .value_kind:     global_buffer
      - .actual_access:  read_only
        .address_space:  global
        .offset:         104
        .size:           8
        .value_kind:     global_buffer
      - .actual_access:  read_only
        .address_space:  global
        .offset:         112
        .size:           8
        .value_kind:     global_buffer
      - .actual_access:  write_only
        .address_space:  global
        .offset:         120
        .size:           8
        .value_kind:     global_buffer
      - .actual_access:  write_only
        .address_space:  global
        .offset:         128
        .size:           8
        .value_kind:     global_buffer
      - .offset:         136
        .size:           4
        .value_kind:     by_value
      - .offset:         140
        .size:           4
        .value_kind:     by_value
      - .offset:         144
        .size:           4
        .value_kind:     by_value
      - .offset:         148
        .size:           4
        .value_kind:     by_value
      - .offset:         152
        .size:           1
        .value_kind:     by_value
      - .offset:         153
        .size:           1
        .value_kind:     by_value
      - .offset:         154
        .size:           1
        .value_kind:     by_value
    .group_segment_fixed_size: 0
    .kernarg_segment_align: 8
    .kernarg_segment_size: 156
    .language:       OpenCL C
    .language_version:
      - 2
      - 0
    .max_flat_workgroup_size: 128
    .name:           _ZN9rocsparseL26csrgemm_fill_block_per_rowILj128ELj16ELj256ELj137ELj32EiifEEvT5_PKS1_S3_NS_24const_host_device_scalarIT6_EEPKT4_S3_PKS5_S9_S3_SB_S6_S9_S3_SB_S9_PS1_PS5_21rocsparse_index_base_SE_SE_SE_bbb
    .private_segment_fixed_size: 0
    .sgpr_count:     58
    .sgpr_spill_count: 0
    .symbol:         _ZN9rocsparseL26csrgemm_fill_block_per_rowILj128ELj16ELj256ELj137ELj32EiifEEvT5_PKS1_S3_NS_24const_host_device_scalarIT6_EEPKT4_S3_PKS5_S9_S3_SB_S6_S9_S3_SB_S9_PS1_PS5_21rocsparse_index_base_SE_SE_SE_bbb.kd
    .uniform_work_group_size: 1
    .uses_dynamic_stack: false
    .vgpr_count:     24
    .vgpr_spill_count: 0
    .wavefront_size: 64
  - .agpr_count:     0
    .args:
      - .offset:         0
        .size:           4
        .value_kind:     by_value
      - .actual_access:  read_only
        .address_space:  global
        .offset:         8
        .size:           8
        .value_kind:     global_buffer
      - .actual_access:  read_only
        .address_space:  global
        .offset:         16
        .size:           8
        .value_kind:     global_buffer
      - .offset:         24
        .size:           8
        .value_kind:     by_value
      - .actual_access:  read_only
        .address_space:  global
        .offset:         32
        .size:           8
        .value_kind:     global_buffer
      - .actual_access:  read_only
        .address_space:  global
        .offset:         40
        .size:           8
        .value_kind:     global_buffer
      - .actual_access:  read_only
        .address_space:  global
        .offset:         48
        .size:           8
        .value_kind:     global_buffer
      - .actual_access:  read_only
        .address_space:  global
        .offset:         56
        .size:           8
        .value_kind:     global_buffer
      - .actual_access:  read_only
        .address_space:  global
        .offset:         64
        .size:           8
        .value_kind:     global_buffer
      - .actual_access:  read_only
        .address_space:  global
        .offset:         72
        .size:           8
        .value_kind:     global_buffer
      - .offset:         80
        .size:           8
        .value_kind:     by_value
      - .actual_access:  read_only
        .address_space:  global
        .offset:         88
        .size:           8
        .value_kind:     global_buffer
      - .actual_access:  read_only
        .address_space:  global
        .offset:         96
        .size:           8
        .value_kind:     global_buffer
      - .actual_access:  read_only
        .address_space:  global
        .offset:         104
        .size:           8
        .value_kind:     global_buffer
      - .actual_access:  read_only
        .address_space:  global
        .offset:         112
        .size:           8
        .value_kind:     global_buffer
      - .actual_access:  write_only
        .address_space:  global
        .offset:         120
        .size:           8
        .value_kind:     global_buffer
      - .actual_access:  write_only
        .address_space:  global
        .offset:         128
        .size:           8
        .value_kind:     global_buffer
      - .offset:         136
        .size:           4
        .value_kind:     by_value
      - .offset:         140
        .size:           4
        .value_kind:     by_value
      - .offset:         144
        .size:           4
        .value_kind:     by_value
      - .offset:         148
        .size:           4
        .value_kind:     by_value
      - .offset:         152
        .size:           1
        .value_kind:     by_value
      - .offset:         153
        .size:           1
        .value_kind:     by_value
      - .offset:         154
        .size:           1
        .value_kind:     by_value
    .group_segment_fixed_size: 0
    .kernarg_segment_align: 8
    .kernarg_segment_size: 156
    .language:       OpenCL C
    .language_version:
      - 2
      - 0
    .max_flat_workgroup_size: 128
    .name:           _ZN9rocsparseL26csrgemm_fill_block_per_rowILj128ELj16ELj256ELj137ELj64EiifEEvT5_PKS1_S3_NS_24const_host_device_scalarIT6_EEPKT4_S3_PKS5_S9_S3_SB_S6_S9_S3_SB_S9_PS1_PS5_21rocsparse_index_base_SE_SE_SE_bbb
    .private_segment_fixed_size: 0
    .sgpr_count:     58
    .sgpr_spill_count: 0
    .symbol:         _ZN9rocsparseL26csrgemm_fill_block_per_rowILj128ELj16ELj256ELj137ELj64EiifEEvT5_PKS1_S3_NS_24const_host_device_scalarIT6_EEPKT4_S3_PKS5_S9_S3_SB_S6_S9_S3_SB_S9_PS1_PS5_21rocsparse_index_base_SE_SE_SE_bbb.kd
    .uniform_work_group_size: 1
    .uses_dynamic_stack: false
    .vgpr_count:     24
    .vgpr_spill_count: 0
    .wavefront_size: 64
  - .agpr_count:     0
    .args:
      - .offset:         0
        .size:           4
        .value_kind:     by_value
      - .actual_access:  read_only
        .address_space:  global
        .offset:         8
        .size:           8
        .value_kind:     global_buffer
      - .actual_access:  read_only
        .address_space:  global
        .offset:         16
        .size:           8
        .value_kind:     global_buffer
      - .offset:         24
        .size:           8
        .value_kind:     by_value
      - .actual_access:  read_only
        .address_space:  global
        .offset:         32
        .size:           8
        .value_kind:     global_buffer
      - .actual_access:  read_only
        .address_space:  global
        .offset:         40
        .size:           8
        .value_kind:     global_buffer
      - .actual_access:  read_only
        .address_space:  global
        .offset:         48
        .size:           8
        .value_kind:     global_buffer
      - .actual_access:  read_only
        .address_space:  global
        .offset:         56
        .size:           8
        .value_kind:     global_buffer
      - .actual_access:  read_only
        .address_space:  global
        .offset:         64
        .size:           8
        .value_kind:     global_buffer
      - .actual_access:  read_only
        .address_space:  global
        .offset:         72
        .size:           8
        .value_kind:     global_buffer
      - .offset:         80
        .size:           8
        .value_kind:     by_value
      - .actual_access:  read_only
        .address_space:  global
        .offset:         88
        .size:           8
        .value_kind:     global_buffer
      - .actual_access:  read_only
        .address_space:  global
        .offset:         96
        .size:           8
        .value_kind:     global_buffer
      - .actual_access:  read_only
        .address_space:  global
        .offset:         104
        .size:           8
        .value_kind:     global_buffer
      - .actual_access:  read_only
        .address_space:  global
        .offset:         112
        .size:           8
        .value_kind:     global_buffer
      - .actual_access:  write_only
        .address_space:  global
        .offset:         120
        .size:           8
        .value_kind:     global_buffer
      - .actual_access:  write_only
        .address_space:  global
        .offset:         128
        .size:           8
        .value_kind:     global_buffer
      - .offset:         136
        .size:           4
        .value_kind:     by_value
      - .offset:         140
        .size:           4
        .value_kind:     by_value
      - .offset:         144
        .size:           4
        .value_kind:     by_value
      - .offset:         148
        .size:           4
        .value_kind:     by_value
      - .offset:         152
        .size:           1
        .value_kind:     by_value
      - .offset:         153
        .size:           1
        .value_kind:     by_value
      - .offset:         154
        .size:           1
        .value_kind:     by_value
    .group_segment_fixed_size: 0
    .kernarg_segment_align: 8
    .kernarg_segment_size: 156
    .language:       OpenCL C
    .language_version:
      - 2
      - 0
    .max_flat_workgroup_size: 256
    .name:           _ZN9rocsparseL26csrgemm_fill_block_per_rowILj256ELj32ELj512ELj137ELj32EiifEEvT5_PKS1_S3_NS_24const_host_device_scalarIT6_EEPKT4_S3_PKS5_S9_S3_SB_S6_S9_S3_SB_S9_PS1_PS5_21rocsparse_index_base_SE_SE_SE_bbb
    .private_segment_fixed_size: 0
    .sgpr_count:     58
    .sgpr_spill_count: 0
    .symbol:         _ZN9rocsparseL26csrgemm_fill_block_per_rowILj256ELj32ELj512ELj137ELj32EiifEEvT5_PKS1_S3_NS_24const_host_device_scalarIT6_EEPKT4_S3_PKS5_S9_S3_SB_S6_S9_S3_SB_S9_PS1_PS5_21rocsparse_index_base_SE_SE_SE_bbb.kd
    .uniform_work_group_size: 1
    .uses_dynamic_stack: false
    .vgpr_count:     24
    .vgpr_spill_count: 0
    .wavefront_size: 64
  - .agpr_count:     0
    .args:
      - .offset:         0
        .size:           4
        .value_kind:     by_value
      - .actual_access:  read_only
        .address_space:  global
        .offset:         8
        .size:           8
        .value_kind:     global_buffer
      - .actual_access:  read_only
        .address_space:  global
        .offset:         16
        .size:           8
        .value_kind:     global_buffer
      - .offset:         24
        .size:           8
        .value_kind:     by_value
      - .actual_access:  read_only
        .address_space:  global
        .offset:         32
        .size:           8
        .value_kind:     global_buffer
      - .actual_access:  read_only
        .address_space:  global
        .offset:         40
        .size:           8
        .value_kind:     global_buffer
      - .actual_access:  read_only
        .address_space:  global
        .offset:         48
        .size:           8
        .value_kind:     global_buffer
      - .actual_access:  read_only
        .address_space:  global
        .offset:         56
        .size:           8
        .value_kind:     global_buffer
      - .actual_access:  read_only
        .address_space:  global
        .offset:         64
        .size:           8
        .value_kind:     global_buffer
      - .actual_access:  read_only
        .address_space:  global
        .offset:         72
        .size:           8
        .value_kind:     global_buffer
      - .offset:         80
        .size:           8
        .value_kind:     by_value
      - .actual_access:  read_only
        .address_space:  global
        .offset:         88
        .size:           8
        .value_kind:     global_buffer
      - .actual_access:  read_only
        .address_space:  global
        .offset:         96
        .size:           8
        .value_kind:     global_buffer
      - .actual_access:  read_only
        .address_space:  global
        .offset:         104
        .size:           8
        .value_kind:     global_buffer
      - .actual_access:  read_only
        .address_space:  global
        .offset:         112
        .size:           8
        .value_kind:     global_buffer
      - .actual_access:  write_only
        .address_space:  global
        .offset:         120
        .size:           8
        .value_kind:     global_buffer
      - .actual_access:  write_only
        .address_space:  global
        .offset:         128
        .size:           8
        .value_kind:     global_buffer
      - .offset:         136
        .size:           4
        .value_kind:     by_value
      - .offset:         140
        .size:           4
        .value_kind:     by_value
      - .offset:         144
        .size:           4
        .value_kind:     by_value
      - .offset:         148
        .size:           4
        .value_kind:     by_value
      - .offset:         152
        .size:           1
        .value_kind:     by_value
      - .offset:         153
        .size:           1
        .value_kind:     by_value
      - .offset:         154
        .size:           1
        .value_kind:     by_value
    .group_segment_fixed_size: 0
    .kernarg_segment_align: 8
    .kernarg_segment_size: 156
    .language:       OpenCL C
    .language_version:
      - 2
      - 0
    .max_flat_workgroup_size: 256
    .name:           _ZN9rocsparseL26csrgemm_fill_block_per_rowILj256ELj32ELj512ELj137ELj64EiifEEvT5_PKS1_S3_NS_24const_host_device_scalarIT6_EEPKT4_S3_PKS5_S9_S3_SB_S6_S9_S3_SB_S9_PS1_PS5_21rocsparse_index_base_SE_SE_SE_bbb
    .private_segment_fixed_size: 0
    .sgpr_count:     58
    .sgpr_spill_count: 0
    .symbol:         _ZN9rocsparseL26csrgemm_fill_block_per_rowILj256ELj32ELj512ELj137ELj64EiifEEvT5_PKS1_S3_NS_24const_host_device_scalarIT6_EEPKT4_S3_PKS5_S9_S3_SB_S6_S9_S3_SB_S9_PS1_PS5_21rocsparse_index_base_SE_SE_SE_bbb.kd
    .uniform_work_group_size: 1
    .uses_dynamic_stack: false
    .vgpr_count:     24
    .vgpr_spill_count: 0
    .wavefront_size: 64
  - .agpr_count:     0
    .args:
      - .offset:         0
        .size:           4
        .value_kind:     by_value
      - .actual_access:  read_only
        .address_space:  global
        .offset:         8
        .size:           8
        .value_kind:     global_buffer
      - .actual_access:  read_only
        .address_space:  global
        .offset:         16
        .size:           8
        .value_kind:     global_buffer
      - .offset:         24
        .size:           8
        .value_kind:     by_value
      - .actual_access:  read_only
        .address_space:  global
        .offset:         32
        .size:           8
        .value_kind:     global_buffer
      - .actual_access:  read_only
        .address_space:  global
        .offset:         40
        .size:           8
        .value_kind:     global_buffer
      - .actual_access:  read_only
        .address_space:  global
        .offset:         48
        .size:           8
        .value_kind:     global_buffer
      - .actual_access:  read_only
        .address_space:  global
        .offset:         56
        .size:           8
        .value_kind:     global_buffer
      - .actual_access:  read_only
        .address_space:  global
        .offset:         64
        .size:           8
        .value_kind:     global_buffer
      - .actual_access:  read_only
        .address_space:  global
        .offset:         72
        .size:           8
        .value_kind:     global_buffer
      - .offset:         80
        .size:           8
        .value_kind:     by_value
      - .actual_access:  read_only
        .address_space:  global
        .offset:         88
        .size:           8
        .value_kind:     global_buffer
      - .actual_access:  read_only
        .address_space:  global
        .offset:         96
        .size:           8
        .value_kind:     global_buffer
      - .actual_access:  read_only
        .address_space:  global
        .offset:         104
        .size:           8
        .value_kind:     global_buffer
      - .actual_access:  read_only
        .address_space:  global
        .offset:         112
        .size:           8
        .value_kind:     global_buffer
      - .actual_access:  write_only
        .address_space:  global
        .offset:         120
        .size:           8
        .value_kind:     global_buffer
      - .actual_access:  write_only
        .address_space:  global
        .offset:         128
        .size:           8
        .value_kind:     global_buffer
      - .offset:         136
        .size:           4
        .value_kind:     by_value
      - .offset:         140
        .size:           4
        .value_kind:     by_value
      - .offset:         144
        .size:           4
        .value_kind:     by_value
      - .offset:         148
        .size:           4
        .value_kind:     by_value
      - .offset:         152
        .size:           1
        .value_kind:     by_value
      - .offset:         153
        .size:           1
        .value_kind:     by_value
      - .offset:         154
        .size:           1
        .value_kind:     by_value
    .group_segment_fixed_size: 0
    .kernarg_segment_align: 8
    .kernarg_segment_size: 156
    .language:       OpenCL C
    .language_version:
      - 2
      - 0
    .max_flat_workgroup_size: 512
    .name:           _ZN9rocsparseL26csrgemm_fill_block_per_rowILj512ELj32ELj1024ELj137ELj32EiifEEvT5_PKS1_S3_NS_24const_host_device_scalarIT6_EEPKT4_S3_PKS5_S9_S3_SB_S6_S9_S3_SB_S9_PS1_PS5_21rocsparse_index_base_SE_SE_SE_bbb
    .private_segment_fixed_size: 0
    .sgpr_count:     56
    .sgpr_spill_count: 0
    .symbol:         _ZN9rocsparseL26csrgemm_fill_block_per_rowILj512ELj32ELj1024ELj137ELj32EiifEEvT5_PKS1_S3_NS_24const_host_device_scalarIT6_EEPKT4_S3_PKS5_S9_S3_SB_S6_S9_S3_SB_S9_PS1_PS5_21rocsparse_index_base_SE_SE_SE_bbb.kd
    .uniform_work_group_size: 1
    .uses_dynamic_stack: false
    .vgpr_count:     24
    .vgpr_spill_count: 0
    .wavefront_size: 64
  - .agpr_count:     0
    .args:
      - .offset:         0
        .size:           4
        .value_kind:     by_value
      - .actual_access:  read_only
        .address_space:  global
        .offset:         8
        .size:           8
        .value_kind:     global_buffer
      - .actual_access:  read_only
        .address_space:  global
        .offset:         16
        .size:           8
        .value_kind:     global_buffer
      - .offset:         24
        .size:           8
        .value_kind:     by_value
      - .actual_access:  read_only
        .address_space:  global
        .offset:         32
        .size:           8
        .value_kind:     global_buffer
      - .actual_access:  read_only
        .address_space:  global
        .offset:         40
        .size:           8
        .value_kind:     global_buffer
      - .actual_access:  read_only
        .address_space:  global
        .offset:         48
        .size:           8
        .value_kind:     global_buffer
      - .actual_access:  read_only
        .address_space:  global
        .offset:         56
        .size:           8
        .value_kind:     global_buffer
      - .actual_access:  read_only
        .address_space:  global
        .offset:         64
        .size:           8
        .value_kind:     global_buffer
      - .actual_access:  read_only
        .address_space:  global
        .offset:         72
        .size:           8
        .value_kind:     global_buffer
      - .offset:         80
        .size:           8
        .value_kind:     by_value
      - .actual_access:  read_only
        .address_space:  global
        .offset:         88
        .size:           8
        .value_kind:     global_buffer
      - .actual_access:  read_only
        .address_space:  global
        .offset:         96
        .size:           8
        .value_kind:     global_buffer
      - .actual_access:  read_only
        .address_space:  global
        .offset:         104
        .size:           8
        .value_kind:     global_buffer
      - .actual_access:  read_only
        .address_space:  global
        .offset:         112
        .size:           8
        .value_kind:     global_buffer
      - .actual_access:  write_only
        .address_space:  global
        .offset:         120
        .size:           8
        .value_kind:     global_buffer
      - .actual_access:  write_only
        .address_space:  global
        .offset:         128
        .size:           8
        .value_kind:     global_buffer
      - .offset:         136
        .size:           4
        .value_kind:     by_value
      - .offset:         140
        .size:           4
        .value_kind:     by_value
      - .offset:         144
        .size:           4
        .value_kind:     by_value
      - .offset:         148
        .size:           4
        .value_kind:     by_value
      - .offset:         152
        .size:           1
        .value_kind:     by_value
      - .offset:         153
        .size:           1
        .value_kind:     by_value
      - .offset:         154
        .size:           1
        .value_kind:     by_value
    .group_segment_fixed_size: 0
    .kernarg_segment_align: 8
    .kernarg_segment_size: 156
    .language:       OpenCL C
    .language_version:
      - 2
      - 0
    .max_flat_workgroup_size: 512
    .name:           _ZN9rocsparseL26csrgemm_fill_block_per_rowILj512ELj32ELj1024ELj137ELj64EiifEEvT5_PKS1_S3_NS_24const_host_device_scalarIT6_EEPKT4_S3_PKS5_S9_S3_SB_S6_S9_S3_SB_S9_PS1_PS5_21rocsparse_index_base_SE_SE_SE_bbb
    .private_segment_fixed_size: 0
    .sgpr_count:     56
    .sgpr_spill_count: 0
    .symbol:         _ZN9rocsparseL26csrgemm_fill_block_per_rowILj512ELj32ELj1024ELj137ELj64EiifEEvT5_PKS1_S3_NS_24const_host_device_scalarIT6_EEPKT4_S3_PKS5_S9_S3_SB_S6_S9_S3_SB_S9_PS1_PS5_21rocsparse_index_base_SE_SE_SE_bbb.kd
    .uniform_work_group_size: 1
    .uses_dynamic_stack: false
    .vgpr_count:     24
    .vgpr_spill_count: 0
    .wavefront_size: 64
  - .agpr_count:     0
    .args:
      - .offset:         0
        .size:           4
        .value_kind:     by_value
      - .actual_access:  read_only
        .address_space:  global
        .offset:         8
        .size:           8
        .value_kind:     global_buffer
      - .actual_access:  read_only
        .address_space:  global
        .offset:         16
        .size:           8
        .value_kind:     global_buffer
      - .offset:         24
        .size:           8
        .value_kind:     by_value
      - .actual_access:  read_only
        .address_space:  global
        .offset:         32
        .size:           8
        .value_kind:     global_buffer
      - .actual_access:  read_only
        .address_space:  global
        .offset:         40
        .size:           8
        .value_kind:     global_buffer
      - .actual_access:  read_only
        .address_space:  global
        .offset:         48
        .size:           8
        .value_kind:     global_buffer
      - .actual_access:  read_only
        .address_space:  global
        .offset:         56
        .size:           8
        .value_kind:     global_buffer
      - .actual_access:  read_only
        .address_space:  global
        .offset:         64
        .size:           8
        .value_kind:     global_buffer
      - .actual_access:  read_only
        .address_space:  global
        .offset:         72
        .size:           8
        .value_kind:     global_buffer
      - .offset:         80
        .size:           8
        .value_kind:     by_value
      - .actual_access:  read_only
        .address_space:  global
        .offset:         88
        .size:           8
        .value_kind:     global_buffer
      - .actual_access:  read_only
        .address_space:  global
        .offset:         96
        .size:           8
        .value_kind:     global_buffer
      - .actual_access:  read_only
        .address_space:  global
        .offset:         104
        .size:           8
        .value_kind:     global_buffer
      - .actual_access:  read_only
        .address_space:  global
        .offset:         112
        .size:           8
        .value_kind:     global_buffer
      - .actual_access:  write_only
        .address_space:  global
        .offset:         120
        .size:           8
        .value_kind:     global_buffer
      - .actual_access:  write_only
        .address_space:  global
        .offset:         128
        .size:           8
        .value_kind:     global_buffer
      - .offset:         136
        .size:           4
        .value_kind:     by_value
      - .offset:         140
        .size:           4
        .value_kind:     by_value
      - .offset:         144
        .size:           4
        .value_kind:     by_value
      - .offset:         148
        .size:           4
        .value_kind:     by_value
      - .offset:         152
        .size:           1
        .value_kind:     by_value
      - .offset:         153
        .size:           1
        .value_kind:     by_value
      - .offset:         154
        .size:           1
        .value_kind:     by_value
    .group_segment_fixed_size: 0
    .kernarg_segment_align: 8
    .kernarg_segment_size: 156
    .language:       OpenCL C
    .language_version:
      - 2
      - 0
    .max_flat_workgroup_size: 1024
    .name:           _ZN9rocsparseL26csrgemm_fill_block_per_rowILj1024ELj32ELj2048ELj137ELj32EiifEEvT5_PKS1_S3_NS_24const_host_device_scalarIT6_EEPKT4_S3_PKS5_S9_S3_SB_S6_S9_S3_SB_S9_PS1_PS5_21rocsparse_index_base_SE_SE_SE_bbb
    .private_segment_fixed_size: 0
    .sgpr_count:     84
    .sgpr_spill_count: 0
    .symbol:         _ZN9rocsparseL26csrgemm_fill_block_per_rowILj1024ELj32ELj2048ELj137ELj32EiifEEvT5_PKS1_S3_NS_24const_host_device_scalarIT6_EEPKT4_S3_PKS5_S9_S3_SB_S6_S9_S3_SB_S9_PS1_PS5_21rocsparse_index_base_SE_SE_SE_bbb.kd
    .uniform_work_group_size: 1
    .uses_dynamic_stack: false
    .vgpr_count:     24
    .vgpr_spill_count: 0
    .wavefront_size: 64
  - .agpr_count:     0
    .args:
      - .offset:         0
        .size:           4
        .value_kind:     by_value
      - .actual_access:  read_only
        .address_space:  global
        .offset:         8
        .size:           8
        .value_kind:     global_buffer
      - .actual_access:  read_only
        .address_space:  global
        .offset:         16
        .size:           8
        .value_kind:     global_buffer
      - .offset:         24
        .size:           8
        .value_kind:     by_value
      - .actual_access:  read_only
        .address_space:  global
        .offset:         32
        .size:           8
        .value_kind:     global_buffer
      - .actual_access:  read_only
        .address_space:  global
        .offset:         40
        .size:           8
        .value_kind:     global_buffer
      - .actual_access:  read_only
        .address_space:  global
        .offset:         48
        .size:           8
        .value_kind:     global_buffer
      - .actual_access:  read_only
        .address_space:  global
        .offset:         56
        .size:           8
        .value_kind:     global_buffer
      - .actual_access:  read_only
        .address_space:  global
        .offset:         64
        .size:           8
        .value_kind:     global_buffer
      - .actual_access:  read_only
        .address_space:  global
        .offset:         72
        .size:           8
        .value_kind:     global_buffer
      - .offset:         80
        .size:           8
        .value_kind:     by_value
      - .actual_access:  read_only
        .address_space:  global
        .offset:         88
        .size:           8
        .value_kind:     global_buffer
      - .actual_access:  read_only
        .address_space:  global
        .offset:         96
        .size:           8
        .value_kind:     global_buffer
      - .actual_access:  read_only
        .address_space:  global
        .offset:         104
        .size:           8
        .value_kind:     global_buffer
      - .actual_access:  read_only
        .address_space:  global
        .offset:         112
        .size:           8
        .value_kind:     global_buffer
      - .actual_access:  write_only
        .address_space:  global
        .offset:         120
        .size:           8
        .value_kind:     global_buffer
      - .actual_access:  write_only
        .address_space:  global
        .offset:         128
        .size:           8
        .value_kind:     global_buffer
      - .offset:         136
        .size:           4
        .value_kind:     by_value
      - .offset:         140
        .size:           4
        .value_kind:     by_value
      - .offset:         144
        .size:           4
        .value_kind:     by_value
      - .offset:         148
        .size:           4
        .value_kind:     by_value
      - .offset:         152
        .size:           1
        .value_kind:     by_value
      - .offset:         153
        .size:           1
        .value_kind:     by_value
      - .offset:         154
        .size:           1
        .value_kind:     by_value
    .group_segment_fixed_size: 0
    .kernarg_segment_align: 8
    .kernarg_segment_size: 156
    .language:       OpenCL C
    .language_version:
      - 2
      - 0
    .max_flat_workgroup_size: 1024
    .name:           _ZN9rocsparseL26csrgemm_fill_block_per_rowILj1024ELj32ELj2048ELj137ELj64EiifEEvT5_PKS1_S3_NS_24const_host_device_scalarIT6_EEPKT4_S3_PKS5_S9_S3_SB_S6_S9_S3_SB_S9_PS1_PS5_21rocsparse_index_base_SE_SE_SE_bbb
    .private_segment_fixed_size: 0
    .sgpr_count:     56
    .sgpr_spill_count: 0
    .symbol:         _ZN9rocsparseL26csrgemm_fill_block_per_rowILj1024ELj32ELj2048ELj137ELj64EiifEEvT5_PKS1_S3_NS_24const_host_device_scalarIT6_EEPKT4_S3_PKS5_S9_S3_SB_S6_S9_S3_SB_S9_PS1_PS5_21rocsparse_index_base_SE_SE_SE_bbb.kd
    .uniform_work_group_size: 1
    .uses_dynamic_stack: false
    .vgpr_count:     24
    .vgpr_spill_count: 0
    .wavefront_size: 64
  - .agpr_count:     0
    .args:
      - .offset:         0
        .size:           4
        .value_kind:     by_value
      - .actual_access:  read_only
        .address_space:  global
        .offset:         8
        .size:           8
        .value_kind:     global_buffer
      - .actual_access:  read_only
        .address_space:  global
        .offset:         16
        .size:           8
        .value_kind:     global_buffer
      - .offset:         24
        .size:           8
        .value_kind:     by_value
      - .actual_access:  read_only
        .address_space:  global
        .offset:         32
        .size:           8
        .value_kind:     global_buffer
      - .actual_access:  read_only
        .address_space:  global
        .offset:         40
        .size:           8
        .value_kind:     global_buffer
      - .actual_access:  read_only
        .address_space:  global
        .offset:         48
        .size:           8
        .value_kind:     global_buffer
      - .actual_access:  read_only
        .address_space:  global
        .offset:         56
        .size:           8
        .value_kind:     global_buffer
      - .actual_access:  read_only
        .address_space:  global
        .offset:         64
        .size:           8
        .value_kind:     global_buffer
      - .actual_access:  read_only
        .address_space:  global
        .offset:         72
        .size:           8
        .value_kind:     global_buffer
      - .offset:         80
        .size:           8
        .value_kind:     by_value
      - .actual_access:  read_only
        .address_space:  global
        .offset:         88
        .size:           8
        .value_kind:     global_buffer
      - .actual_access:  read_only
        .address_space:  global
        .offset:         96
        .size:           8
        .value_kind:     global_buffer
      - .actual_access:  read_only
        .address_space:  global
        .offset:         104
        .size:           8
        .value_kind:     global_buffer
      - .actual_access:  read_only
        .address_space:  global
        .offset:         112
        .size:           8
        .value_kind:     global_buffer
      - .actual_access:  write_only
        .address_space:  global
        .offset:         120
        .size:           8
        .value_kind:     global_buffer
      - .actual_access:  write_only
        .address_space:  global
        .offset:         128
        .size:           8
        .value_kind:     global_buffer
      - .offset:         136
        .size:           4
        .value_kind:     by_value
      - .offset:         140
        .size:           4
        .value_kind:     by_value
      - .offset:         144
        .size:           4
        .value_kind:     by_value
      - .offset:         148
        .size:           4
        .value_kind:     by_value
      - .offset:         152
        .size:           1
        .value_kind:     by_value
      - .offset:         153
        .size:           1
        .value_kind:     by_value
      - .offset:         154
        .size:           1
        .value_kind:     by_value
    .group_segment_fixed_size: 0
    .kernarg_segment_align: 8
    .kernarg_segment_size: 156
    .language:       OpenCL C
    .language_version:
      - 2
      - 0
    .max_flat_workgroup_size: 1024
    .name:           _ZN9rocsparseL26csrgemm_fill_block_per_rowILj1024ELj64ELj4096ELj137ELj32EiifEEvT5_PKS1_S3_NS_24const_host_device_scalarIT6_EEPKT4_S3_PKS5_S9_S3_SB_S6_S9_S3_SB_S9_PS1_PS5_21rocsparse_index_base_SE_SE_SE_bbb
    .private_segment_fixed_size: 0
    .sgpr_count:     84
    .sgpr_spill_count: 0
    .symbol:         _ZN9rocsparseL26csrgemm_fill_block_per_rowILj1024ELj64ELj4096ELj137ELj32EiifEEvT5_PKS1_S3_NS_24const_host_device_scalarIT6_EEPKT4_S3_PKS5_S9_S3_SB_S6_S9_S3_SB_S9_PS1_PS5_21rocsparse_index_base_SE_SE_SE_bbb.kd
    .uniform_work_group_size: 1
    .uses_dynamic_stack: false
    .vgpr_count:     24
    .vgpr_spill_count: 0
    .wavefront_size: 64
  - .agpr_count:     0
    .args:
      - .offset:         0
        .size:           4
        .value_kind:     by_value
      - .actual_access:  read_only
        .address_space:  global
        .offset:         8
        .size:           8
        .value_kind:     global_buffer
      - .actual_access:  read_only
        .address_space:  global
        .offset:         16
        .size:           8
        .value_kind:     global_buffer
      - .offset:         24
        .size:           8
        .value_kind:     by_value
      - .actual_access:  read_only
        .address_space:  global
        .offset:         32
        .size:           8
        .value_kind:     global_buffer
      - .actual_access:  read_only
        .address_space:  global
        .offset:         40
        .size:           8
        .value_kind:     global_buffer
      - .actual_access:  read_only
        .address_space:  global
        .offset:         48
        .size:           8
        .value_kind:     global_buffer
      - .actual_access:  read_only
        .address_space:  global
        .offset:         56
        .size:           8
        .value_kind:     global_buffer
      - .actual_access:  read_only
        .address_space:  global
        .offset:         64
        .size:           8
        .value_kind:     global_buffer
      - .actual_access:  read_only
        .address_space:  global
        .offset:         72
        .size:           8
        .value_kind:     global_buffer
      - .offset:         80
        .size:           8
        .value_kind:     by_value
      - .actual_access:  read_only
        .address_space:  global
        .offset:         88
        .size:           8
        .value_kind:     global_buffer
      - .actual_access:  read_only
        .address_space:  global
        .offset:         96
        .size:           8
        .value_kind:     global_buffer
      - .actual_access:  read_only
        .address_space:  global
        .offset:         104
        .size:           8
        .value_kind:     global_buffer
      - .actual_access:  read_only
        .address_space:  global
        .offset:         112
        .size:           8
        .value_kind:     global_buffer
      - .actual_access:  write_only
        .address_space:  global
        .offset:         120
        .size:           8
        .value_kind:     global_buffer
      - .actual_access:  write_only
        .address_space:  global
        .offset:         128
        .size:           8
        .value_kind:     global_buffer
      - .offset:         136
        .size:           4
        .value_kind:     by_value
      - .offset:         140
        .size:           4
        .value_kind:     by_value
      - .offset:         144
        .size:           4
        .value_kind:     by_value
      - .offset:         148
        .size:           4
        .value_kind:     by_value
      - .offset:         152
        .size:           1
        .value_kind:     by_value
      - .offset:         153
        .size:           1
        .value_kind:     by_value
      - .offset:         154
        .size:           1
        .value_kind:     by_value
    .group_segment_fixed_size: 0
    .kernarg_segment_align: 8
    .kernarg_segment_size: 156
    .language:       OpenCL C
    .language_version:
      - 2
      - 0
    .max_flat_workgroup_size: 1024
    .name:           _ZN9rocsparseL26csrgemm_fill_block_per_rowILj1024ELj64ELj4096ELj137ELj64EiifEEvT5_PKS1_S3_NS_24const_host_device_scalarIT6_EEPKT4_S3_PKS5_S9_S3_SB_S6_S9_S3_SB_S9_PS1_PS5_21rocsparse_index_base_SE_SE_SE_bbb
    .private_segment_fixed_size: 0
    .sgpr_count:     56
    .sgpr_spill_count: 0
    .symbol:         _ZN9rocsparseL26csrgemm_fill_block_per_rowILj1024ELj64ELj4096ELj137ELj64EiifEEvT5_PKS1_S3_NS_24const_host_device_scalarIT6_EEPKT4_S3_PKS5_S9_S3_SB_S6_S9_S3_SB_S9_PS1_PS5_21rocsparse_index_base_SE_SE_SE_bbb.kd
    .uniform_work_group_size: 1
    .uses_dynamic_stack: false
    .vgpr_count:     24
    .vgpr_spill_count: 0
    .wavefront_size: 64
  - .agpr_count:     0
    .args:
      - .offset:         0
        .size:           4
        .value_kind:     by_value
      - .actual_access:  read_only
        .address_space:  global
        .offset:         8
        .size:           8
        .value_kind:     global_buffer
      - .actual_access:  read_only
        .address_space:  global
        .offset:         16
        .size:           8
        .value_kind:     global_buffer
      - .offset:         24
        .size:           8
        .value_kind:     by_value
      - .actual_access:  read_only
        .address_space:  global
        .offset:         32
        .size:           8
        .value_kind:     global_buffer
      - .actual_access:  read_only
        .address_space:  global
        .offset:         40
        .size:           8
        .value_kind:     global_buffer
      - .actual_access:  read_only
        .address_space:  global
        .offset:         48
        .size:           8
        .value_kind:     global_buffer
      - .actual_access:  read_only
        .address_space:  global
        .offset:         56
        .size:           8
        .value_kind:     global_buffer
      - .actual_access:  read_only
        .address_space:  global
        .offset:         64
        .size:           8
        .value_kind:     global_buffer
      - .actual_access:  read_only
        .address_space:  global
        .offset:         72
        .size:           8
        .value_kind:     global_buffer
      - .offset:         80
        .size:           8
        .value_kind:     by_value
      - .actual_access:  read_only
        .address_space:  global
        .offset:         88
        .size:           8
        .value_kind:     global_buffer
      - .actual_access:  read_only
        .address_space:  global
        .offset:         96
        .size:           8
        .value_kind:     global_buffer
      - .actual_access:  read_only
        .address_space:  global
        .offset:         104
        .size:           8
        .value_kind:     global_buffer
      - .actual_access:  read_only
        .address_space:  global
        .offset:         112
        .size:           8
        .value_kind:     global_buffer
      - .actual_access:  write_only
        .address_space:  global
        .offset:         120
        .size:           8
        .value_kind:     global_buffer
      - .actual_access:  write_only
        .address_space:  global
        .offset:         128
        .size:           8
        .value_kind:     global_buffer
      - .offset:         136
        .size:           4
        .value_kind:     by_value
      - .offset:         140
        .size:           4
        .value_kind:     by_value
      - .offset:         144
        .size:           4
        .value_kind:     by_value
      - .offset:         148
        .size:           4
        .value_kind:     by_value
      - .offset:         152
        .size:           1
        .value_kind:     by_value
      - .offset:         153
        .size:           1
        .value_kind:     by_value
      - .offset:         154
        .size:           1
        .value_kind:     by_value
    .group_segment_fixed_size: 0
    .kernarg_segment_align: 8
    .kernarg_segment_size: 156
    .language:       OpenCL C
    .language_version:
      - 2
      - 0
    .max_flat_workgroup_size: 1024
    .name:           _ZN9rocsparseL26csrgemm_fill_block_per_rowILj1024ELj64ELj8192ELj137ELj32EiifEEvT5_PKS1_S3_NS_24const_host_device_scalarIT6_EEPKT4_S3_PKS5_S9_S3_SB_S6_S9_S3_SB_S9_PS1_PS5_21rocsparse_index_base_SE_SE_SE_bbb
    .private_segment_fixed_size: 0
    .sgpr_count:     100
    .sgpr_spill_count: 22
    .symbol:         _ZN9rocsparseL26csrgemm_fill_block_per_rowILj1024ELj64ELj8192ELj137ELj32EiifEEvT5_PKS1_S3_NS_24const_host_device_scalarIT6_EEPKT4_S3_PKS5_S9_S3_SB_S6_S9_S3_SB_S9_PS1_PS5_21rocsparse_index_base_SE_SE_SE_bbb.kd
    .uniform_work_group_size: 1
    .uses_dynamic_stack: false
    .vgpr_count:     25
    .vgpr_spill_count: 0
    .wavefront_size: 64
  - .agpr_count:     0
    .args:
      - .offset:         0
        .size:           4
        .value_kind:     by_value
      - .actual_access:  read_only
        .address_space:  global
        .offset:         8
        .size:           8
        .value_kind:     global_buffer
      - .actual_access:  read_only
        .address_space:  global
        .offset:         16
        .size:           8
        .value_kind:     global_buffer
      - .offset:         24
        .size:           8
        .value_kind:     by_value
      - .actual_access:  read_only
        .address_space:  global
        .offset:         32
        .size:           8
        .value_kind:     global_buffer
      - .actual_access:  read_only
        .address_space:  global
        .offset:         40
        .size:           8
        .value_kind:     global_buffer
      - .actual_access:  read_only
        .address_space:  global
        .offset:         48
        .size:           8
        .value_kind:     global_buffer
      - .actual_access:  read_only
        .address_space:  global
        .offset:         56
        .size:           8
        .value_kind:     global_buffer
      - .actual_access:  read_only
        .address_space:  global
        .offset:         64
        .size:           8
        .value_kind:     global_buffer
      - .actual_access:  read_only
        .address_space:  global
        .offset:         72
        .size:           8
        .value_kind:     global_buffer
      - .offset:         80
        .size:           8
        .value_kind:     by_value
      - .actual_access:  read_only
        .address_space:  global
        .offset:         88
        .size:           8
        .value_kind:     global_buffer
      - .actual_access:  read_only
        .address_space:  global
        .offset:         96
        .size:           8
        .value_kind:     global_buffer
      - .actual_access:  read_only
        .address_space:  global
        .offset:         104
        .size:           8
        .value_kind:     global_buffer
      - .actual_access:  read_only
        .address_space:  global
        .offset:         112
        .size:           8
        .value_kind:     global_buffer
      - .actual_access:  write_only
        .address_space:  global
        .offset:         120
        .size:           8
        .value_kind:     global_buffer
      - .actual_access:  write_only
        .address_space:  global
        .offset:         128
        .size:           8
        .value_kind:     global_buffer
      - .offset:         136
        .size:           4
        .value_kind:     by_value
      - .offset:         140
        .size:           4
        .value_kind:     by_value
      - .offset:         144
        .size:           4
        .value_kind:     by_value
      - .offset:         148
        .size:           4
        .value_kind:     by_value
      - .offset:         152
        .size:           1
        .value_kind:     by_value
      - .offset:         153
        .size:           1
        .value_kind:     by_value
      - .offset:         154
        .size:           1
        .value_kind:     by_value
    .group_segment_fixed_size: 0
    .kernarg_segment_align: 8
    .kernarg_segment_size: 156
    .language:       OpenCL C
    .language_version:
      - 2
      - 0
    .max_flat_workgroup_size: 1024
    .name:           _ZN9rocsparseL26csrgemm_fill_block_per_rowILj1024ELj64ELj8192ELj137ELj64EiifEEvT5_PKS1_S3_NS_24const_host_device_scalarIT6_EEPKT4_S3_PKS5_S9_S3_SB_S6_S9_S3_SB_S9_PS1_PS5_21rocsparse_index_base_SE_SE_SE_bbb
    .private_segment_fixed_size: 0
    .sgpr_count:     67
    .sgpr_spill_count: 0
    .symbol:         _ZN9rocsparseL26csrgemm_fill_block_per_rowILj1024ELj64ELj8192ELj137ELj64EiifEEvT5_PKS1_S3_NS_24const_host_device_scalarIT6_EEPKT4_S3_PKS5_S9_S3_SB_S6_S9_S3_SB_S9_PS1_PS5_21rocsparse_index_base_SE_SE_SE_bbb.kd
    .uniform_work_group_size: 1
    .uses_dynamic_stack: false
    .vgpr_count:     24
    .vgpr_spill_count: 0
    .wavefront_size: 64
  - .agpr_count:     0
    .args:
      - .offset:         0
        .size:           4
        .value_kind:     by_value
      - .actual_access:  read_only
        .address_space:  global
        .offset:         8
        .size:           8
        .value_kind:     global_buffer
      - .actual_access:  read_only
        .address_space:  global
        .offset:         16
        .size:           8
        .value_kind:     global_buffer
      - .offset:         24
        .size:           8
        .value_kind:     by_value
      - .actual_access:  read_only
        .address_space:  global
        .offset:         32
        .size:           8
        .value_kind:     global_buffer
      - .actual_access:  read_only
        .address_space:  global
        .offset:         40
        .size:           8
        .value_kind:     global_buffer
      - .actual_access:  read_only
        .address_space:  global
        .offset:         48
        .size:           8
        .value_kind:     global_buffer
      - .actual_access:  read_only
        .address_space:  global
        .offset:         56
        .size:           8
        .value_kind:     global_buffer
      - .actual_access:  read_only
        .address_space:  global
        .offset:         64
        .size:           8
        .value_kind:     global_buffer
      - .actual_access:  read_only
        .address_space:  global
        .offset:         72
        .size:           8
        .value_kind:     global_buffer
      - .offset:         80
        .size:           8
        .value_kind:     by_value
      - .actual_access:  read_only
        .address_space:  global
        .offset:         88
        .size:           8
        .value_kind:     global_buffer
      - .actual_access:  read_only
        .address_space:  global
        .offset:         96
        .size:           8
        .value_kind:     global_buffer
      - .actual_access:  read_only
        .address_space:  global
        .offset:         104
        .size:           8
        .value_kind:     global_buffer
      - .actual_access:  read_only
        .address_space:  global
        .offset:         112
        .size:           8
        .value_kind:     global_buffer
      - .actual_access:  write_only
        .address_space:  global
        .offset:         120
        .size:           8
        .value_kind:     global_buffer
      - .actual_access:  write_only
        .address_space:  global
        .offset:         128
        .size:           8
        .value_kind:     global_buffer
      - .offset:         136
        .size:           4
        .value_kind:     by_value
      - .offset:         140
        .size:           4
        .value_kind:     by_value
      - .offset:         144
        .size:           4
        .value_kind:     by_value
      - .offset:         148
        .size:           4
        .value_kind:     by_value
      - .offset:         152
        .size:           1
        .value_kind:     by_value
      - .offset:         153
        .size:           1
        .value_kind:     by_value
      - .offset:         154
        .size:           1
        .value_kind:     by_value
    .group_segment_fixed_size: 0
    .kernarg_segment_align: 8
    .kernarg_segment_size: 156
    .language:       OpenCL C
    .language_version:
      - 2
      - 0
    .max_flat_workgroup_size: 1024
    .name:           _ZN9rocsparseL26csrgemm_fill_block_per_rowILj1024ELj64ELj16384ELj137ELj32EiifEEvT5_PKS1_S3_NS_24const_host_device_scalarIT6_EEPKT4_S3_PKS5_S9_S3_SB_S6_S9_S3_SB_S9_PS1_PS5_21rocsparse_index_base_SE_SE_SE_bbb
    .private_segment_fixed_size: 0
    .sgpr_count:     100
    .sgpr_spill_count: 28
    .symbol:         _ZN9rocsparseL26csrgemm_fill_block_per_rowILj1024ELj64ELj16384ELj137ELj32EiifEEvT5_PKS1_S3_NS_24const_host_device_scalarIT6_EEPKT4_S3_PKS5_S9_S3_SB_S6_S9_S3_SB_S9_PS1_PS5_21rocsparse_index_base_SE_SE_SE_bbb.kd
    .uniform_work_group_size: 1
    .uses_dynamic_stack: false
    .vgpr_count:     25
    .vgpr_spill_count: 0
    .wavefront_size: 64
  - .agpr_count:     0
    .args:
      - .offset:         0
        .size:           4
        .value_kind:     by_value
      - .actual_access:  read_only
        .address_space:  global
        .offset:         8
        .size:           8
        .value_kind:     global_buffer
      - .actual_access:  read_only
        .address_space:  global
        .offset:         16
        .size:           8
        .value_kind:     global_buffer
      - .offset:         24
        .size:           8
        .value_kind:     by_value
      - .actual_access:  read_only
        .address_space:  global
        .offset:         32
        .size:           8
        .value_kind:     global_buffer
      - .actual_access:  read_only
        .address_space:  global
        .offset:         40
        .size:           8
        .value_kind:     global_buffer
      - .actual_access:  read_only
        .address_space:  global
        .offset:         48
        .size:           8
        .value_kind:     global_buffer
      - .actual_access:  read_only
        .address_space:  global
        .offset:         56
        .size:           8
        .value_kind:     global_buffer
      - .actual_access:  read_only
        .address_space:  global
        .offset:         64
        .size:           8
        .value_kind:     global_buffer
      - .actual_access:  read_only
        .address_space:  global
        .offset:         72
        .size:           8
        .value_kind:     global_buffer
      - .offset:         80
        .size:           8
        .value_kind:     by_value
      - .actual_access:  read_only
        .address_space:  global
        .offset:         88
        .size:           8
        .value_kind:     global_buffer
      - .actual_access:  read_only
        .address_space:  global
        .offset:         96
        .size:           8
        .value_kind:     global_buffer
      - .actual_access:  read_only
        .address_space:  global
        .offset:         104
        .size:           8
        .value_kind:     global_buffer
      - .actual_access:  read_only
        .address_space:  global
        .offset:         112
        .size:           8
        .value_kind:     global_buffer
      - .actual_access:  write_only
        .address_space:  global
        .offset:         120
        .size:           8
        .value_kind:     global_buffer
      - .actual_access:  write_only
        .address_space:  global
        .offset:         128
        .size:           8
        .value_kind:     global_buffer
      - .offset:         136
        .size:           4
        .value_kind:     by_value
      - .offset:         140
        .size:           4
        .value_kind:     by_value
      - .offset:         144
        .size:           4
        .value_kind:     by_value
      - .offset:         148
        .size:           4
        .value_kind:     by_value
      - .offset:         152
        .size:           1
        .value_kind:     by_value
      - .offset:         153
        .size:           1
        .value_kind:     by_value
      - .offset:         154
        .size:           1
        .value_kind:     by_value
    .group_segment_fixed_size: 0
    .kernarg_segment_align: 8
    .kernarg_segment_size: 156
    .language:       OpenCL C
    .language_version:
      - 2
      - 0
    .max_flat_workgroup_size: 1024
    .name:           _ZN9rocsparseL26csrgemm_fill_block_per_rowILj1024ELj64ELj16384ELj137ELj64EiifEEvT5_PKS1_S3_NS_24const_host_device_scalarIT6_EEPKT4_S3_PKS5_S9_S3_SB_S6_S9_S3_SB_S9_PS1_PS5_21rocsparse_index_base_SE_SE_SE_bbb
    .private_segment_fixed_size: 0
    .sgpr_count:     67
    .sgpr_spill_count: 0
    .symbol:         _ZN9rocsparseL26csrgemm_fill_block_per_rowILj1024ELj64ELj16384ELj137ELj64EiifEEvT5_PKS1_S3_NS_24const_host_device_scalarIT6_EEPKT4_S3_PKS5_S9_S3_SB_S6_S9_S3_SB_S9_PS1_PS5_21rocsparse_index_base_SE_SE_SE_bbb.kd
    .uniform_work_group_size: 1
    .uses_dynamic_stack: false
    .vgpr_count:     24
    .vgpr_spill_count: 0
    .wavefront_size: 64
  - .agpr_count:     0
    .args:
      - .offset:         0
        .size:           4
        .value_kind:     by_value
      - .actual_access:  read_only
        .address_space:  global
        .offset:         8
        .size:           8
        .value_kind:     global_buffer
      - .actual_access:  read_only
        .address_space:  global
        .offset:         16
        .size:           8
        .value_kind:     global_buffer
      - .offset:         24
        .size:           8
        .value_kind:     by_value
      - .actual_access:  read_only
        .address_space:  global
        .offset:         32
        .size:           8
        .value_kind:     global_buffer
      - .actual_access:  read_only
        .address_space:  global
        .offset:         40
        .size:           8
        .value_kind:     global_buffer
      - .actual_access:  read_only
        .address_space:  global
        .offset:         48
        .size:           8
        .value_kind:     global_buffer
      - .actual_access:  read_only
        .address_space:  global
        .offset:         56
        .size:           8
        .value_kind:     global_buffer
      - .actual_access:  read_only
        .address_space:  global
        .offset:         64
        .size:           8
        .value_kind:     global_buffer
      - .actual_access:  read_only
        .address_space:  global
        .offset:         72
        .size:           8
        .value_kind:     global_buffer
      - .offset:         80
        .size:           8
        .value_kind:     by_value
      - .actual_access:  read_only
        .address_space:  global
        .offset:         88
        .size:           8
        .value_kind:     global_buffer
      - .actual_access:  read_only
        .address_space:  global
        .offset:         96
        .size:           8
        .value_kind:     global_buffer
      - .actual_access:  read_only
        .address_space:  global
        .offset:         104
        .size:           8
        .value_kind:     global_buffer
      - .actual_access:  read_only
        .address_space:  global
        .offset:         112
        .size:           8
        .value_kind:     global_buffer
      - .actual_access:  write_only
        .address_space:  global
        .offset:         120
        .size:           8
        .value_kind:     global_buffer
      - .actual_access:  write_only
        .address_space:  global
        .offset:         128
        .size:           8
        .value_kind:     global_buffer
      - .offset:         136
        .size:           4
        .value_kind:     by_value
      - .offset:         140
        .size:           4
        .value_kind:     by_value
      - .offset:         144
        .size:           4
        .value_kind:     by_value
      - .offset:         148
        .size:           4
        .value_kind:     by_value
      - .offset:         152
        .size:           1
        .value_kind:     by_value
      - .offset:         153
        .size:           1
        .value_kind:     by_value
      - .offset:         154
        .size:           1
        .value_kind:     by_value
    .group_segment_fixed_size: 0
    .kernarg_segment_align: 8
    .kernarg_segment_size: 156
    .language:       OpenCL C
    .language_version:
      - 2
      - 0
    .max_flat_workgroup_size: 1024
    .name:           _ZN9rocsparseL26csrgemm_fill_block_per_rowILj1024ELj64ELj32768ELj137ELj32EiifEEvT5_PKS1_S3_NS_24const_host_device_scalarIT6_EEPKT4_S3_PKS5_S9_S3_SB_S6_S9_S3_SB_S9_PS1_PS5_21rocsparse_index_base_SE_SE_SE_bbb
    .private_segment_fixed_size: 0
    .sgpr_count:     100
    .sgpr_spill_count: 28
    .symbol:         _ZN9rocsparseL26csrgemm_fill_block_per_rowILj1024ELj64ELj32768ELj137ELj32EiifEEvT5_PKS1_S3_NS_24const_host_device_scalarIT6_EEPKT4_S3_PKS5_S9_S3_SB_S6_S9_S3_SB_S9_PS1_PS5_21rocsparse_index_base_SE_SE_SE_bbb.kd
    .uniform_work_group_size: 1
    .uses_dynamic_stack: false
    .vgpr_count:     25
    .vgpr_spill_count: 0
    .wavefront_size: 64
  - .agpr_count:     0
    .args:
      - .offset:         0
        .size:           4
        .value_kind:     by_value
      - .actual_access:  read_only
        .address_space:  global
        .offset:         8
        .size:           8
        .value_kind:     global_buffer
      - .actual_access:  read_only
        .address_space:  global
        .offset:         16
        .size:           8
        .value_kind:     global_buffer
      - .offset:         24
        .size:           8
        .value_kind:     by_value
      - .actual_access:  read_only
        .address_space:  global
        .offset:         32
        .size:           8
        .value_kind:     global_buffer
      - .actual_access:  read_only
        .address_space:  global
        .offset:         40
        .size:           8
        .value_kind:     global_buffer
      - .actual_access:  read_only
        .address_space:  global
        .offset:         48
        .size:           8
        .value_kind:     global_buffer
      - .actual_access:  read_only
        .address_space:  global
        .offset:         56
        .size:           8
        .value_kind:     global_buffer
      - .actual_access:  read_only
        .address_space:  global
        .offset:         64
        .size:           8
        .value_kind:     global_buffer
      - .actual_access:  read_only
        .address_space:  global
        .offset:         72
        .size:           8
        .value_kind:     global_buffer
      - .offset:         80
        .size:           8
        .value_kind:     by_value
      - .actual_access:  read_only
        .address_space:  global
        .offset:         88
        .size:           8
        .value_kind:     global_buffer
      - .actual_access:  read_only
        .address_space:  global
        .offset:         96
        .size:           8
        .value_kind:     global_buffer
      - .actual_access:  read_only
        .address_space:  global
        .offset:         104
        .size:           8
        .value_kind:     global_buffer
      - .actual_access:  read_only
        .address_space:  global
        .offset:         112
        .size:           8
        .value_kind:     global_buffer
      - .actual_access:  write_only
        .address_space:  global
        .offset:         120
        .size:           8
        .value_kind:     global_buffer
      - .actual_access:  write_only
        .address_space:  global
        .offset:         128
        .size:           8
        .value_kind:     global_buffer
      - .offset:         136
        .size:           4
        .value_kind:     by_value
      - .offset:         140
        .size:           4
        .value_kind:     by_value
      - .offset:         144
        .size:           4
        .value_kind:     by_value
      - .offset:         148
        .size:           4
        .value_kind:     by_value
      - .offset:         152
        .size:           1
        .value_kind:     by_value
      - .offset:         153
        .size:           1
        .value_kind:     by_value
      - .offset:         154
        .size:           1
        .value_kind:     by_value
    .group_segment_fixed_size: 0
    .kernarg_segment_align: 8
    .kernarg_segment_size: 156
    .language:       OpenCL C
    .language_version:
      - 2
      - 0
    .max_flat_workgroup_size: 1024
    .name:           _ZN9rocsparseL26csrgemm_fill_block_per_rowILj1024ELj64ELj32768ELj137ELj64EiifEEvT5_PKS1_S3_NS_24const_host_device_scalarIT6_EEPKT4_S3_PKS5_S9_S3_SB_S6_S9_S3_SB_S9_PS1_PS5_21rocsparse_index_base_SE_SE_SE_bbb
    .private_segment_fixed_size: 0
    .sgpr_count:     67
    .sgpr_spill_count: 0
    .symbol:         _ZN9rocsparseL26csrgemm_fill_block_per_rowILj1024ELj64ELj32768ELj137ELj64EiifEEvT5_PKS1_S3_NS_24const_host_device_scalarIT6_EEPKT4_S3_PKS5_S9_S3_SB_S6_S9_S3_SB_S9_PS1_PS5_21rocsparse_index_base_SE_SE_SE_bbb.kd
    .uniform_work_group_size: 1
    .uses_dynamic_stack: false
    .vgpr_count:     24
    .vgpr_spill_count: 0
    .wavefront_size: 64
  - .agpr_count:     0
    .args:
      - .offset:         0
        .size:           4
        .value_kind:     by_value
      - .actual_access:  read_only
        .address_space:  global
        .offset:         8
        .size:           8
        .value_kind:     global_buffer
      - .actual_access:  read_only
        .address_space:  global
        .offset:         16
        .size:           8
        .value_kind:     global_buffer
      - .offset:         24
        .size:           8
        .value_kind:     by_value
      - .actual_access:  read_only
        .address_space:  global
        .offset:         32
        .size:           8
        .value_kind:     global_buffer
      - .actual_access:  read_only
        .address_space:  global
        .offset:         40
        .size:           8
        .value_kind:     global_buffer
      - .actual_access:  read_only
        .address_space:  global
        .offset:         48
        .size:           8
        .value_kind:     global_buffer
      - .actual_access:  read_only
        .address_space:  global
        .offset:         56
        .size:           8
        .value_kind:     global_buffer
      - .actual_access:  read_only
        .address_space:  global
        .offset:         64
        .size:           8
        .value_kind:     global_buffer
      - .actual_access:  read_only
        .address_space:  global
        .offset:         72
        .size:           8
        .value_kind:     global_buffer
      - .offset:         80
        .size:           8
        .value_kind:     by_value
      - .actual_access:  read_only
        .address_space:  global
        .offset:         88
        .size:           8
        .value_kind:     global_buffer
      - .actual_access:  read_only
        .address_space:  global
        .offset:         96
        .size:           8
        .value_kind:     global_buffer
      - .actual_access:  read_only
        .address_space:  global
        .offset:         104
        .size:           8
        .value_kind:     global_buffer
      - .actual_access:  read_only
        .address_space:  global
        .offset:         112
        .size:           8
        .value_kind:     global_buffer
      - .actual_access:  write_only
        .address_space:  global
        .offset:         120
        .size:           8
        .value_kind:     global_buffer
      - .actual_access:  write_only
        .address_space:  global
        .offset:         128
        .size:           8
        .value_kind:     global_buffer
      - .address_space:  global
        .offset:         136
        .size:           8
        .value_kind:     global_buffer
      - .offset:         144
        .size:           4
        .value_kind:     by_value
      - .offset:         148
        .size:           4
        .value_kind:     by_value
      - .offset:         152
        .size:           4
        .value_kind:     by_value
      - .offset:         156
        .size:           4
        .value_kind:     by_value
      - .offset:         160
        .size:           1
        .value_kind:     by_value
      - .offset:         161
        .size:           1
        .value_kind:     by_value
      - .offset:         162
        .size:           1
        .value_kind:     by_value
    .group_segment_fixed_size: 10244
    .kernarg_segment_align: 8
    .kernarg_segment_size: 164
    .language:       OpenCL C
    .language_version:
      - 2
      - 0
    .max_flat_workgroup_size: 512
    .name:           _ZN9rocsparseL36csrgemm_fill_block_per_row_multipassILj512ELj16ELj2048ELj32EiifEEvT4_PKS1_S3_NS_24const_host_device_scalarIT5_EEPKT3_S3_PKS5_S9_S3_SB_S6_S9_S3_SB_S9_PS1_PS5_PS7_21rocsparse_index_base_SF_SF_SF_bbb
    .private_segment_fixed_size: 0
    .sgpr_count:     100
    .sgpr_spill_count: 0
    .symbol:         _ZN9rocsparseL36csrgemm_fill_block_per_row_multipassILj512ELj16ELj2048ELj32EiifEEvT4_PKS1_S3_NS_24const_host_device_scalarIT5_EEPKT3_S3_PKS5_S9_S3_SB_S6_S9_S3_SB_S9_PS1_PS5_PS7_21rocsparse_index_base_SF_SF_SF_bbb.kd
    .uniform_work_group_size: 1
    .uses_dynamic_stack: false
    .vgpr_count:     34
    .vgpr_spill_count: 0
    .wavefront_size: 64
  - .agpr_count:     0
    .args:
      - .offset:         0
        .size:           4
        .value_kind:     by_value
      - .actual_access:  read_only
        .address_space:  global
        .offset:         8
        .size:           8
        .value_kind:     global_buffer
      - .actual_access:  read_only
        .address_space:  global
        .offset:         16
        .size:           8
        .value_kind:     global_buffer
      - .offset:         24
        .size:           8
        .value_kind:     by_value
      - .actual_access:  read_only
        .address_space:  global
        .offset:         32
        .size:           8
        .value_kind:     global_buffer
      - .actual_access:  read_only
        .address_space:  global
        .offset:         40
        .size:           8
        .value_kind:     global_buffer
      - .actual_access:  read_only
        .address_space:  global
        .offset:         48
        .size:           8
        .value_kind:     global_buffer
      - .actual_access:  read_only
        .address_space:  global
        .offset:         56
        .size:           8
        .value_kind:     global_buffer
      - .actual_access:  read_only
        .address_space:  global
        .offset:         64
        .size:           8
        .value_kind:     global_buffer
      - .actual_access:  read_only
        .address_space:  global
        .offset:         72
        .size:           8
        .value_kind:     global_buffer
      - .offset:         80
        .size:           8
        .value_kind:     by_value
      - .actual_access:  read_only
        .address_space:  global
        .offset:         88
        .size:           8
        .value_kind:     global_buffer
      - .actual_access:  read_only
        .address_space:  global
        .offset:         96
        .size:           8
        .value_kind:     global_buffer
      - .actual_access:  read_only
        .address_space:  global
        .offset:         104
        .size:           8
        .value_kind:     global_buffer
      - .actual_access:  read_only
        .address_space:  global
        .offset:         112
        .size:           8
        .value_kind:     global_buffer
      - .actual_access:  write_only
        .address_space:  global
        .offset:         120
        .size:           8
        .value_kind:     global_buffer
      - .actual_access:  write_only
        .address_space:  global
        .offset:         128
        .size:           8
        .value_kind:     global_buffer
      - .address_space:  global
        .offset:         136
        .size:           8
        .value_kind:     global_buffer
      - .offset:         144
        .size:           4
        .value_kind:     by_value
      - .offset:         148
        .size:           4
        .value_kind:     by_value
      - .offset:         152
        .size:           4
        .value_kind:     by_value
      - .offset:         156
        .size:           4
        .value_kind:     by_value
      - .offset:         160
        .size:           1
        .value_kind:     by_value
      - .offset:         161
        .size:           1
        .value_kind:     by_value
      - .offset:         162
        .size:           1
        .value_kind:     by_value
    .group_segment_fixed_size: 10244
    .kernarg_segment_align: 8
    .kernarg_segment_size: 164
    .language:       OpenCL C
    .language_version:
      - 2
      - 0
    .max_flat_workgroup_size: 512
    .name:           _ZN9rocsparseL36csrgemm_fill_block_per_row_multipassILj512ELj16ELj2048ELj64EiifEEvT4_PKS1_S3_NS_24const_host_device_scalarIT5_EEPKT3_S3_PKS5_S9_S3_SB_S6_S9_S3_SB_S9_PS1_PS5_PS7_21rocsparse_index_base_SF_SF_SF_bbb
    .private_segment_fixed_size: 0
    .sgpr_count:     84
    .sgpr_spill_count: 0
    .symbol:         _ZN9rocsparseL36csrgemm_fill_block_per_row_multipassILj512ELj16ELj2048ELj64EiifEEvT4_PKS1_S3_NS_24const_host_device_scalarIT5_EEPKT3_S3_PKS5_S9_S3_SB_S6_S9_S3_SB_S9_PS1_PS5_PS7_21rocsparse_index_base_SF_SF_SF_bbb.kd
    .uniform_work_group_size: 1
    .uses_dynamic_stack: false
    .vgpr_count:     28
    .vgpr_spill_count: 0
    .wavefront_size: 64
  - .agpr_count:     0
    .args:
      - .offset:         0
        .size:           4
        .value_kind:     by_value
      - .actual_access:  read_only
        .address_space:  global
        .offset:         8
        .size:           8
        .value_kind:     global_buffer
      - .actual_access:  write_only
        .address_space:  global
        .offset:         16
        .size:           8
        .value_kind:     global_buffer
      - .actual_access:  write_only
        .address_space:  global
        .offset:         24
        .size:           8
        .value_kind:     global_buffer
      - .offset:         32
        .size:           4
        .value_kind:     by_value
      - .offset:         40
        .size:           4
        .value_kind:     hidden_block_count_x
      - .offset:         44
        .size:           4
        .value_kind:     hidden_block_count_y
      - .offset:         48
        .size:           4
        .value_kind:     hidden_block_count_z
      - .offset:         52
        .size:           2
        .value_kind:     hidden_group_size_x
      - .offset:         54
        .size:           2
        .value_kind:     hidden_group_size_y
      - .offset:         56
        .size:           2
        .value_kind:     hidden_group_size_z
      - .offset:         58
        .size:           2
        .value_kind:     hidden_remainder_x
      - .offset:         60
        .size:           2
        .value_kind:     hidden_remainder_y
      - .offset:         62
        .size:           2
        .value_kind:     hidden_remainder_z
      - .offset:         80
        .size:           8
        .value_kind:     hidden_global_offset_x
      - .offset:         88
        .size:           8
        .value_kind:     hidden_global_offset_y
      - .offset:         96
        .size:           8
        .value_kind:     hidden_global_offset_z
      - .offset:         104
        .size:           2
        .value_kind:     hidden_grid_dims
    .group_segment_fixed_size: 11264
    .kernarg_segment_align: 8
    .kernarg_segment_size: 296
    .language:       OpenCL C
    .language_version:
      - 2
      - 0
    .max_flat_workgroup_size: 256
    .name:           _ZN9rocsparseL26csrgemm_group_reduce_part2ILj256ELj11EdiiEEvT3_PKT2_PS1_Pij
    .private_segment_fixed_size: 0
    .sgpr_count:     56
    .sgpr_spill_count: 0
    .symbol:         _ZN9rocsparseL26csrgemm_group_reduce_part2ILj256ELj11EdiiEEvT3_PKT2_PS1_Pij.kd
    .uniform_work_group_size: 1
    .uses_dynamic_stack: false
    .vgpr_count:     22
    .vgpr_spill_count: 0
    .wavefront_size: 64
  - .agpr_count:     0
    .args:
      - .offset:         0
        .size:           4
        .value_kind:     by_value
      - .offset:         4
        .size:           4
        .value_kind:     by_value
      - .actual_access:  read_only
        .address_space:  global
        .offset:         8
        .size:           8
        .value_kind:     global_buffer
      - .actual_access:  read_only
        .address_space:  global
        .offset:         16
        .size:           8
        .value_kind:     global_buffer
      - .offset:         24
        .size:           8
        .value_kind:     by_value
      - .actual_access:  read_only
        .address_space:  global
        .offset:         32
        .size:           8
        .value_kind:     global_buffer
      - .actual_access:  read_only
        .address_space:  global
        .offset:         40
        .size:           8
        .value_kind:     global_buffer
      - .actual_access:  read_only
        .address_space:  global
        .offset:         48
        .size:           8
        .value_kind:     global_buffer
      - .actual_access:  read_only
        .address_space:  global
        .offset:         56
        .size:           8
        .value_kind:     global_buffer
      - .actual_access:  read_only
        .address_space:  global
        .offset:         64
        .size:           8
        .value_kind:     global_buffer
      - .actual_access:  read_only
        .address_space:  global
        .offset:         72
        .size:           8
        .value_kind:     global_buffer
      - .offset:         80
        .size:           8
        .value_kind:     by_value
      - .actual_access:  read_only
        .address_space:  global
        .offset:         88
        .size:           8
        .value_kind:     global_buffer
      - .actual_access:  read_only
        .address_space:  global
        .offset:         96
        .size:           8
        .value_kind:     global_buffer
      - .actual_access:  read_only
        .address_space:  global
        .offset:         104
        .size:           8
        .value_kind:     global_buffer
      - .actual_access:  read_only
        .address_space:  global
        .offset:         112
        .size:           8
        .value_kind:     global_buffer
      - .actual_access:  write_only
        .address_space:  global
        .offset:         120
        .size:           8
        .value_kind:     global_buffer
      - .actual_access:  write_only
        .address_space:  global
        .offset:         128
        .size:           8
        .value_kind:     global_buffer
      - .offset:         136
        .size:           4
        .value_kind:     by_value
      - .offset:         140
        .size:           4
        .value_kind:     by_value
      - .offset:         144
        .size:           4
        .value_kind:     by_value
      - .offset:         148
        .size:           4
        .value_kind:     by_value
      - .offset:         152
        .size:           1
        .value_kind:     by_value
      - .offset:         153
        .size:           1
        .value_kind:     by_value
      - .offset:         154
        .size:           1
        .value_kind:     by_value
    .group_segment_fixed_size: 6144
    .kernarg_segment_align: 8
    .kernarg_segment_size: 156
    .language:       OpenCL C
    .language_version:
      - 2
      - 0
    .max_flat_workgroup_size: 256
    .name:           _ZN9rocsparseL23csrgemm_fill_wf_per_rowILj256ELj8ELj16ELj137EiidEEvT4_S1_PKS1_S3_NS_24const_host_device_scalarIT5_EEPKT3_S3_PKS5_S9_S3_SB_S6_S9_S3_SB_S9_PS1_PS5_21rocsparse_index_base_SE_SE_SE_bbb
    .private_segment_fixed_size: 0
    .sgpr_count:     56
    .sgpr_spill_count: 0
    .symbol:         _ZN9rocsparseL23csrgemm_fill_wf_per_rowILj256ELj8ELj16ELj137EiidEEvT4_S1_PKS1_S3_NS_24const_host_device_scalarIT5_EEPKT3_S3_PKS5_S9_S3_SB_S6_S9_S3_SB_S9_PS1_PS5_21rocsparse_index_base_SE_SE_SE_bbb.kd
    .uniform_work_group_size: 1
    .uses_dynamic_stack: false
    .vgpr_count:     26
    .vgpr_spill_count: 0
    .wavefront_size: 64
  - .agpr_count:     0
    .args:
      - .offset:         0
        .size:           4
        .value_kind:     by_value
      - .offset:         4
        .size:           4
        .value_kind:     by_value
      - .actual_access:  read_only
        .address_space:  global
        .offset:         8
        .size:           8
        .value_kind:     global_buffer
      - .actual_access:  read_only
        .address_space:  global
        .offset:         16
        .size:           8
        .value_kind:     global_buffer
      - .offset:         24
        .size:           8
        .value_kind:     by_value
      - .actual_access:  read_only
        .address_space:  global
        .offset:         32
        .size:           8
        .value_kind:     global_buffer
      - .actual_access:  read_only
        .address_space:  global
        .offset:         40
        .size:           8
        .value_kind:     global_buffer
      - .actual_access:  read_only
        .address_space:  global
        .offset:         48
        .size:           8
        .value_kind:     global_buffer
      - .actual_access:  read_only
        .address_space:  global
        .offset:         56
        .size:           8
        .value_kind:     global_buffer
      - .actual_access:  read_only
        .address_space:  global
        .offset:         64
        .size:           8
        .value_kind:     global_buffer
      - .actual_access:  read_only
        .address_space:  global
        .offset:         72
        .size:           8
        .value_kind:     global_buffer
      - .offset:         80
        .size:           8
        .value_kind:     by_value
      - .actual_access:  read_only
        .address_space:  global
        .offset:         88
        .size:           8
        .value_kind:     global_buffer
      - .actual_access:  read_only
        .address_space:  global
        .offset:         96
        .size:           8
        .value_kind:     global_buffer
      - .actual_access:  read_only
        .address_space:  global
        .offset:         104
        .size:           8
        .value_kind:     global_buffer
      - .actual_access:  read_only
        .address_space:  global
        .offset:         112
        .size:           8
        .value_kind:     global_buffer
      - .actual_access:  write_only
        .address_space:  global
        .offset:         120
        .size:           8
        .value_kind:     global_buffer
      - .actual_access:  write_only
        .address_space:  global
        .offset:         128
        .size:           8
        .value_kind:     global_buffer
      - .offset:         136
        .size:           4
        .value_kind:     by_value
      - .offset:         140
        .size:           4
        .value_kind:     by_value
      - .offset:         144
        .size:           4
        .value_kind:     by_value
      - .offset:         148
        .size:           4
        .value_kind:     by_value
      - .offset:         152
        .size:           1
        .value_kind:     by_value
      - .offset:         153
        .size:           1
        .value_kind:     by_value
      - .offset:         154
        .size:           1
        .value_kind:     by_value
    .group_segment_fixed_size: 6144
    .kernarg_segment_align: 8
    .kernarg_segment_size: 156
    .language:       OpenCL C
    .language_version:
      - 2
      - 0
    .max_flat_workgroup_size: 256
    .name:           _ZN9rocsparseL23csrgemm_fill_wf_per_rowILj256ELj16ELj32ELj137EiidEEvT4_S1_PKS1_S3_NS_24const_host_device_scalarIT5_EEPKT3_S3_PKS5_S9_S3_SB_S6_S9_S3_SB_S9_PS1_PS5_21rocsparse_index_base_SE_SE_SE_bbb
    .private_segment_fixed_size: 0
    .sgpr_count:     56
    .sgpr_spill_count: 0
    .symbol:         _ZN9rocsparseL23csrgemm_fill_wf_per_rowILj256ELj16ELj32ELj137EiidEEvT4_S1_PKS1_S3_NS_24const_host_device_scalarIT5_EEPKT3_S3_PKS5_S9_S3_SB_S6_S9_S3_SB_S9_PS1_PS5_21rocsparse_index_base_SE_SE_SE_bbb.kd
    .uniform_work_group_size: 1
    .uses_dynamic_stack: false
    .vgpr_count:     26
    .vgpr_spill_count: 0
    .wavefront_size: 64
  - .agpr_count:     0
    .args:
      - .offset:         0
        .size:           4
        .value_kind:     by_value
      - .actual_access:  read_only
        .address_space:  global
        .offset:         8
        .size:           8
        .value_kind:     global_buffer
      - .actual_access:  read_only
        .address_space:  global
        .offset:         16
        .size:           8
        .value_kind:     global_buffer
      - .offset:         24
        .size:           8
        .value_kind:     by_value
      - .actual_access:  read_only
        .address_space:  global
        .offset:         32
        .size:           8
        .value_kind:     global_buffer
      - .actual_access:  read_only
        .address_space:  global
        .offset:         40
        .size:           8
        .value_kind:     global_buffer
      - .actual_access:  read_only
        .address_space:  global
        .offset:         48
        .size:           8
        .value_kind:     global_buffer
      - .actual_access:  read_only
        .address_space:  global
        .offset:         56
        .size:           8
        .value_kind:     global_buffer
      - .actual_access:  read_only
        .address_space:  global
        .offset:         64
        .size:           8
        .value_kind:     global_buffer
      - .actual_access:  read_only
        .address_space:  global
        .offset:         72
        .size:           8
        .value_kind:     global_buffer
      - .offset:         80
        .size:           8
        .value_kind:     by_value
      - .actual_access:  read_only
        .address_space:  global
        .offset:         88
        .size:           8
        .value_kind:     global_buffer
      - .actual_access:  read_only
        .address_space:  global
        .offset:         96
        .size:           8
        .value_kind:     global_buffer
      - .actual_access:  read_only
        .address_space:  global
        .offset:         104
        .size:           8
        .value_kind:     global_buffer
      - .actual_access:  read_only
        .address_space:  global
        .offset:         112
        .size:           8
        .value_kind:     global_buffer
      - .actual_access:  write_only
        .address_space:  global
        .offset:         120
        .size:           8
        .value_kind:     global_buffer
      - .actual_access:  write_only
        .address_space:  global
        .offset:         128
        .size:           8
        .value_kind:     global_buffer
      - .offset:         136
        .size:           4
        .value_kind:     by_value
      - .offset:         140
        .size:           4
        .value_kind:     by_value
      - .offset:         144
        .size:           4
        .value_kind:     by_value
      - .offset:         148
        .size:           4
        .value_kind:     by_value
      - .offset:         152
        .size:           1
        .value_kind:     by_value
      - .offset:         153
        .size:           1
        .value_kind:     by_value
      - .offset:         154
        .size:           1
        .value_kind:     by_value
    .group_segment_fixed_size: 0
    .kernarg_segment_align: 8
    .kernarg_segment_size: 156
    .language:       OpenCL C
    .language_version:
      - 2
      - 0
    .max_flat_workgroup_size: 128
    .name:           _ZN9rocsparseL26csrgemm_fill_block_per_rowILj128ELj16ELj256ELj137ELj32EiidEEvT5_PKS1_S3_NS_24const_host_device_scalarIT6_EEPKT4_S3_PKS5_S9_S3_SB_S6_S9_S3_SB_S9_PS1_PS5_21rocsparse_index_base_SE_SE_SE_bbb
    .private_segment_fixed_size: 0
    .sgpr_count:     58
    .sgpr_spill_count: 0
    .symbol:         _ZN9rocsparseL26csrgemm_fill_block_per_rowILj128ELj16ELj256ELj137ELj32EiidEEvT5_PKS1_S3_NS_24const_host_device_scalarIT6_EEPKT4_S3_PKS5_S9_S3_SB_S6_S9_S3_SB_S9_PS1_PS5_21rocsparse_index_base_SE_SE_SE_bbb.kd
    .uniform_work_group_size: 1
    .uses_dynamic_stack: false
    .vgpr_count:     24
    .vgpr_spill_count: 0
    .wavefront_size: 64
  - .agpr_count:     0
    .args:
      - .offset:         0
        .size:           4
        .value_kind:     by_value
      - .actual_access:  read_only
        .address_space:  global
        .offset:         8
        .size:           8
        .value_kind:     global_buffer
      - .actual_access:  read_only
        .address_space:  global
        .offset:         16
        .size:           8
        .value_kind:     global_buffer
      - .offset:         24
        .size:           8
        .value_kind:     by_value
      - .actual_access:  read_only
        .address_space:  global
        .offset:         32
        .size:           8
        .value_kind:     global_buffer
      - .actual_access:  read_only
        .address_space:  global
        .offset:         40
        .size:           8
        .value_kind:     global_buffer
      - .actual_access:  read_only
        .address_space:  global
        .offset:         48
        .size:           8
        .value_kind:     global_buffer
      - .actual_access:  read_only
        .address_space:  global
        .offset:         56
        .size:           8
        .value_kind:     global_buffer
      - .actual_access:  read_only
        .address_space:  global
        .offset:         64
        .size:           8
        .value_kind:     global_buffer
      - .actual_access:  read_only
        .address_space:  global
        .offset:         72
        .size:           8
        .value_kind:     global_buffer
      - .offset:         80
        .size:           8
        .value_kind:     by_value
      - .actual_access:  read_only
        .address_space:  global
        .offset:         88
        .size:           8
        .value_kind:     global_buffer
      - .actual_access:  read_only
        .address_space:  global
        .offset:         96
        .size:           8
        .value_kind:     global_buffer
      - .actual_access:  read_only
        .address_space:  global
        .offset:         104
        .size:           8
        .value_kind:     global_buffer
      - .actual_access:  read_only
        .address_space:  global
        .offset:         112
        .size:           8
        .value_kind:     global_buffer
      - .actual_access:  write_only
        .address_space:  global
        .offset:         120
        .size:           8
        .value_kind:     global_buffer
      - .actual_access:  write_only
        .address_space:  global
        .offset:         128
        .size:           8
        .value_kind:     global_buffer
      - .offset:         136
        .size:           4
        .value_kind:     by_value
      - .offset:         140
        .size:           4
        .value_kind:     by_value
      - .offset:         144
        .size:           4
        .value_kind:     by_value
      - .offset:         148
        .size:           4
        .value_kind:     by_value
      - .offset:         152
        .size:           1
        .value_kind:     by_value
      - .offset:         153
        .size:           1
        .value_kind:     by_value
      - .offset:         154
        .size:           1
        .value_kind:     by_value
    .group_segment_fixed_size: 0
    .kernarg_segment_align: 8
    .kernarg_segment_size: 156
    .language:       OpenCL C
    .language_version:
      - 2
      - 0
    .max_flat_workgroup_size: 128
    .name:           _ZN9rocsparseL26csrgemm_fill_block_per_rowILj128ELj16ELj256ELj137ELj64EiidEEvT5_PKS1_S3_NS_24const_host_device_scalarIT6_EEPKT4_S3_PKS5_S9_S3_SB_S6_S9_S3_SB_S9_PS1_PS5_21rocsparse_index_base_SE_SE_SE_bbb
    .private_segment_fixed_size: 0
    .sgpr_count:     58
    .sgpr_spill_count: 0
    .symbol:         _ZN9rocsparseL26csrgemm_fill_block_per_rowILj128ELj16ELj256ELj137ELj64EiidEEvT5_PKS1_S3_NS_24const_host_device_scalarIT6_EEPKT4_S3_PKS5_S9_S3_SB_S6_S9_S3_SB_S9_PS1_PS5_21rocsparse_index_base_SE_SE_SE_bbb.kd
    .uniform_work_group_size: 1
    .uses_dynamic_stack: false
    .vgpr_count:     24
    .vgpr_spill_count: 0
    .wavefront_size: 64
  - .agpr_count:     0
    .args:
      - .offset:         0
        .size:           4
        .value_kind:     by_value
      - .actual_access:  read_only
        .address_space:  global
        .offset:         8
        .size:           8
        .value_kind:     global_buffer
      - .actual_access:  read_only
        .address_space:  global
        .offset:         16
        .size:           8
        .value_kind:     global_buffer
      - .offset:         24
        .size:           8
        .value_kind:     by_value
      - .actual_access:  read_only
        .address_space:  global
        .offset:         32
        .size:           8
        .value_kind:     global_buffer
      - .actual_access:  read_only
        .address_space:  global
        .offset:         40
        .size:           8
        .value_kind:     global_buffer
      - .actual_access:  read_only
        .address_space:  global
        .offset:         48
        .size:           8
        .value_kind:     global_buffer
      - .actual_access:  read_only
        .address_space:  global
        .offset:         56
        .size:           8
        .value_kind:     global_buffer
      - .actual_access:  read_only
        .address_space:  global
        .offset:         64
        .size:           8
        .value_kind:     global_buffer
      - .actual_access:  read_only
        .address_space:  global
        .offset:         72
        .size:           8
        .value_kind:     global_buffer
      - .offset:         80
        .size:           8
        .value_kind:     by_value
      - .actual_access:  read_only
        .address_space:  global
        .offset:         88
        .size:           8
        .value_kind:     global_buffer
      - .actual_access:  read_only
        .address_space:  global
        .offset:         96
        .size:           8
        .value_kind:     global_buffer
      - .actual_access:  read_only
        .address_space:  global
        .offset:         104
        .size:           8
        .value_kind:     global_buffer
      - .actual_access:  read_only
        .address_space:  global
        .offset:         112
        .size:           8
        .value_kind:     global_buffer
      - .actual_access:  write_only
        .address_space:  global
        .offset:         120
        .size:           8
        .value_kind:     global_buffer
      - .actual_access:  write_only
        .address_space:  global
        .offset:         128
        .size:           8
        .value_kind:     global_buffer
      - .offset:         136
        .size:           4
        .value_kind:     by_value
      - .offset:         140
        .size:           4
        .value_kind:     by_value
      - .offset:         144
        .size:           4
        .value_kind:     by_value
      - .offset:         148
        .size:           4
        .value_kind:     by_value
      - .offset:         152
        .size:           1
        .value_kind:     by_value
      - .offset:         153
        .size:           1
        .value_kind:     by_value
      - .offset:         154
        .size:           1
        .value_kind:     by_value
    .group_segment_fixed_size: 0
    .kernarg_segment_align: 8
    .kernarg_segment_size: 156
    .language:       OpenCL C
    .language_version:
      - 2
      - 0
    .max_flat_workgroup_size: 256
    .name:           _ZN9rocsparseL26csrgemm_fill_block_per_rowILj256ELj32ELj512ELj137ELj32EiidEEvT5_PKS1_S3_NS_24const_host_device_scalarIT6_EEPKT4_S3_PKS5_S9_S3_SB_S6_S9_S3_SB_S9_PS1_PS5_21rocsparse_index_base_SE_SE_SE_bbb
    .private_segment_fixed_size: 0
    .sgpr_count:     58
    .sgpr_spill_count: 0
    .symbol:         _ZN9rocsparseL26csrgemm_fill_block_per_rowILj256ELj32ELj512ELj137ELj32EiidEEvT5_PKS1_S3_NS_24const_host_device_scalarIT6_EEPKT4_S3_PKS5_S9_S3_SB_S6_S9_S3_SB_S9_PS1_PS5_21rocsparse_index_base_SE_SE_SE_bbb.kd
    .uniform_work_group_size: 1
    .uses_dynamic_stack: false
    .vgpr_count:     24
    .vgpr_spill_count: 0
    .wavefront_size: 64
  - .agpr_count:     0
    .args:
      - .offset:         0
        .size:           4
        .value_kind:     by_value
      - .actual_access:  read_only
        .address_space:  global
        .offset:         8
        .size:           8
        .value_kind:     global_buffer
      - .actual_access:  read_only
        .address_space:  global
        .offset:         16
        .size:           8
        .value_kind:     global_buffer
      - .offset:         24
        .size:           8
        .value_kind:     by_value
      - .actual_access:  read_only
        .address_space:  global
        .offset:         32
        .size:           8
        .value_kind:     global_buffer
      - .actual_access:  read_only
        .address_space:  global
        .offset:         40
        .size:           8
        .value_kind:     global_buffer
      - .actual_access:  read_only
        .address_space:  global
        .offset:         48
        .size:           8
        .value_kind:     global_buffer
      - .actual_access:  read_only
        .address_space:  global
        .offset:         56
        .size:           8
        .value_kind:     global_buffer
      - .actual_access:  read_only
        .address_space:  global
        .offset:         64
        .size:           8
        .value_kind:     global_buffer
      - .actual_access:  read_only
        .address_space:  global
        .offset:         72
        .size:           8
        .value_kind:     global_buffer
      - .offset:         80
        .size:           8
        .value_kind:     by_value
      - .actual_access:  read_only
        .address_space:  global
        .offset:         88
        .size:           8
        .value_kind:     global_buffer
      - .actual_access:  read_only
        .address_space:  global
        .offset:         96
        .size:           8
        .value_kind:     global_buffer
      - .actual_access:  read_only
        .address_space:  global
        .offset:         104
        .size:           8
        .value_kind:     global_buffer
      - .actual_access:  read_only
        .address_space:  global
        .offset:         112
        .size:           8
        .value_kind:     global_buffer
      - .actual_access:  write_only
        .address_space:  global
        .offset:         120
        .size:           8
        .value_kind:     global_buffer
      - .actual_access:  write_only
        .address_space:  global
        .offset:         128
        .size:           8
        .value_kind:     global_buffer
      - .offset:         136
        .size:           4
        .value_kind:     by_value
      - .offset:         140
        .size:           4
        .value_kind:     by_value
      - .offset:         144
        .size:           4
        .value_kind:     by_value
      - .offset:         148
        .size:           4
        .value_kind:     by_value
      - .offset:         152
        .size:           1
        .value_kind:     by_value
      - .offset:         153
        .size:           1
        .value_kind:     by_value
      - .offset:         154
        .size:           1
        .value_kind:     by_value
    .group_segment_fixed_size: 0
    .kernarg_segment_align: 8
    .kernarg_segment_size: 156
    .language:       OpenCL C
    .language_version:
      - 2
      - 0
    .max_flat_workgroup_size: 256
    .name:           _ZN9rocsparseL26csrgemm_fill_block_per_rowILj256ELj32ELj512ELj137ELj64EiidEEvT5_PKS1_S3_NS_24const_host_device_scalarIT6_EEPKT4_S3_PKS5_S9_S3_SB_S6_S9_S3_SB_S9_PS1_PS5_21rocsparse_index_base_SE_SE_SE_bbb
    .private_segment_fixed_size: 0
    .sgpr_count:     58
    .sgpr_spill_count: 0
    .symbol:         _ZN9rocsparseL26csrgemm_fill_block_per_rowILj256ELj32ELj512ELj137ELj64EiidEEvT5_PKS1_S3_NS_24const_host_device_scalarIT6_EEPKT4_S3_PKS5_S9_S3_SB_S6_S9_S3_SB_S9_PS1_PS5_21rocsparse_index_base_SE_SE_SE_bbb.kd
    .uniform_work_group_size: 1
    .uses_dynamic_stack: false
    .vgpr_count:     24
    .vgpr_spill_count: 0
    .wavefront_size: 64
  - .agpr_count:     0
    .args:
      - .offset:         0
        .size:           4
        .value_kind:     by_value
      - .actual_access:  read_only
        .address_space:  global
        .offset:         8
        .size:           8
        .value_kind:     global_buffer
      - .actual_access:  read_only
        .address_space:  global
        .offset:         16
        .size:           8
        .value_kind:     global_buffer
      - .offset:         24
        .size:           8
        .value_kind:     by_value
      - .actual_access:  read_only
        .address_space:  global
        .offset:         32
        .size:           8
        .value_kind:     global_buffer
      - .actual_access:  read_only
        .address_space:  global
        .offset:         40
        .size:           8
        .value_kind:     global_buffer
      - .actual_access:  read_only
        .address_space:  global
        .offset:         48
        .size:           8
        .value_kind:     global_buffer
      - .actual_access:  read_only
        .address_space:  global
        .offset:         56
        .size:           8
        .value_kind:     global_buffer
      - .actual_access:  read_only
        .address_space:  global
        .offset:         64
        .size:           8
        .value_kind:     global_buffer
      - .actual_access:  read_only
        .address_space:  global
        .offset:         72
        .size:           8
        .value_kind:     global_buffer
      - .offset:         80
        .size:           8
        .value_kind:     by_value
      - .actual_access:  read_only
        .address_space:  global
        .offset:         88
        .size:           8
        .value_kind:     global_buffer
      - .actual_access:  read_only
        .address_space:  global
        .offset:         96
        .size:           8
        .value_kind:     global_buffer
      - .actual_access:  read_only
        .address_space:  global
        .offset:         104
        .size:           8
        .value_kind:     global_buffer
      - .actual_access:  read_only
        .address_space:  global
        .offset:         112
        .size:           8
        .value_kind:     global_buffer
      - .actual_access:  write_only
        .address_space:  global
        .offset:         120
        .size:           8
        .value_kind:     global_buffer
      - .actual_access:  write_only
        .address_space:  global
        .offset:         128
        .size:           8
        .value_kind:     global_buffer
      - .offset:         136
        .size:           4
        .value_kind:     by_value
      - .offset:         140
        .size:           4
        .value_kind:     by_value
      - .offset:         144
        .size:           4
        .value_kind:     by_value
      - .offset:         148
        .size:           4
        .value_kind:     by_value
      - .offset:         152
        .size:           1
        .value_kind:     by_value
      - .offset:         153
        .size:           1
        .value_kind:     by_value
      - .offset:         154
        .size:           1
        .value_kind:     by_value
    .group_segment_fixed_size: 0
    .kernarg_segment_align: 8
    .kernarg_segment_size: 156
    .language:       OpenCL C
    .language_version:
      - 2
      - 0
    .max_flat_workgroup_size: 512
    .name:           _ZN9rocsparseL26csrgemm_fill_block_per_rowILj512ELj32ELj1024ELj137ELj32EiidEEvT5_PKS1_S3_NS_24const_host_device_scalarIT6_EEPKT4_S3_PKS5_S9_S3_SB_S6_S9_S3_SB_S9_PS1_PS5_21rocsparse_index_base_SE_SE_SE_bbb
    .private_segment_fixed_size: 0
    .sgpr_count:     56
    .sgpr_spill_count: 0
    .symbol:         _ZN9rocsparseL26csrgemm_fill_block_per_rowILj512ELj32ELj1024ELj137ELj32EiidEEvT5_PKS1_S3_NS_24const_host_device_scalarIT6_EEPKT4_S3_PKS5_S9_S3_SB_S6_S9_S3_SB_S9_PS1_PS5_21rocsparse_index_base_SE_SE_SE_bbb.kd
    .uniform_work_group_size: 1
    .uses_dynamic_stack: false
    .vgpr_count:     24
    .vgpr_spill_count: 0
    .wavefront_size: 64
  - .agpr_count:     0
    .args:
      - .offset:         0
        .size:           4
        .value_kind:     by_value
      - .actual_access:  read_only
        .address_space:  global
        .offset:         8
        .size:           8
        .value_kind:     global_buffer
      - .actual_access:  read_only
        .address_space:  global
        .offset:         16
        .size:           8
        .value_kind:     global_buffer
      - .offset:         24
        .size:           8
        .value_kind:     by_value
      - .actual_access:  read_only
        .address_space:  global
        .offset:         32
        .size:           8
        .value_kind:     global_buffer
      - .actual_access:  read_only
        .address_space:  global
        .offset:         40
        .size:           8
        .value_kind:     global_buffer
      - .actual_access:  read_only
        .address_space:  global
        .offset:         48
        .size:           8
        .value_kind:     global_buffer
      - .actual_access:  read_only
        .address_space:  global
        .offset:         56
        .size:           8
        .value_kind:     global_buffer
      - .actual_access:  read_only
        .address_space:  global
        .offset:         64
        .size:           8
        .value_kind:     global_buffer
      - .actual_access:  read_only
        .address_space:  global
        .offset:         72
        .size:           8
        .value_kind:     global_buffer
      - .offset:         80
        .size:           8
        .value_kind:     by_value
      - .actual_access:  read_only
        .address_space:  global
        .offset:         88
        .size:           8
        .value_kind:     global_buffer
      - .actual_access:  read_only
        .address_space:  global
        .offset:         96
        .size:           8
        .value_kind:     global_buffer
      - .actual_access:  read_only
        .address_space:  global
        .offset:         104
        .size:           8
        .value_kind:     global_buffer
      - .actual_access:  read_only
        .address_space:  global
        .offset:         112
        .size:           8
        .value_kind:     global_buffer
      - .actual_access:  write_only
        .address_space:  global
        .offset:         120
        .size:           8
        .value_kind:     global_buffer
      - .actual_access:  write_only
        .address_space:  global
        .offset:         128
        .size:           8
        .value_kind:     global_buffer
      - .offset:         136
        .size:           4
        .value_kind:     by_value
      - .offset:         140
        .size:           4
        .value_kind:     by_value
      - .offset:         144
        .size:           4
        .value_kind:     by_value
      - .offset:         148
        .size:           4
        .value_kind:     by_value
      - .offset:         152
        .size:           1
        .value_kind:     by_value
      - .offset:         153
        .size:           1
        .value_kind:     by_value
      - .offset:         154
        .size:           1
        .value_kind:     by_value
    .group_segment_fixed_size: 0
    .kernarg_segment_align: 8
    .kernarg_segment_size: 156
    .language:       OpenCL C
    .language_version:
      - 2
      - 0
    .max_flat_workgroup_size: 512
    .name:           _ZN9rocsparseL26csrgemm_fill_block_per_rowILj512ELj32ELj1024ELj137ELj64EiidEEvT5_PKS1_S3_NS_24const_host_device_scalarIT6_EEPKT4_S3_PKS5_S9_S3_SB_S6_S9_S3_SB_S9_PS1_PS5_21rocsparse_index_base_SE_SE_SE_bbb
    .private_segment_fixed_size: 0
    .sgpr_count:     56
    .sgpr_spill_count: 0
    .symbol:         _ZN9rocsparseL26csrgemm_fill_block_per_rowILj512ELj32ELj1024ELj137ELj64EiidEEvT5_PKS1_S3_NS_24const_host_device_scalarIT6_EEPKT4_S3_PKS5_S9_S3_SB_S6_S9_S3_SB_S9_PS1_PS5_21rocsparse_index_base_SE_SE_SE_bbb.kd
    .uniform_work_group_size: 1
    .uses_dynamic_stack: false
    .vgpr_count:     24
    .vgpr_spill_count: 0
    .wavefront_size: 64
  - .agpr_count:     0
    .args:
      - .offset:         0
        .size:           4
        .value_kind:     by_value
      - .actual_access:  read_only
        .address_space:  global
        .offset:         8
        .size:           8
        .value_kind:     global_buffer
      - .actual_access:  read_only
        .address_space:  global
        .offset:         16
        .size:           8
        .value_kind:     global_buffer
      - .offset:         24
        .size:           8
        .value_kind:     by_value
      - .actual_access:  read_only
        .address_space:  global
        .offset:         32
        .size:           8
        .value_kind:     global_buffer
      - .actual_access:  read_only
        .address_space:  global
        .offset:         40
        .size:           8
        .value_kind:     global_buffer
      - .actual_access:  read_only
        .address_space:  global
        .offset:         48
        .size:           8
        .value_kind:     global_buffer
      - .actual_access:  read_only
        .address_space:  global
        .offset:         56
        .size:           8
        .value_kind:     global_buffer
      - .actual_access:  read_only
        .address_space:  global
        .offset:         64
        .size:           8
        .value_kind:     global_buffer
      - .actual_access:  read_only
        .address_space:  global
        .offset:         72
        .size:           8
        .value_kind:     global_buffer
      - .offset:         80
        .size:           8
        .value_kind:     by_value
      - .actual_access:  read_only
        .address_space:  global
        .offset:         88
        .size:           8
        .value_kind:     global_buffer
      - .actual_access:  read_only
        .address_space:  global
        .offset:         96
        .size:           8
        .value_kind:     global_buffer
      - .actual_access:  read_only
        .address_space:  global
        .offset:         104
        .size:           8
        .value_kind:     global_buffer
      - .actual_access:  read_only
        .address_space:  global
        .offset:         112
        .size:           8
        .value_kind:     global_buffer
      - .actual_access:  write_only
        .address_space:  global
        .offset:         120
        .size:           8
        .value_kind:     global_buffer
      - .actual_access:  write_only
        .address_space:  global
        .offset:         128
        .size:           8
        .value_kind:     global_buffer
      - .offset:         136
        .size:           4
        .value_kind:     by_value
      - .offset:         140
        .size:           4
        .value_kind:     by_value
      - .offset:         144
        .size:           4
        .value_kind:     by_value
      - .offset:         148
        .size:           4
        .value_kind:     by_value
      - .offset:         152
        .size:           1
        .value_kind:     by_value
      - .offset:         153
        .size:           1
        .value_kind:     by_value
      - .offset:         154
        .size:           1
        .value_kind:     by_value
    .group_segment_fixed_size: 0
    .kernarg_segment_align: 8
    .kernarg_segment_size: 156
    .language:       OpenCL C
    .language_version:
      - 2
      - 0
    .max_flat_workgroup_size: 1024
    .name:           _ZN9rocsparseL26csrgemm_fill_block_per_rowILj1024ELj32ELj2048ELj137ELj32EiidEEvT5_PKS1_S3_NS_24const_host_device_scalarIT6_EEPKT4_S3_PKS5_S9_S3_SB_S6_S9_S3_SB_S9_PS1_PS5_21rocsparse_index_base_SE_SE_SE_bbb
    .private_segment_fixed_size: 0
    .sgpr_count:     84
    .sgpr_spill_count: 0
    .symbol:         _ZN9rocsparseL26csrgemm_fill_block_per_rowILj1024ELj32ELj2048ELj137ELj32EiidEEvT5_PKS1_S3_NS_24const_host_device_scalarIT6_EEPKT4_S3_PKS5_S9_S3_SB_S6_S9_S3_SB_S9_PS1_PS5_21rocsparse_index_base_SE_SE_SE_bbb.kd
    .uniform_work_group_size: 1
    .uses_dynamic_stack: false
    .vgpr_count:     24
    .vgpr_spill_count: 0
    .wavefront_size: 64
  - .agpr_count:     0
    .args:
      - .offset:         0
        .size:           4
        .value_kind:     by_value
      - .actual_access:  read_only
        .address_space:  global
        .offset:         8
        .size:           8
        .value_kind:     global_buffer
      - .actual_access:  read_only
        .address_space:  global
        .offset:         16
        .size:           8
        .value_kind:     global_buffer
      - .offset:         24
        .size:           8
        .value_kind:     by_value
      - .actual_access:  read_only
        .address_space:  global
        .offset:         32
        .size:           8
        .value_kind:     global_buffer
      - .actual_access:  read_only
        .address_space:  global
        .offset:         40
        .size:           8
        .value_kind:     global_buffer
      - .actual_access:  read_only
        .address_space:  global
        .offset:         48
        .size:           8
        .value_kind:     global_buffer
      - .actual_access:  read_only
        .address_space:  global
        .offset:         56
        .size:           8
        .value_kind:     global_buffer
      - .actual_access:  read_only
        .address_space:  global
        .offset:         64
        .size:           8
        .value_kind:     global_buffer
      - .actual_access:  read_only
        .address_space:  global
        .offset:         72
        .size:           8
        .value_kind:     global_buffer
      - .offset:         80
        .size:           8
        .value_kind:     by_value
      - .actual_access:  read_only
        .address_space:  global
        .offset:         88
        .size:           8
        .value_kind:     global_buffer
      - .actual_access:  read_only
        .address_space:  global
        .offset:         96
        .size:           8
        .value_kind:     global_buffer
      - .actual_access:  read_only
        .address_space:  global
        .offset:         104
        .size:           8
        .value_kind:     global_buffer
      - .actual_access:  read_only
        .address_space:  global
        .offset:         112
        .size:           8
        .value_kind:     global_buffer
      - .actual_access:  write_only
        .address_space:  global
        .offset:         120
        .size:           8
        .value_kind:     global_buffer
      - .actual_access:  write_only
        .address_space:  global
        .offset:         128
        .size:           8
        .value_kind:     global_buffer
      - .offset:         136
        .size:           4
        .value_kind:     by_value
      - .offset:         140
        .size:           4
        .value_kind:     by_value
      - .offset:         144
        .size:           4
        .value_kind:     by_value
      - .offset:         148
        .size:           4
        .value_kind:     by_value
      - .offset:         152
        .size:           1
        .value_kind:     by_value
      - .offset:         153
        .size:           1
        .value_kind:     by_value
      - .offset:         154
        .size:           1
        .value_kind:     by_value
    .group_segment_fixed_size: 0
    .kernarg_segment_align: 8
    .kernarg_segment_size: 156
    .language:       OpenCL C
    .language_version:
      - 2
      - 0
    .max_flat_workgroup_size: 1024
    .name:           _ZN9rocsparseL26csrgemm_fill_block_per_rowILj1024ELj32ELj2048ELj137ELj64EiidEEvT5_PKS1_S3_NS_24const_host_device_scalarIT6_EEPKT4_S3_PKS5_S9_S3_SB_S6_S9_S3_SB_S9_PS1_PS5_21rocsparse_index_base_SE_SE_SE_bbb
    .private_segment_fixed_size: 0
    .sgpr_count:     56
    .sgpr_spill_count: 0
    .symbol:         _ZN9rocsparseL26csrgemm_fill_block_per_rowILj1024ELj32ELj2048ELj137ELj64EiidEEvT5_PKS1_S3_NS_24const_host_device_scalarIT6_EEPKT4_S3_PKS5_S9_S3_SB_S6_S9_S3_SB_S9_PS1_PS5_21rocsparse_index_base_SE_SE_SE_bbb.kd
    .uniform_work_group_size: 1
    .uses_dynamic_stack: false
    .vgpr_count:     24
    .vgpr_spill_count: 0
    .wavefront_size: 64
  - .agpr_count:     0
    .args:
      - .offset:         0
        .size:           4
        .value_kind:     by_value
      - .actual_access:  read_only
        .address_space:  global
        .offset:         8
        .size:           8
        .value_kind:     global_buffer
      - .actual_access:  read_only
        .address_space:  global
        .offset:         16
        .size:           8
        .value_kind:     global_buffer
      - .offset:         24
        .size:           8
        .value_kind:     by_value
      - .actual_access:  read_only
        .address_space:  global
        .offset:         32
        .size:           8
        .value_kind:     global_buffer
      - .actual_access:  read_only
        .address_space:  global
        .offset:         40
        .size:           8
        .value_kind:     global_buffer
      - .actual_access:  read_only
        .address_space:  global
        .offset:         48
        .size:           8
        .value_kind:     global_buffer
      - .actual_access:  read_only
        .address_space:  global
        .offset:         56
        .size:           8
        .value_kind:     global_buffer
      - .actual_access:  read_only
        .address_space:  global
        .offset:         64
        .size:           8
        .value_kind:     global_buffer
      - .actual_access:  read_only
        .address_space:  global
        .offset:         72
        .size:           8
        .value_kind:     global_buffer
      - .offset:         80
        .size:           8
        .value_kind:     by_value
      - .actual_access:  read_only
        .address_space:  global
        .offset:         88
        .size:           8
        .value_kind:     global_buffer
      - .actual_access:  read_only
        .address_space:  global
        .offset:         96
        .size:           8
        .value_kind:     global_buffer
      - .actual_access:  read_only
        .address_space:  global
        .offset:         104
        .size:           8
        .value_kind:     global_buffer
      - .actual_access:  read_only
        .address_space:  global
        .offset:         112
        .size:           8
        .value_kind:     global_buffer
      - .actual_access:  write_only
        .address_space:  global
        .offset:         120
        .size:           8
        .value_kind:     global_buffer
      - .actual_access:  write_only
        .address_space:  global
        .offset:         128
        .size:           8
        .value_kind:     global_buffer
      - .offset:         136
        .size:           4
        .value_kind:     by_value
      - .offset:         140
        .size:           4
        .value_kind:     by_value
      - .offset:         144
        .size:           4
        .value_kind:     by_value
      - .offset:         148
        .size:           4
        .value_kind:     by_value
      - .offset:         152
        .size:           1
        .value_kind:     by_value
      - .offset:         153
        .size:           1
        .value_kind:     by_value
      - .offset:         154
        .size:           1
        .value_kind:     by_value
    .group_segment_fixed_size: 0
    .kernarg_segment_align: 8
    .kernarg_segment_size: 156
    .language:       OpenCL C
    .language_version:
      - 2
      - 0
    .max_flat_workgroup_size: 1024
    .name:           _ZN9rocsparseL26csrgemm_fill_block_per_rowILj1024ELj64ELj4096ELj137ELj32EiidEEvT5_PKS1_S3_NS_24const_host_device_scalarIT6_EEPKT4_S3_PKS5_S9_S3_SB_S6_S9_S3_SB_S9_PS1_PS5_21rocsparse_index_base_SE_SE_SE_bbb
    .private_segment_fixed_size: 0
    .sgpr_count:     84
    .sgpr_spill_count: 0
    .symbol:         _ZN9rocsparseL26csrgemm_fill_block_per_rowILj1024ELj64ELj4096ELj137ELj32EiidEEvT5_PKS1_S3_NS_24const_host_device_scalarIT6_EEPKT4_S3_PKS5_S9_S3_SB_S6_S9_S3_SB_S9_PS1_PS5_21rocsparse_index_base_SE_SE_SE_bbb.kd
    .uniform_work_group_size: 1
    .uses_dynamic_stack: false
    .vgpr_count:     24
    .vgpr_spill_count: 0
    .wavefront_size: 64
  - .agpr_count:     0
    .args:
      - .offset:         0
        .size:           4
        .value_kind:     by_value
      - .actual_access:  read_only
        .address_space:  global
        .offset:         8
        .size:           8
        .value_kind:     global_buffer
      - .actual_access:  read_only
        .address_space:  global
        .offset:         16
        .size:           8
        .value_kind:     global_buffer
      - .offset:         24
        .size:           8
        .value_kind:     by_value
      - .actual_access:  read_only
        .address_space:  global
        .offset:         32
        .size:           8
        .value_kind:     global_buffer
      - .actual_access:  read_only
        .address_space:  global
        .offset:         40
        .size:           8
        .value_kind:     global_buffer
      - .actual_access:  read_only
        .address_space:  global
        .offset:         48
        .size:           8
        .value_kind:     global_buffer
      - .actual_access:  read_only
        .address_space:  global
        .offset:         56
        .size:           8
        .value_kind:     global_buffer
      - .actual_access:  read_only
        .address_space:  global
        .offset:         64
        .size:           8
        .value_kind:     global_buffer
      - .actual_access:  read_only
        .address_space:  global
        .offset:         72
        .size:           8
        .value_kind:     global_buffer
      - .offset:         80
        .size:           8
        .value_kind:     by_value
      - .actual_access:  read_only
        .address_space:  global
        .offset:         88
        .size:           8
        .value_kind:     global_buffer
      - .actual_access:  read_only
        .address_space:  global
        .offset:         96
        .size:           8
        .value_kind:     global_buffer
      - .actual_access:  read_only
        .address_space:  global
        .offset:         104
        .size:           8
        .value_kind:     global_buffer
      - .actual_access:  read_only
        .address_space:  global
        .offset:         112
        .size:           8
        .value_kind:     global_buffer
      - .actual_access:  write_only
        .address_space:  global
        .offset:         120
        .size:           8
        .value_kind:     global_buffer
      - .actual_access:  write_only
        .address_space:  global
        .offset:         128
        .size:           8
        .value_kind:     global_buffer
      - .offset:         136
        .size:           4
        .value_kind:     by_value
      - .offset:         140
        .size:           4
        .value_kind:     by_value
      - .offset:         144
        .size:           4
        .value_kind:     by_value
      - .offset:         148
        .size:           4
        .value_kind:     by_value
      - .offset:         152
        .size:           1
        .value_kind:     by_value
      - .offset:         153
        .size:           1
        .value_kind:     by_value
      - .offset:         154
        .size:           1
        .value_kind:     by_value
    .group_segment_fixed_size: 0
    .kernarg_segment_align: 8
    .kernarg_segment_size: 156
    .language:       OpenCL C
    .language_version:
      - 2
      - 0
    .max_flat_workgroup_size: 1024
    .name:           _ZN9rocsparseL26csrgemm_fill_block_per_rowILj1024ELj64ELj4096ELj137ELj64EiidEEvT5_PKS1_S3_NS_24const_host_device_scalarIT6_EEPKT4_S3_PKS5_S9_S3_SB_S6_S9_S3_SB_S9_PS1_PS5_21rocsparse_index_base_SE_SE_SE_bbb
    .private_segment_fixed_size: 0
    .sgpr_count:     56
    .sgpr_spill_count: 0
    .symbol:         _ZN9rocsparseL26csrgemm_fill_block_per_rowILj1024ELj64ELj4096ELj137ELj64EiidEEvT5_PKS1_S3_NS_24const_host_device_scalarIT6_EEPKT4_S3_PKS5_S9_S3_SB_S6_S9_S3_SB_S9_PS1_PS5_21rocsparse_index_base_SE_SE_SE_bbb.kd
    .uniform_work_group_size: 1
    .uses_dynamic_stack: false
    .vgpr_count:     24
    .vgpr_spill_count: 0
    .wavefront_size: 64
  - .agpr_count:     0
    .args:
      - .offset:         0
        .size:           4
        .value_kind:     by_value
      - .actual_access:  read_only
        .address_space:  global
        .offset:         8
        .size:           8
        .value_kind:     global_buffer
      - .actual_access:  read_only
        .address_space:  global
        .offset:         16
        .size:           8
        .value_kind:     global_buffer
      - .offset:         24
        .size:           8
        .value_kind:     by_value
      - .actual_access:  read_only
        .address_space:  global
        .offset:         32
        .size:           8
        .value_kind:     global_buffer
      - .actual_access:  read_only
        .address_space:  global
        .offset:         40
        .size:           8
        .value_kind:     global_buffer
      - .actual_access:  read_only
        .address_space:  global
        .offset:         48
        .size:           8
        .value_kind:     global_buffer
      - .actual_access:  read_only
        .address_space:  global
        .offset:         56
        .size:           8
        .value_kind:     global_buffer
      - .actual_access:  read_only
        .address_space:  global
        .offset:         64
        .size:           8
        .value_kind:     global_buffer
      - .actual_access:  read_only
        .address_space:  global
        .offset:         72
        .size:           8
        .value_kind:     global_buffer
      - .offset:         80
        .size:           8
        .value_kind:     by_value
      - .actual_access:  read_only
        .address_space:  global
        .offset:         88
        .size:           8
        .value_kind:     global_buffer
      - .actual_access:  read_only
        .address_space:  global
        .offset:         96
        .size:           8
        .value_kind:     global_buffer
      - .actual_access:  read_only
        .address_space:  global
        .offset:         104
        .size:           8
        .value_kind:     global_buffer
      - .actual_access:  read_only
        .address_space:  global
        .offset:         112
        .size:           8
        .value_kind:     global_buffer
      - .actual_access:  write_only
        .address_space:  global
        .offset:         120
        .size:           8
        .value_kind:     global_buffer
      - .actual_access:  write_only
        .address_space:  global
        .offset:         128
        .size:           8
        .value_kind:     global_buffer
      - .offset:         136
        .size:           4
        .value_kind:     by_value
      - .offset:         140
        .size:           4
        .value_kind:     by_value
      - .offset:         144
        .size:           4
        .value_kind:     by_value
      - .offset:         148
        .size:           4
        .value_kind:     by_value
      - .offset:         152
        .size:           1
        .value_kind:     by_value
      - .offset:         153
        .size:           1
        .value_kind:     by_value
      - .offset:         154
        .size:           1
        .value_kind:     by_value
    .group_segment_fixed_size: 0
    .kernarg_segment_align: 8
    .kernarg_segment_size: 156
    .language:       OpenCL C
    .language_version:
      - 2
      - 0
    .max_flat_workgroup_size: 1024
    .name:           _ZN9rocsparseL26csrgemm_fill_block_per_rowILj1024ELj64ELj8192ELj137ELj32EiidEEvT5_PKS1_S3_NS_24const_host_device_scalarIT6_EEPKT4_S3_PKS5_S9_S3_SB_S6_S9_S3_SB_S9_PS1_PS5_21rocsparse_index_base_SE_SE_SE_bbb
    .private_segment_fixed_size: 0
    .sgpr_count:     100
    .sgpr_spill_count: 22
    .symbol:         _ZN9rocsparseL26csrgemm_fill_block_per_rowILj1024ELj64ELj8192ELj137ELj32EiidEEvT5_PKS1_S3_NS_24const_host_device_scalarIT6_EEPKT4_S3_PKS5_S9_S3_SB_S6_S9_S3_SB_S9_PS1_PS5_21rocsparse_index_base_SE_SE_SE_bbb.kd
    .uniform_work_group_size: 1
    .uses_dynamic_stack: false
    .vgpr_count:     25
    .vgpr_spill_count: 0
    .wavefront_size: 64
  - .agpr_count:     0
    .args:
      - .offset:         0
        .size:           4
        .value_kind:     by_value
      - .actual_access:  read_only
        .address_space:  global
        .offset:         8
        .size:           8
        .value_kind:     global_buffer
      - .actual_access:  read_only
        .address_space:  global
        .offset:         16
        .size:           8
        .value_kind:     global_buffer
      - .offset:         24
        .size:           8
        .value_kind:     by_value
      - .actual_access:  read_only
        .address_space:  global
        .offset:         32
        .size:           8
        .value_kind:     global_buffer
      - .actual_access:  read_only
        .address_space:  global
        .offset:         40
        .size:           8
        .value_kind:     global_buffer
      - .actual_access:  read_only
        .address_space:  global
        .offset:         48
        .size:           8
        .value_kind:     global_buffer
      - .actual_access:  read_only
        .address_space:  global
        .offset:         56
        .size:           8
        .value_kind:     global_buffer
      - .actual_access:  read_only
        .address_space:  global
        .offset:         64
        .size:           8
        .value_kind:     global_buffer
      - .actual_access:  read_only
        .address_space:  global
        .offset:         72
        .size:           8
        .value_kind:     global_buffer
      - .offset:         80
        .size:           8
        .value_kind:     by_value
      - .actual_access:  read_only
        .address_space:  global
        .offset:         88
        .size:           8
        .value_kind:     global_buffer
      - .actual_access:  read_only
        .address_space:  global
        .offset:         96
        .size:           8
        .value_kind:     global_buffer
      - .actual_access:  read_only
        .address_space:  global
        .offset:         104
        .size:           8
        .value_kind:     global_buffer
      - .actual_access:  read_only
        .address_space:  global
        .offset:         112
        .size:           8
        .value_kind:     global_buffer
      - .actual_access:  write_only
        .address_space:  global
        .offset:         120
        .size:           8
        .value_kind:     global_buffer
      - .actual_access:  write_only
        .address_space:  global
        .offset:         128
        .size:           8
        .value_kind:     global_buffer
      - .offset:         136
        .size:           4
        .value_kind:     by_value
      - .offset:         140
        .size:           4
        .value_kind:     by_value
      - .offset:         144
        .size:           4
        .value_kind:     by_value
      - .offset:         148
        .size:           4
        .value_kind:     by_value
      - .offset:         152
        .size:           1
        .value_kind:     by_value
      - .offset:         153
        .size:           1
        .value_kind:     by_value
      - .offset:         154
        .size:           1
        .value_kind:     by_value
    .group_segment_fixed_size: 0
    .kernarg_segment_align: 8
    .kernarg_segment_size: 156
    .language:       OpenCL C
    .language_version:
      - 2
      - 0
    .max_flat_workgroup_size: 1024
    .name:           _ZN9rocsparseL26csrgemm_fill_block_per_rowILj1024ELj64ELj8192ELj137ELj64EiidEEvT5_PKS1_S3_NS_24const_host_device_scalarIT6_EEPKT4_S3_PKS5_S9_S3_SB_S6_S9_S3_SB_S9_PS1_PS5_21rocsparse_index_base_SE_SE_SE_bbb
    .private_segment_fixed_size: 0
    .sgpr_count:     67
    .sgpr_spill_count: 0
    .symbol:         _ZN9rocsparseL26csrgemm_fill_block_per_rowILj1024ELj64ELj8192ELj137ELj64EiidEEvT5_PKS1_S3_NS_24const_host_device_scalarIT6_EEPKT4_S3_PKS5_S9_S3_SB_S6_S9_S3_SB_S9_PS1_PS5_21rocsparse_index_base_SE_SE_SE_bbb.kd
    .uniform_work_group_size: 1
    .uses_dynamic_stack: false
    .vgpr_count:     24
    .vgpr_spill_count: 0
    .wavefront_size: 64
  - .agpr_count:     0
    .args:
      - .offset:         0
        .size:           4
        .value_kind:     by_value
      - .actual_access:  read_only
        .address_space:  global
        .offset:         8
        .size:           8
        .value_kind:     global_buffer
      - .actual_access:  read_only
        .address_space:  global
        .offset:         16
        .size:           8
        .value_kind:     global_buffer
      - .offset:         24
        .size:           8
        .value_kind:     by_value
      - .actual_access:  read_only
        .address_space:  global
        .offset:         32
        .size:           8
        .value_kind:     global_buffer
      - .actual_access:  read_only
        .address_space:  global
        .offset:         40
        .size:           8
        .value_kind:     global_buffer
      - .actual_access:  read_only
        .address_space:  global
        .offset:         48
        .size:           8
        .value_kind:     global_buffer
      - .actual_access:  read_only
        .address_space:  global
        .offset:         56
        .size:           8
        .value_kind:     global_buffer
      - .actual_access:  read_only
        .address_space:  global
        .offset:         64
        .size:           8
        .value_kind:     global_buffer
      - .actual_access:  read_only
        .address_space:  global
        .offset:         72
        .size:           8
        .value_kind:     global_buffer
      - .offset:         80
        .size:           8
        .value_kind:     by_value
      - .actual_access:  read_only
        .address_space:  global
        .offset:         88
        .size:           8
        .value_kind:     global_buffer
      - .actual_access:  read_only
        .address_space:  global
        .offset:         96
        .size:           8
        .value_kind:     global_buffer
      - .actual_access:  read_only
        .address_space:  global
        .offset:         104
        .size:           8
        .value_kind:     global_buffer
      - .actual_access:  read_only
        .address_space:  global
        .offset:         112
        .size:           8
        .value_kind:     global_buffer
      - .actual_access:  write_only
        .address_space:  global
        .offset:         120
        .size:           8
        .value_kind:     global_buffer
      - .actual_access:  write_only
        .address_space:  global
        .offset:         128
        .size:           8
        .value_kind:     global_buffer
      - .offset:         136
        .size:           4
        .value_kind:     by_value
      - .offset:         140
        .size:           4
        .value_kind:     by_value
      - .offset:         144
        .size:           4
        .value_kind:     by_value
      - .offset:         148
        .size:           4
        .value_kind:     by_value
      - .offset:         152
        .size:           1
        .value_kind:     by_value
      - .offset:         153
        .size:           1
        .value_kind:     by_value
      - .offset:         154
        .size:           1
        .value_kind:     by_value
    .group_segment_fixed_size: 0
    .kernarg_segment_align: 8
    .kernarg_segment_size: 156
    .language:       OpenCL C
    .language_version:
      - 2
      - 0
    .max_flat_workgroup_size: 1024
    .name:           _ZN9rocsparseL26csrgemm_fill_block_per_rowILj1024ELj64ELj16384ELj137ELj32EiidEEvT5_PKS1_S3_NS_24const_host_device_scalarIT6_EEPKT4_S3_PKS5_S9_S3_SB_S6_S9_S3_SB_S9_PS1_PS5_21rocsparse_index_base_SE_SE_SE_bbb
    .private_segment_fixed_size: 0
    .sgpr_count:     100
    .sgpr_spill_count: 28
    .symbol:         _ZN9rocsparseL26csrgemm_fill_block_per_rowILj1024ELj64ELj16384ELj137ELj32EiidEEvT5_PKS1_S3_NS_24const_host_device_scalarIT6_EEPKT4_S3_PKS5_S9_S3_SB_S6_S9_S3_SB_S9_PS1_PS5_21rocsparse_index_base_SE_SE_SE_bbb.kd
    .uniform_work_group_size: 1
    .uses_dynamic_stack: false
    .vgpr_count:     25
    .vgpr_spill_count: 0
    .wavefront_size: 64
  - .agpr_count:     0
    .args:
      - .offset:         0
        .size:           4
        .value_kind:     by_value
      - .actual_access:  read_only
        .address_space:  global
        .offset:         8
        .size:           8
        .value_kind:     global_buffer
      - .actual_access:  read_only
        .address_space:  global
        .offset:         16
        .size:           8
        .value_kind:     global_buffer
      - .offset:         24
        .size:           8
        .value_kind:     by_value
      - .actual_access:  read_only
        .address_space:  global
        .offset:         32
        .size:           8
        .value_kind:     global_buffer
      - .actual_access:  read_only
        .address_space:  global
        .offset:         40
        .size:           8
        .value_kind:     global_buffer
      - .actual_access:  read_only
        .address_space:  global
        .offset:         48
        .size:           8
        .value_kind:     global_buffer
      - .actual_access:  read_only
        .address_space:  global
        .offset:         56
        .size:           8
        .value_kind:     global_buffer
      - .actual_access:  read_only
        .address_space:  global
        .offset:         64
        .size:           8
        .value_kind:     global_buffer
      - .actual_access:  read_only
        .address_space:  global
        .offset:         72
        .size:           8
        .value_kind:     global_buffer
      - .offset:         80
        .size:           8
        .value_kind:     by_value
      - .actual_access:  read_only
        .address_space:  global
        .offset:         88
        .size:           8
        .value_kind:     global_buffer
      - .actual_access:  read_only
        .address_space:  global
        .offset:         96
        .size:           8
        .value_kind:     global_buffer
      - .actual_access:  read_only
        .address_space:  global
        .offset:         104
        .size:           8
        .value_kind:     global_buffer
      - .actual_access:  read_only
        .address_space:  global
        .offset:         112
        .size:           8
        .value_kind:     global_buffer
      - .actual_access:  write_only
        .address_space:  global
        .offset:         120
        .size:           8
        .value_kind:     global_buffer
      - .actual_access:  write_only
        .address_space:  global
        .offset:         128
        .size:           8
        .value_kind:     global_buffer
      - .offset:         136
        .size:           4
        .value_kind:     by_value
      - .offset:         140
        .size:           4
        .value_kind:     by_value
      - .offset:         144
        .size:           4
        .value_kind:     by_value
      - .offset:         148
        .size:           4
        .value_kind:     by_value
      - .offset:         152
        .size:           1
        .value_kind:     by_value
      - .offset:         153
        .size:           1
        .value_kind:     by_value
      - .offset:         154
        .size:           1
        .value_kind:     by_value
    .group_segment_fixed_size: 0
    .kernarg_segment_align: 8
    .kernarg_segment_size: 156
    .language:       OpenCL C
    .language_version:
      - 2
      - 0
    .max_flat_workgroup_size: 1024
    .name:           _ZN9rocsparseL26csrgemm_fill_block_per_rowILj1024ELj64ELj16384ELj137ELj64EiidEEvT5_PKS1_S3_NS_24const_host_device_scalarIT6_EEPKT4_S3_PKS5_S9_S3_SB_S6_S9_S3_SB_S9_PS1_PS5_21rocsparse_index_base_SE_SE_SE_bbb
    .private_segment_fixed_size: 0
    .sgpr_count:     67
    .sgpr_spill_count: 0
    .symbol:         _ZN9rocsparseL26csrgemm_fill_block_per_rowILj1024ELj64ELj16384ELj137ELj64EiidEEvT5_PKS1_S3_NS_24const_host_device_scalarIT6_EEPKT4_S3_PKS5_S9_S3_SB_S6_S9_S3_SB_S9_PS1_PS5_21rocsparse_index_base_SE_SE_SE_bbb.kd
    .uniform_work_group_size: 1
    .uses_dynamic_stack: false
    .vgpr_count:     24
    .vgpr_spill_count: 0
    .wavefront_size: 64
  - .agpr_count:     0
    .args:
      - .offset:         0
        .size:           4
        .value_kind:     by_value
      - .actual_access:  read_only
        .address_space:  global
        .offset:         8
        .size:           8
        .value_kind:     global_buffer
      - .actual_access:  read_only
        .address_space:  global
        .offset:         16
        .size:           8
        .value_kind:     global_buffer
      - .offset:         24
        .size:           8
        .value_kind:     by_value
      - .actual_access:  read_only
        .address_space:  global
        .offset:         32
        .size:           8
        .value_kind:     global_buffer
      - .actual_access:  read_only
        .address_space:  global
        .offset:         40
        .size:           8
        .value_kind:     global_buffer
      - .actual_access:  read_only
        .address_space:  global
        .offset:         48
        .size:           8
        .value_kind:     global_buffer
      - .actual_access:  read_only
        .address_space:  global
        .offset:         56
        .size:           8
        .value_kind:     global_buffer
      - .actual_access:  read_only
        .address_space:  global
        .offset:         64
        .size:           8
        .value_kind:     global_buffer
      - .actual_access:  read_only
        .address_space:  global
        .offset:         72
        .size:           8
        .value_kind:     global_buffer
      - .offset:         80
        .size:           8
        .value_kind:     by_value
      - .actual_access:  read_only
        .address_space:  global
        .offset:         88
        .size:           8
        .value_kind:     global_buffer
      - .actual_access:  read_only
        .address_space:  global
        .offset:         96
        .size:           8
        .value_kind:     global_buffer
      - .actual_access:  read_only
        .address_space:  global
        .offset:         104
        .size:           8
        .value_kind:     global_buffer
      - .actual_access:  read_only
        .address_space:  global
        .offset:         112
        .size:           8
        .value_kind:     global_buffer
      - .actual_access:  write_only
        .address_space:  global
        .offset:         120
        .size:           8
        .value_kind:     global_buffer
      - .actual_access:  write_only
        .address_space:  global
        .offset:         128
        .size:           8
        .value_kind:     global_buffer
      - .offset:         136
        .size:           4
        .value_kind:     by_value
      - .offset:         140
        .size:           4
        .value_kind:     by_value
      - .offset:         144
        .size:           4
        .value_kind:     by_value
      - .offset:         148
        .size:           4
        .value_kind:     by_value
      - .offset:         152
        .size:           1
        .value_kind:     by_value
      - .offset:         153
        .size:           1
        .value_kind:     by_value
      - .offset:         154
        .size:           1
        .value_kind:     by_value
    .group_segment_fixed_size: 0
    .kernarg_segment_align: 8
    .kernarg_segment_size: 156
    .language:       OpenCL C
    .language_version:
      - 2
      - 0
    .max_flat_workgroup_size: 1024
    .name:           _ZN9rocsparseL26csrgemm_fill_block_per_rowILj1024ELj64ELj32768ELj137ELj32EiidEEvT5_PKS1_S3_NS_24const_host_device_scalarIT6_EEPKT4_S3_PKS5_S9_S3_SB_S6_S9_S3_SB_S9_PS1_PS5_21rocsparse_index_base_SE_SE_SE_bbb
    .private_segment_fixed_size: 0
    .sgpr_count:     100
    .sgpr_spill_count: 28
    .symbol:         _ZN9rocsparseL26csrgemm_fill_block_per_rowILj1024ELj64ELj32768ELj137ELj32EiidEEvT5_PKS1_S3_NS_24const_host_device_scalarIT6_EEPKT4_S3_PKS5_S9_S3_SB_S6_S9_S3_SB_S9_PS1_PS5_21rocsparse_index_base_SE_SE_SE_bbb.kd
    .uniform_work_group_size: 1
    .uses_dynamic_stack: false
    .vgpr_count:     25
    .vgpr_spill_count: 0
    .wavefront_size: 64
  - .agpr_count:     0
    .args:
      - .offset:         0
        .size:           4
        .value_kind:     by_value
      - .actual_access:  read_only
        .address_space:  global
        .offset:         8
        .size:           8
        .value_kind:     global_buffer
      - .actual_access:  read_only
        .address_space:  global
        .offset:         16
        .size:           8
        .value_kind:     global_buffer
      - .offset:         24
        .size:           8
        .value_kind:     by_value
      - .actual_access:  read_only
        .address_space:  global
        .offset:         32
        .size:           8
        .value_kind:     global_buffer
      - .actual_access:  read_only
        .address_space:  global
        .offset:         40
        .size:           8
        .value_kind:     global_buffer
      - .actual_access:  read_only
        .address_space:  global
        .offset:         48
        .size:           8
        .value_kind:     global_buffer
      - .actual_access:  read_only
        .address_space:  global
        .offset:         56
        .size:           8
        .value_kind:     global_buffer
      - .actual_access:  read_only
        .address_space:  global
        .offset:         64
        .size:           8
        .value_kind:     global_buffer
      - .actual_access:  read_only
        .address_space:  global
        .offset:         72
        .size:           8
        .value_kind:     global_buffer
      - .offset:         80
        .size:           8
        .value_kind:     by_value
      - .actual_access:  read_only
        .address_space:  global
        .offset:         88
        .size:           8
        .value_kind:     global_buffer
      - .actual_access:  read_only
        .address_space:  global
        .offset:         96
        .size:           8
        .value_kind:     global_buffer
      - .actual_access:  read_only
        .address_space:  global
        .offset:         104
        .size:           8
        .value_kind:     global_buffer
      - .actual_access:  read_only
        .address_space:  global
        .offset:         112
        .size:           8
        .value_kind:     global_buffer
      - .actual_access:  write_only
        .address_space:  global
        .offset:         120
        .size:           8
        .value_kind:     global_buffer
      - .actual_access:  write_only
        .address_space:  global
        .offset:         128
        .size:           8
        .value_kind:     global_buffer
      - .offset:         136
        .size:           4
        .value_kind:     by_value
      - .offset:         140
        .size:           4
        .value_kind:     by_value
      - .offset:         144
        .size:           4
        .value_kind:     by_value
      - .offset:         148
        .size:           4
        .value_kind:     by_value
      - .offset:         152
        .size:           1
        .value_kind:     by_value
      - .offset:         153
        .size:           1
        .value_kind:     by_value
      - .offset:         154
        .size:           1
        .value_kind:     by_value
    .group_segment_fixed_size: 0
    .kernarg_segment_align: 8
    .kernarg_segment_size: 156
    .language:       OpenCL C
    .language_version:
      - 2
      - 0
    .max_flat_workgroup_size: 1024
    .name:           _ZN9rocsparseL26csrgemm_fill_block_per_rowILj1024ELj64ELj32768ELj137ELj64EiidEEvT5_PKS1_S3_NS_24const_host_device_scalarIT6_EEPKT4_S3_PKS5_S9_S3_SB_S6_S9_S3_SB_S9_PS1_PS5_21rocsparse_index_base_SE_SE_SE_bbb
    .private_segment_fixed_size: 0
    .sgpr_count:     67
    .sgpr_spill_count: 0
    .symbol:         _ZN9rocsparseL26csrgemm_fill_block_per_rowILj1024ELj64ELj32768ELj137ELj64EiidEEvT5_PKS1_S3_NS_24const_host_device_scalarIT6_EEPKT4_S3_PKS5_S9_S3_SB_S6_S9_S3_SB_S9_PS1_PS5_21rocsparse_index_base_SE_SE_SE_bbb.kd
    .uniform_work_group_size: 1
    .uses_dynamic_stack: false
    .vgpr_count:     24
    .vgpr_spill_count: 0
    .wavefront_size: 64
  - .agpr_count:     0
    .args:
      - .offset:         0
        .size:           4
        .value_kind:     by_value
      - .actual_access:  read_only
        .address_space:  global
        .offset:         8
        .size:           8
        .value_kind:     global_buffer
      - .actual_access:  read_only
        .address_space:  global
        .offset:         16
        .size:           8
        .value_kind:     global_buffer
      - .offset:         24
        .size:           8
        .value_kind:     by_value
      - .actual_access:  read_only
        .address_space:  global
        .offset:         32
        .size:           8
        .value_kind:     global_buffer
      - .actual_access:  read_only
        .address_space:  global
        .offset:         40
        .size:           8
        .value_kind:     global_buffer
      - .actual_access:  read_only
        .address_space:  global
        .offset:         48
        .size:           8
        .value_kind:     global_buffer
      - .actual_access:  read_only
        .address_space:  global
        .offset:         56
        .size:           8
        .value_kind:     global_buffer
      - .actual_access:  read_only
        .address_space:  global
        .offset:         64
        .size:           8
        .value_kind:     global_buffer
      - .actual_access:  read_only
        .address_space:  global
        .offset:         72
        .size:           8
        .value_kind:     global_buffer
      - .offset:         80
        .size:           8
        .value_kind:     by_value
      - .actual_access:  read_only
        .address_space:  global
        .offset:         88
        .size:           8
        .value_kind:     global_buffer
      - .actual_access:  read_only
        .address_space:  global
        .offset:         96
        .size:           8
        .value_kind:     global_buffer
      - .actual_access:  read_only
        .address_space:  global
        .offset:         104
        .size:           8
        .value_kind:     global_buffer
      - .actual_access:  read_only
        .address_space:  global
        .offset:         112
        .size:           8
        .value_kind:     global_buffer
      - .actual_access:  write_only
        .address_space:  global
        .offset:         120
        .size:           8
        .value_kind:     global_buffer
      - .actual_access:  write_only
        .address_space:  global
        .offset:         128
        .size:           8
        .value_kind:     global_buffer
      - .address_space:  global
        .offset:         136
        .size:           8
        .value_kind:     global_buffer
      - .offset:         144
        .size:           4
        .value_kind:     by_value
      - .offset:         148
        .size:           4
        .value_kind:     by_value
      - .offset:         152
        .size:           4
        .value_kind:     by_value
      - .offset:         156
        .size:           4
        .value_kind:     by_value
      - .offset:         160
        .size:           1
        .value_kind:     by_value
      - .offset:         161
        .size:           1
        .value_kind:     by_value
      - .offset:         162
        .size:           1
        .value_kind:     by_value
    .group_segment_fixed_size: 18440
    .kernarg_segment_align: 8
    .kernarg_segment_size: 164
    .language:       OpenCL C
    .language_version:
      - 2
      - 0
    .max_flat_workgroup_size: 512
    .name:           _ZN9rocsparseL36csrgemm_fill_block_per_row_multipassILj512ELj16ELj2048ELj32EiidEEvT4_PKS1_S3_NS_24const_host_device_scalarIT5_EEPKT3_S3_PKS5_S9_S3_SB_S6_S9_S3_SB_S9_PS1_PS5_PS7_21rocsparse_index_base_SF_SF_SF_bbb
    .private_segment_fixed_size: 0
    .sgpr_count:     100
    .sgpr_spill_count: 0
    .symbol:         _ZN9rocsparseL36csrgemm_fill_block_per_row_multipassILj512ELj16ELj2048ELj32EiidEEvT4_PKS1_S3_NS_24const_host_device_scalarIT5_EEPKT3_S3_PKS5_S9_S3_SB_S6_S9_S3_SB_S9_PS1_PS5_PS7_21rocsparse_index_base_SF_SF_SF_bbb.kd
    .uniform_work_group_size: 1
    .uses_dynamic_stack: false
    .vgpr_count:     38
    .vgpr_spill_count: 0
    .wavefront_size: 64
  - .agpr_count:     0
    .args:
      - .offset:         0
        .size:           4
        .value_kind:     by_value
      - .actual_access:  read_only
        .address_space:  global
        .offset:         8
        .size:           8
        .value_kind:     global_buffer
      - .actual_access:  read_only
        .address_space:  global
        .offset:         16
        .size:           8
        .value_kind:     global_buffer
      - .offset:         24
        .size:           8
        .value_kind:     by_value
      - .actual_access:  read_only
        .address_space:  global
        .offset:         32
        .size:           8
        .value_kind:     global_buffer
      - .actual_access:  read_only
        .address_space:  global
        .offset:         40
        .size:           8
        .value_kind:     global_buffer
      - .actual_access:  read_only
        .address_space:  global
        .offset:         48
        .size:           8
        .value_kind:     global_buffer
      - .actual_access:  read_only
        .address_space:  global
        .offset:         56
        .size:           8
        .value_kind:     global_buffer
      - .actual_access:  read_only
        .address_space:  global
        .offset:         64
        .size:           8
        .value_kind:     global_buffer
      - .actual_access:  read_only
        .address_space:  global
        .offset:         72
        .size:           8
        .value_kind:     global_buffer
      - .offset:         80
        .size:           8
        .value_kind:     by_value
      - .actual_access:  read_only
        .address_space:  global
        .offset:         88
        .size:           8
        .value_kind:     global_buffer
      - .actual_access:  read_only
        .address_space:  global
        .offset:         96
        .size:           8
        .value_kind:     global_buffer
      - .actual_access:  read_only
        .address_space:  global
        .offset:         104
        .size:           8
        .value_kind:     global_buffer
      - .actual_access:  read_only
        .address_space:  global
        .offset:         112
        .size:           8
        .value_kind:     global_buffer
      - .actual_access:  write_only
        .address_space:  global
        .offset:         120
        .size:           8
        .value_kind:     global_buffer
      - .actual_access:  write_only
        .address_space:  global
        .offset:         128
        .size:           8
        .value_kind:     global_buffer
      - .address_space:  global
        .offset:         136
        .size:           8
        .value_kind:     global_buffer
      - .offset:         144
        .size:           4
        .value_kind:     by_value
      - .offset:         148
        .size:           4
        .value_kind:     by_value
      - .offset:         152
        .size:           4
        .value_kind:     by_value
      - .offset:         156
        .size:           4
        .value_kind:     by_value
      - .offset:         160
        .size:           1
        .value_kind:     by_value
      - .offset:         161
        .size:           1
        .value_kind:     by_value
      - .offset:         162
        .size:           1
        .value_kind:     by_value
    .group_segment_fixed_size: 18440
    .kernarg_segment_align: 8
    .kernarg_segment_size: 164
    .language:       OpenCL C
    .language_version:
      - 2
      - 0
    .max_flat_workgroup_size: 512
    .name:           _ZN9rocsparseL36csrgemm_fill_block_per_row_multipassILj512ELj16ELj2048ELj64EiidEEvT4_PKS1_S3_NS_24const_host_device_scalarIT5_EEPKT3_S3_PKS5_S9_S3_SB_S6_S9_S3_SB_S9_PS1_PS5_PS7_21rocsparse_index_base_SF_SF_SF_bbb
    .private_segment_fixed_size: 0
    .sgpr_count:     84
    .sgpr_spill_count: 0
    .symbol:         _ZN9rocsparseL36csrgemm_fill_block_per_row_multipassILj512ELj16ELj2048ELj64EiidEEvT4_PKS1_S3_NS_24const_host_device_scalarIT5_EEPKT3_S3_PKS5_S9_S3_SB_S6_S9_S3_SB_S9_PS1_PS5_PS7_21rocsparse_index_base_SF_SF_SF_bbb.kd
    .uniform_work_group_size: 1
    .uses_dynamic_stack: false
    .vgpr_count:     32
    .vgpr_spill_count: 0
    .wavefront_size: 64
  - .agpr_count:     0
    .args:
      - .offset:         0
        .size:           4
        .value_kind:     by_value
      - .actual_access:  read_only
        .address_space:  global
        .offset:         8
        .size:           8
        .value_kind:     global_buffer
      - .actual_access:  write_only
        .address_space:  global
        .offset:         16
        .size:           8
        .value_kind:     global_buffer
      - .actual_access:  write_only
        .address_space:  global
        .offset:         24
        .size:           8
        .value_kind:     global_buffer
      - .offset:         32
        .size:           4
        .value_kind:     by_value
      - .offset:         40
        .size:           4
        .value_kind:     hidden_block_count_x
      - .offset:         44
        .size:           4
        .value_kind:     hidden_block_count_y
      - .offset:         48
        .size:           4
        .value_kind:     hidden_block_count_z
      - .offset:         52
        .size:           2
        .value_kind:     hidden_group_size_x
      - .offset:         54
        .size:           2
        .value_kind:     hidden_group_size_y
      - .offset:         56
        .size:           2
        .value_kind:     hidden_group_size_z
      - .offset:         58
        .size:           2
        .value_kind:     hidden_remainder_x
      - .offset:         60
        .size:           2
        .value_kind:     hidden_remainder_y
      - .offset:         62
        .size:           2
        .value_kind:     hidden_remainder_z
      - .offset:         80
        .size:           8
        .value_kind:     hidden_global_offset_x
      - .offset:         88
        .size:           8
        .value_kind:     hidden_global_offset_y
      - .offset:         96
        .size:           8
        .value_kind:     hidden_global_offset_z
      - .offset:         104
        .size:           2
        .value_kind:     hidden_grid_dims
    .group_segment_fixed_size: 11264
    .kernarg_segment_align: 8
    .kernarg_segment_size: 296
    .language:       OpenCL C
    .language_version:
      - 2
      - 0
    .max_flat_workgroup_size: 256
    .name:           _ZN9rocsparseL26csrgemm_group_reduce_part2ILj256ELj11E21rocsparse_complex_numIfEiiEEvT3_PKT2_PS3_Pij
    .private_segment_fixed_size: 0
    .sgpr_count:     56
    .sgpr_spill_count: 0
    .symbol:         _ZN9rocsparseL26csrgemm_group_reduce_part2ILj256ELj11E21rocsparse_complex_numIfEiiEEvT3_PKT2_PS3_Pij.kd
    .uniform_work_group_size: 1
    .uses_dynamic_stack: false
    .vgpr_count:     22
    .vgpr_spill_count: 0
    .wavefront_size: 64
  - .agpr_count:     0
    .args:
      - .offset:         0
        .size:           4
        .value_kind:     by_value
      - .offset:         4
        .size:           4
        .value_kind:     by_value
      - .actual_access:  read_only
        .address_space:  global
        .offset:         8
        .size:           8
        .value_kind:     global_buffer
      - .actual_access:  read_only
        .address_space:  global
        .offset:         16
        .size:           8
        .value_kind:     global_buffer
      - .offset:         24
        .size:           8
        .value_kind:     by_value
      - .actual_access:  read_only
        .address_space:  global
        .offset:         32
        .size:           8
        .value_kind:     global_buffer
      - .actual_access:  read_only
        .address_space:  global
        .offset:         40
        .size:           8
        .value_kind:     global_buffer
      - .actual_access:  read_only
        .address_space:  global
        .offset:         48
        .size:           8
        .value_kind:     global_buffer
      - .actual_access:  read_only
        .address_space:  global
        .offset:         56
        .size:           8
        .value_kind:     global_buffer
      - .actual_access:  read_only
        .address_space:  global
        .offset:         64
        .size:           8
        .value_kind:     global_buffer
      - .actual_access:  read_only
        .address_space:  global
        .offset:         72
        .size:           8
        .value_kind:     global_buffer
      - .offset:         80
        .size:           8
        .value_kind:     by_value
      - .actual_access:  read_only
        .address_space:  global
        .offset:         88
        .size:           8
        .value_kind:     global_buffer
      - .actual_access:  read_only
        .address_space:  global
        .offset:         96
        .size:           8
        .value_kind:     global_buffer
      - .actual_access:  read_only
        .address_space:  global
        .offset:         104
        .size:           8
        .value_kind:     global_buffer
      - .actual_access:  read_only
        .address_space:  global
        .offset:         112
        .size:           8
        .value_kind:     global_buffer
      - .actual_access:  write_only
        .address_space:  global
        .offset:         120
        .size:           8
        .value_kind:     global_buffer
      - .actual_access:  write_only
        .address_space:  global
        .offset:         128
        .size:           8
        .value_kind:     global_buffer
      - .offset:         136
        .size:           4
        .value_kind:     by_value
      - .offset:         140
        .size:           4
        .value_kind:     by_value
      - .offset:         144
        .size:           4
        .value_kind:     by_value
      - .offset:         148
        .size:           4
        .value_kind:     by_value
      - .offset:         152
        .size:           1
        .value_kind:     by_value
      - .offset:         153
        .size:           1
        .value_kind:     by_value
      - .offset:         154
        .size:           1
        .value_kind:     by_value
    .group_segment_fixed_size: 6144
    .kernarg_segment_align: 8
    .kernarg_segment_size: 156
    .language:       OpenCL C
    .language_version:
      - 2
      - 0
    .max_flat_workgroup_size: 256
    .name:           _ZN9rocsparseL23csrgemm_fill_wf_per_rowILj256ELj8ELj16ELj137Eii21rocsparse_complex_numIfEEEvT4_S3_PKS3_S5_NS_24const_host_device_scalarIT5_EEPKT3_S5_PKS7_SB_S5_SD_S8_SB_S5_SD_SB_PS3_PS7_21rocsparse_index_base_SG_SG_SG_bbb
    .private_segment_fixed_size: 0
    .sgpr_count:     59
    .sgpr_spill_count: 0
    .symbol:         _ZN9rocsparseL23csrgemm_fill_wf_per_rowILj256ELj8ELj16ELj137Eii21rocsparse_complex_numIfEEEvT4_S3_PKS3_S5_NS_24const_host_device_scalarIT5_EEPKT3_S5_PKS7_SB_S5_SD_S8_SB_S5_SD_SB_PS3_PS7_21rocsparse_index_base_SG_SG_SG_bbb.kd
    .uniform_work_group_size: 1
    .uses_dynamic_stack: false
    .vgpr_count:     22
    .vgpr_spill_count: 0
    .wavefront_size: 64
  - .agpr_count:     0
    .args:
      - .offset:         0
        .size:           4
        .value_kind:     by_value
      - .offset:         4
        .size:           4
        .value_kind:     by_value
      - .actual_access:  read_only
        .address_space:  global
        .offset:         8
        .size:           8
        .value_kind:     global_buffer
      - .actual_access:  read_only
        .address_space:  global
        .offset:         16
        .size:           8
        .value_kind:     global_buffer
      - .offset:         24
        .size:           8
        .value_kind:     by_value
      - .actual_access:  read_only
        .address_space:  global
        .offset:         32
        .size:           8
        .value_kind:     global_buffer
      - .actual_access:  read_only
        .address_space:  global
        .offset:         40
        .size:           8
        .value_kind:     global_buffer
      - .actual_access:  read_only
        .address_space:  global
        .offset:         48
        .size:           8
        .value_kind:     global_buffer
      - .actual_access:  read_only
        .address_space:  global
        .offset:         56
        .size:           8
        .value_kind:     global_buffer
      - .actual_access:  read_only
        .address_space:  global
        .offset:         64
        .size:           8
        .value_kind:     global_buffer
      - .actual_access:  read_only
        .address_space:  global
        .offset:         72
        .size:           8
        .value_kind:     global_buffer
      - .offset:         80
        .size:           8
        .value_kind:     by_value
      - .actual_access:  read_only
        .address_space:  global
        .offset:         88
        .size:           8
        .value_kind:     global_buffer
      - .actual_access:  read_only
        .address_space:  global
        .offset:         96
        .size:           8
        .value_kind:     global_buffer
      - .actual_access:  read_only
        .address_space:  global
        .offset:         104
        .size:           8
        .value_kind:     global_buffer
      - .actual_access:  read_only
        .address_space:  global
        .offset:         112
        .size:           8
        .value_kind:     global_buffer
      - .actual_access:  write_only
        .address_space:  global
        .offset:         120
        .size:           8
        .value_kind:     global_buffer
      - .actual_access:  write_only
        .address_space:  global
        .offset:         128
        .size:           8
        .value_kind:     global_buffer
      - .offset:         136
        .size:           4
        .value_kind:     by_value
      - .offset:         140
        .size:           4
        .value_kind:     by_value
      - .offset:         144
        .size:           4
        .value_kind:     by_value
      - .offset:         148
        .size:           4
        .value_kind:     by_value
      - .offset:         152
        .size:           1
        .value_kind:     by_value
      - .offset:         153
        .size:           1
        .value_kind:     by_value
      - .offset:         154
        .size:           1
        .value_kind:     by_value
    .group_segment_fixed_size: 6144
    .kernarg_segment_align: 8
    .kernarg_segment_size: 156
    .language:       OpenCL C
    .language_version:
      - 2
      - 0
    .max_flat_workgroup_size: 256
    .name:           _ZN9rocsparseL23csrgemm_fill_wf_per_rowILj256ELj16ELj32ELj137Eii21rocsparse_complex_numIfEEEvT4_S3_PKS3_S5_NS_24const_host_device_scalarIT5_EEPKT3_S5_PKS7_SB_S5_SD_S8_SB_S5_SD_SB_PS3_PS7_21rocsparse_index_base_SG_SG_SG_bbb
    .private_segment_fixed_size: 0
    .sgpr_count:     59
    .sgpr_spill_count: 0
    .symbol:         _ZN9rocsparseL23csrgemm_fill_wf_per_rowILj256ELj16ELj32ELj137Eii21rocsparse_complex_numIfEEEvT4_S3_PKS3_S5_NS_24const_host_device_scalarIT5_EEPKT3_S5_PKS7_SB_S5_SD_S8_SB_S5_SD_SB_PS3_PS7_21rocsparse_index_base_SG_SG_SG_bbb.kd
    .uniform_work_group_size: 1
    .uses_dynamic_stack: false
    .vgpr_count:     22
    .vgpr_spill_count: 0
    .wavefront_size: 64
  - .agpr_count:     0
    .args:
      - .offset:         0
        .size:           4
        .value_kind:     by_value
      - .actual_access:  read_only
        .address_space:  global
        .offset:         8
        .size:           8
        .value_kind:     global_buffer
      - .actual_access:  read_only
        .address_space:  global
        .offset:         16
        .size:           8
        .value_kind:     global_buffer
      - .offset:         24
        .size:           8
        .value_kind:     by_value
      - .actual_access:  read_only
        .address_space:  global
        .offset:         32
        .size:           8
        .value_kind:     global_buffer
      - .actual_access:  read_only
        .address_space:  global
        .offset:         40
        .size:           8
        .value_kind:     global_buffer
      - .actual_access:  read_only
        .address_space:  global
        .offset:         48
        .size:           8
        .value_kind:     global_buffer
      - .actual_access:  read_only
        .address_space:  global
        .offset:         56
        .size:           8
        .value_kind:     global_buffer
      - .actual_access:  read_only
        .address_space:  global
        .offset:         64
        .size:           8
        .value_kind:     global_buffer
      - .actual_access:  read_only
        .address_space:  global
        .offset:         72
        .size:           8
        .value_kind:     global_buffer
      - .offset:         80
        .size:           8
        .value_kind:     by_value
      - .actual_access:  read_only
        .address_space:  global
        .offset:         88
        .size:           8
        .value_kind:     global_buffer
      - .actual_access:  read_only
        .address_space:  global
        .offset:         96
        .size:           8
        .value_kind:     global_buffer
      - .actual_access:  read_only
        .address_space:  global
        .offset:         104
        .size:           8
        .value_kind:     global_buffer
      - .actual_access:  read_only
        .address_space:  global
        .offset:         112
        .size:           8
        .value_kind:     global_buffer
      - .actual_access:  write_only
        .address_space:  global
        .offset:         120
        .size:           8
        .value_kind:     global_buffer
      - .actual_access:  write_only
        .address_space:  global
        .offset:         128
        .size:           8
        .value_kind:     global_buffer
      - .offset:         136
        .size:           4
        .value_kind:     by_value
      - .offset:         140
        .size:           4
        .value_kind:     by_value
      - .offset:         144
        .size:           4
        .value_kind:     by_value
      - .offset:         148
        .size:           4
        .value_kind:     by_value
      - .offset:         152
        .size:           1
        .value_kind:     by_value
      - .offset:         153
        .size:           1
        .value_kind:     by_value
      - .offset:         154
        .size:           1
        .value_kind:     by_value
    .group_segment_fixed_size: 0
    .kernarg_segment_align: 8
    .kernarg_segment_size: 156
    .language:       OpenCL C
    .language_version:
      - 2
      - 0
    .max_flat_workgroup_size: 128
    .name:           _ZN9rocsparseL26csrgemm_fill_block_per_rowILj128ELj16ELj256ELj137ELj32Eii21rocsparse_complex_numIfEEEvT5_PKS3_S5_NS_24const_host_device_scalarIT6_EEPKT4_S5_PKS7_SB_S5_SD_S8_SB_S5_SD_SB_PS3_PS7_21rocsparse_index_base_SG_SG_SG_bbb
    .private_segment_fixed_size: 0
    .sgpr_count:     63
    .sgpr_spill_count: 0
    .symbol:         _ZN9rocsparseL26csrgemm_fill_block_per_rowILj128ELj16ELj256ELj137ELj32Eii21rocsparse_complex_numIfEEEvT5_PKS3_S5_NS_24const_host_device_scalarIT6_EEPKT4_S5_PKS7_SB_S5_SD_S8_SB_S5_SD_SB_PS3_PS7_21rocsparse_index_base_SG_SG_SG_bbb.kd
    .uniform_work_group_size: 1
    .uses_dynamic_stack: false
    .vgpr_count:     24
    .vgpr_spill_count: 0
    .wavefront_size: 64
  - .agpr_count:     0
    .args:
      - .offset:         0
        .size:           4
        .value_kind:     by_value
      - .actual_access:  read_only
        .address_space:  global
        .offset:         8
        .size:           8
        .value_kind:     global_buffer
      - .actual_access:  read_only
        .address_space:  global
        .offset:         16
        .size:           8
        .value_kind:     global_buffer
      - .offset:         24
        .size:           8
        .value_kind:     by_value
      - .actual_access:  read_only
        .address_space:  global
        .offset:         32
        .size:           8
        .value_kind:     global_buffer
      - .actual_access:  read_only
        .address_space:  global
        .offset:         40
        .size:           8
        .value_kind:     global_buffer
      - .actual_access:  read_only
        .address_space:  global
        .offset:         48
        .size:           8
        .value_kind:     global_buffer
      - .actual_access:  read_only
        .address_space:  global
        .offset:         56
        .size:           8
        .value_kind:     global_buffer
      - .actual_access:  read_only
        .address_space:  global
        .offset:         64
        .size:           8
        .value_kind:     global_buffer
      - .actual_access:  read_only
        .address_space:  global
        .offset:         72
        .size:           8
        .value_kind:     global_buffer
      - .offset:         80
        .size:           8
        .value_kind:     by_value
      - .actual_access:  read_only
        .address_space:  global
        .offset:         88
        .size:           8
        .value_kind:     global_buffer
      - .actual_access:  read_only
        .address_space:  global
        .offset:         96
        .size:           8
        .value_kind:     global_buffer
      - .actual_access:  read_only
        .address_space:  global
        .offset:         104
        .size:           8
        .value_kind:     global_buffer
      - .actual_access:  read_only
        .address_space:  global
        .offset:         112
        .size:           8
        .value_kind:     global_buffer
      - .actual_access:  write_only
        .address_space:  global
        .offset:         120
        .size:           8
        .value_kind:     global_buffer
      - .actual_access:  write_only
        .address_space:  global
        .offset:         128
        .size:           8
        .value_kind:     global_buffer
      - .offset:         136
        .size:           4
        .value_kind:     by_value
      - .offset:         140
        .size:           4
        .value_kind:     by_value
      - .offset:         144
        .size:           4
        .value_kind:     by_value
      - .offset:         148
        .size:           4
        .value_kind:     by_value
      - .offset:         152
        .size:           1
        .value_kind:     by_value
      - .offset:         153
        .size:           1
        .value_kind:     by_value
      - .offset:         154
        .size:           1
        .value_kind:     by_value
    .group_segment_fixed_size: 0
    .kernarg_segment_align: 8
    .kernarg_segment_size: 156
    .language:       OpenCL C
    .language_version:
      - 2
      - 0
    .max_flat_workgroup_size: 128
    .name:           _ZN9rocsparseL26csrgemm_fill_block_per_rowILj128ELj16ELj256ELj137ELj64Eii21rocsparse_complex_numIfEEEvT5_PKS3_S5_NS_24const_host_device_scalarIT6_EEPKT4_S5_PKS7_SB_S5_SD_S8_SB_S5_SD_SB_PS3_PS7_21rocsparse_index_base_SG_SG_SG_bbb
    .private_segment_fixed_size: 0
    .sgpr_count:     63
    .sgpr_spill_count: 0
    .symbol:         _ZN9rocsparseL26csrgemm_fill_block_per_rowILj128ELj16ELj256ELj137ELj64Eii21rocsparse_complex_numIfEEEvT5_PKS3_S5_NS_24const_host_device_scalarIT6_EEPKT4_S5_PKS7_SB_S5_SD_S8_SB_S5_SD_SB_PS3_PS7_21rocsparse_index_base_SG_SG_SG_bbb.kd
    .uniform_work_group_size: 1
    .uses_dynamic_stack: false
    .vgpr_count:     24
    .vgpr_spill_count: 0
    .wavefront_size: 64
  - .agpr_count:     0
    .args:
      - .offset:         0
        .size:           4
        .value_kind:     by_value
      - .actual_access:  read_only
        .address_space:  global
        .offset:         8
        .size:           8
        .value_kind:     global_buffer
      - .actual_access:  read_only
        .address_space:  global
        .offset:         16
        .size:           8
        .value_kind:     global_buffer
      - .offset:         24
        .size:           8
        .value_kind:     by_value
      - .actual_access:  read_only
        .address_space:  global
        .offset:         32
        .size:           8
        .value_kind:     global_buffer
      - .actual_access:  read_only
        .address_space:  global
        .offset:         40
        .size:           8
        .value_kind:     global_buffer
      - .actual_access:  read_only
        .address_space:  global
        .offset:         48
        .size:           8
        .value_kind:     global_buffer
      - .actual_access:  read_only
        .address_space:  global
        .offset:         56
        .size:           8
        .value_kind:     global_buffer
      - .actual_access:  read_only
        .address_space:  global
        .offset:         64
        .size:           8
        .value_kind:     global_buffer
      - .actual_access:  read_only
        .address_space:  global
        .offset:         72
        .size:           8
        .value_kind:     global_buffer
      - .offset:         80
        .size:           8
        .value_kind:     by_value
      - .actual_access:  read_only
        .address_space:  global
        .offset:         88
        .size:           8
        .value_kind:     global_buffer
      - .actual_access:  read_only
        .address_space:  global
        .offset:         96
        .size:           8
        .value_kind:     global_buffer
      - .actual_access:  read_only
        .address_space:  global
        .offset:         104
        .size:           8
        .value_kind:     global_buffer
      - .actual_access:  read_only
        .address_space:  global
        .offset:         112
        .size:           8
        .value_kind:     global_buffer
      - .actual_access:  write_only
        .address_space:  global
        .offset:         120
        .size:           8
        .value_kind:     global_buffer
      - .actual_access:  write_only
        .address_space:  global
        .offset:         128
        .size:           8
        .value_kind:     global_buffer
      - .offset:         136
        .size:           4
        .value_kind:     by_value
      - .offset:         140
        .size:           4
        .value_kind:     by_value
      - .offset:         144
        .size:           4
        .value_kind:     by_value
      - .offset:         148
        .size:           4
        .value_kind:     by_value
      - .offset:         152
        .size:           1
        .value_kind:     by_value
      - .offset:         153
        .size:           1
        .value_kind:     by_value
      - .offset:         154
        .size:           1
        .value_kind:     by_value
    .group_segment_fixed_size: 0
    .kernarg_segment_align: 8
    .kernarg_segment_size: 156
    .language:       OpenCL C
    .language_version:
      - 2
      - 0
    .max_flat_workgroup_size: 256
    .name:           _ZN9rocsparseL26csrgemm_fill_block_per_rowILj256ELj32ELj512ELj137ELj32Eii21rocsparse_complex_numIfEEEvT5_PKS3_S5_NS_24const_host_device_scalarIT6_EEPKT4_S5_PKS7_SB_S5_SD_S8_SB_S5_SD_SB_PS3_PS7_21rocsparse_index_base_SG_SG_SG_bbb
    .private_segment_fixed_size: 0
    .sgpr_count:     63
    .sgpr_spill_count: 0
    .symbol:         _ZN9rocsparseL26csrgemm_fill_block_per_rowILj256ELj32ELj512ELj137ELj32Eii21rocsparse_complex_numIfEEEvT5_PKS3_S5_NS_24const_host_device_scalarIT6_EEPKT4_S5_PKS7_SB_S5_SD_S8_SB_S5_SD_SB_PS3_PS7_21rocsparse_index_base_SG_SG_SG_bbb.kd
    .uniform_work_group_size: 1
    .uses_dynamic_stack: false
    .vgpr_count:     24
    .vgpr_spill_count: 0
    .wavefront_size: 64
  - .agpr_count:     0
    .args:
      - .offset:         0
        .size:           4
        .value_kind:     by_value
      - .actual_access:  read_only
        .address_space:  global
        .offset:         8
        .size:           8
        .value_kind:     global_buffer
      - .actual_access:  read_only
        .address_space:  global
        .offset:         16
        .size:           8
        .value_kind:     global_buffer
      - .offset:         24
        .size:           8
        .value_kind:     by_value
      - .actual_access:  read_only
        .address_space:  global
        .offset:         32
        .size:           8
        .value_kind:     global_buffer
      - .actual_access:  read_only
        .address_space:  global
        .offset:         40
        .size:           8
        .value_kind:     global_buffer
      - .actual_access:  read_only
        .address_space:  global
        .offset:         48
        .size:           8
        .value_kind:     global_buffer
      - .actual_access:  read_only
        .address_space:  global
        .offset:         56
        .size:           8
        .value_kind:     global_buffer
      - .actual_access:  read_only
        .address_space:  global
        .offset:         64
        .size:           8
        .value_kind:     global_buffer
      - .actual_access:  read_only
        .address_space:  global
        .offset:         72
        .size:           8
        .value_kind:     global_buffer
      - .offset:         80
        .size:           8
        .value_kind:     by_value
      - .actual_access:  read_only
        .address_space:  global
        .offset:         88
        .size:           8
        .value_kind:     global_buffer
      - .actual_access:  read_only
        .address_space:  global
        .offset:         96
        .size:           8
        .value_kind:     global_buffer
      - .actual_access:  read_only
        .address_space:  global
        .offset:         104
        .size:           8
        .value_kind:     global_buffer
      - .actual_access:  read_only
        .address_space:  global
        .offset:         112
        .size:           8
        .value_kind:     global_buffer
      - .actual_access:  write_only
        .address_space:  global
        .offset:         120
        .size:           8
        .value_kind:     global_buffer
      - .actual_access:  write_only
        .address_space:  global
        .offset:         128
        .size:           8
        .value_kind:     global_buffer
      - .offset:         136
        .size:           4
        .value_kind:     by_value
      - .offset:         140
        .size:           4
        .value_kind:     by_value
      - .offset:         144
        .size:           4
        .value_kind:     by_value
      - .offset:         148
        .size:           4
        .value_kind:     by_value
      - .offset:         152
        .size:           1
        .value_kind:     by_value
      - .offset:         153
        .size:           1
        .value_kind:     by_value
      - .offset:         154
        .size:           1
        .value_kind:     by_value
    .group_segment_fixed_size: 0
    .kernarg_segment_align: 8
    .kernarg_segment_size: 156
    .language:       OpenCL C
    .language_version:
      - 2
      - 0
    .max_flat_workgroup_size: 256
    .name:           _ZN9rocsparseL26csrgemm_fill_block_per_rowILj256ELj32ELj512ELj137ELj64Eii21rocsparse_complex_numIfEEEvT5_PKS3_S5_NS_24const_host_device_scalarIT6_EEPKT4_S5_PKS7_SB_S5_SD_S8_SB_S5_SD_SB_PS3_PS7_21rocsparse_index_base_SG_SG_SG_bbb
    .private_segment_fixed_size: 0
    .sgpr_count:     63
    .sgpr_spill_count: 0
    .symbol:         _ZN9rocsparseL26csrgemm_fill_block_per_rowILj256ELj32ELj512ELj137ELj64Eii21rocsparse_complex_numIfEEEvT5_PKS3_S5_NS_24const_host_device_scalarIT6_EEPKT4_S5_PKS7_SB_S5_SD_S8_SB_S5_SD_SB_PS3_PS7_21rocsparse_index_base_SG_SG_SG_bbb.kd
    .uniform_work_group_size: 1
    .uses_dynamic_stack: false
    .vgpr_count:     24
    .vgpr_spill_count: 0
    .wavefront_size: 64
  - .agpr_count:     0
    .args:
      - .offset:         0
        .size:           4
        .value_kind:     by_value
      - .actual_access:  read_only
        .address_space:  global
        .offset:         8
        .size:           8
        .value_kind:     global_buffer
      - .actual_access:  read_only
        .address_space:  global
        .offset:         16
        .size:           8
        .value_kind:     global_buffer
      - .offset:         24
        .size:           8
        .value_kind:     by_value
      - .actual_access:  read_only
        .address_space:  global
        .offset:         32
        .size:           8
        .value_kind:     global_buffer
      - .actual_access:  read_only
        .address_space:  global
        .offset:         40
        .size:           8
        .value_kind:     global_buffer
      - .actual_access:  read_only
        .address_space:  global
        .offset:         48
        .size:           8
        .value_kind:     global_buffer
      - .actual_access:  read_only
        .address_space:  global
        .offset:         56
        .size:           8
        .value_kind:     global_buffer
      - .actual_access:  read_only
        .address_space:  global
        .offset:         64
        .size:           8
        .value_kind:     global_buffer
      - .actual_access:  read_only
        .address_space:  global
        .offset:         72
        .size:           8
        .value_kind:     global_buffer
      - .offset:         80
        .size:           8
        .value_kind:     by_value
      - .actual_access:  read_only
        .address_space:  global
        .offset:         88
        .size:           8
        .value_kind:     global_buffer
      - .actual_access:  read_only
        .address_space:  global
        .offset:         96
        .size:           8
        .value_kind:     global_buffer
      - .actual_access:  read_only
        .address_space:  global
        .offset:         104
        .size:           8
        .value_kind:     global_buffer
      - .actual_access:  read_only
        .address_space:  global
        .offset:         112
        .size:           8
        .value_kind:     global_buffer
      - .actual_access:  write_only
        .address_space:  global
        .offset:         120
        .size:           8
        .value_kind:     global_buffer
      - .actual_access:  write_only
        .address_space:  global
        .offset:         128
        .size:           8
        .value_kind:     global_buffer
      - .offset:         136
        .size:           4
        .value_kind:     by_value
      - .offset:         140
        .size:           4
        .value_kind:     by_value
      - .offset:         144
        .size:           4
        .value_kind:     by_value
      - .offset:         148
        .size:           4
        .value_kind:     by_value
      - .offset:         152
        .size:           1
        .value_kind:     by_value
      - .offset:         153
        .size:           1
        .value_kind:     by_value
      - .offset:         154
        .size:           1
        .value_kind:     by_value
    .group_segment_fixed_size: 0
    .kernarg_segment_align: 8
    .kernarg_segment_size: 156
    .language:       OpenCL C
    .language_version:
      - 2
      - 0
    .max_flat_workgroup_size: 512
    .name:           _ZN9rocsparseL26csrgemm_fill_block_per_rowILj512ELj32ELj1024ELj137ELj32Eii21rocsparse_complex_numIfEEEvT5_PKS3_S5_NS_24const_host_device_scalarIT6_EEPKT4_S5_PKS7_SB_S5_SD_S8_SB_S5_SD_SB_PS3_PS7_21rocsparse_index_base_SG_SG_SG_bbb
    .private_segment_fixed_size: 0
    .sgpr_count:     61
    .sgpr_spill_count: 0
    .symbol:         _ZN9rocsparseL26csrgemm_fill_block_per_rowILj512ELj32ELj1024ELj137ELj32Eii21rocsparse_complex_numIfEEEvT5_PKS3_S5_NS_24const_host_device_scalarIT6_EEPKT4_S5_PKS7_SB_S5_SD_S8_SB_S5_SD_SB_PS3_PS7_21rocsparse_index_base_SG_SG_SG_bbb.kd
    .uniform_work_group_size: 1
    .uses_dynamic_stack: false
    .vgpr_count:     24
    .vgpr_spill_count: 0
    .wavefront_size: 64
  - .agpr_count:     0
    .args:
      - .offset:         0
        .size:           4
        .value_kind:     by_value
      - .actual_access:  read_only
        .address_space:  global
        .offset:         8
        .size:           8
        .value_kind:     global_buffer
      - .actual_access:  read_only
        .address_space:  global
        .offset:         16
        .size:           8
        .value_kind:     global_buffer
      - .offset:         24
        .size:           8
        .value_kind:     by_value
      - .actual_access:  read_only
        .address_space:  global
        .offset:         32
        .size:           8
        .value_kind:     global_buffer
      - .actual_access:  read_only
        .address_space:  global
        .offset:         40
        .size:           8
        .value_kind:     global_buffer
      - .actual_access:  read_only
        .address_space:  global
        .offset:         48
        .size:           8
        .value_kind:     global_buffer
      - .actual_access:  read_only
        .address_space:  global
        .offset:         56
        .size:           8
        .value_kind:     global_buffer
      - .actual_access:  read_only
        .address_space:  global
        .offset:         64
        .size:           8
        .value_kind:     global_buffer
      - .actual_access:  read_only
        .address_space:  global
        .offset:         72
        .size:           8
        .value_kind:     global_buffer
      - .offset:         80
        .size:           8
        .value_kind:     by_value
      - .actual_access:  read_only
        .address_space:  global
        .offset:         88
        .size:           8
        .value_kind:     global_buffer
      - .actual_access:  read_only
        .address_space:  global
        .offset:         96
        .size:           8
        .value_kind:     global_buffer
      - .actual_access:  read_only
        .address_space:  global
        .offset:         104
        .size:           8
        .value_kind:     global_buffer
      - .actual_access:  read_only
        .address_space:  global
        .offset:         112
        .size:           8
        .value_kind:     global_buffer
      - .actual_access:  write_only
        .address_space:  global
        .offset:         120
        .size:           8
        .value_kind:     global_buffer
      - .actual_access:  write_only
        .address_space:  global
        .offset:         128
        .size:           8
        .value_kind:     global_buffer
      - .offset:         136
        .size:           4
        .value_kind:     by_value
      - .offset:         140
        .size:           4
        .value_kind:     by_value
      - .offset:         144
        .size:           4
        .value_kind:     by_value
      - .offset:         148
        .size:           4
        .value_kind:     by_value
      - .offset:         152
        .size:           1
        .value_kind:     by_value
      - .offset:         153
        .size:           1
        .value_kind:     by_value
      - .offset:         154
        .size:           1
        .value_kind:     by_value
    .group_segment_fixed_size: 0
    .kernarg_segment_align: 8
    .kernarg_segment_size: 156
    .language:       OpenCL C
    .language_version:
      - 2
      - 0
    .max_flat_workgroup_size: 512
    .name:           _ZN9rocsparseL26csrgemm_fill_block_per_rowILj512ELj32ELj1024ELj137ELj64Eii21rocsparse_complex_numIfEEEvT5_PKS3_S5_NS_24const_host_device_scalarIT6_EEPKT4_S5_PKS7_SB_S5_SD_S8_SB_S5_SD_SB_PS3_PS7_21rocsparse_index_base_SG_SG_SG_bbb
    .private_segment_fixed_size: 0
    .sgpr_count:     61
    .sgpr_spill_count: 0
    .symbol:         _ZN9rocsparseL26csrgemm_fill_block_per_rowILj512ELj32ELj1024ELj137ELj64Eii21rocsparse_complex_numIfEEEvT5_PKS3_S5_NS_24const_host_device_scalarIT6_EEPKT4_S5_PKS7_SB_S5_SD_S8_SB_S5_SD_SB_PS3_PS7_21rocsparse_index_base_SG_SG_SG_bbb.kd
    .uniform_work_group_size: 1
    .uses_dynamic_stack: false
    .vgpr_count:     24
    .vgpr_spill_count: 0
    .wavefront_size: 64
  - .agpr_count:     0
    .args:
      - .offset:         0
        .size:           4
        .value_kind:     by_value
      - .actual_access:  read_only
        .address_space:  global
        .offset:         8
        .size:           8
        .value_kind:     global_buffer
      - .actual_access:  read_only
        .address_space:  global
        .offset:         16
        .size:           8
        .value_kind:     global_buffer
      - .offset:         24
        .size:           8
        .value_kind:     by_value
      - .actual_access:  read_only
        .address_space:  global
        .offset:         32
        .size:           8
        .value_kind:     global_buffer
      - .actual_access:  read_only
        .address_space:  global
        .offset:         40
        .size:           8
        .value_kind:     global_buffer
      - .actual_access:  read_only
        .address_space:  global
        .offset:         48
        .size:           8
        .value_kind:     global_buffer
      - .actual_access:  read_only
        .address_space:  global
        .offset:         56
        .size:           8
        .value_kind:     global_buffer
      - .actual_access:  read_only
        .address_space:  global
        .offset:         64
        .size:           8
        .value_kind:     global_buffer
      - .actual_access:  read_only
        .address_space:  global
        .offset:         72
        .size:           8
        .value_kind:     global_buffer
      - .offset:         80
        .size:           8
        .value_kind:     by_value
      - .actual_access:  read_only
        .address_space:  global
        .offset:         88
        .size:           8
        .value_kind:     global_buffer
      - .actual_access:  read_only
        .address_space:  global
        .offset:         96
        .size:           8
        .value_kind:     global_buffer
      - .actual_access:  read_only
        .address_space:  global
        .offset:         104
        .size:           8
        .value_kind:     global_buffer
      - .actual_access:  read_only
        .address_space:  global
        .offset:         112
        .size:           8
        .value_kind:     global_buffer
      - .actual_access:  write_only
        .address_space:  global
        .offset:         120
        .size:           8
        .value_kind:     global_buffer
      - .actual_access:  write_only
        .address_space:  global
        .offset:         128
        .size:           8
        .value_kind:     global_buffer
      - .offset:         136
        .size:           4
        .value_kind:     by_value
      - .offset:         140
        .size:           4
        .value_kind:     by_value
      - .offset:         144
        .size:           4
        .value_kind:     by_value
      - .offset:         148
        .size:           4
        .value_kind:     by_value
      - .offset:         152
        .size:           1
        .value_kind:     by_value
      - .offset:         153
        .size:           1
        .value_kind:     by_value
      - .offset:         154
        .size:           1
        .value_kind:     by_value
    .group_segment_fixed_size: 0
    .kernarg_segment_align: 8
    .kernarg_segment_size: 156
    .language:       OpenCL C
    .language_version:
      - 2
      - 0
    .max_flat_workgroup_size: 1024
    .name:           _ZN9rocsparseL26csrgemm_fill_block_per_rowILj1024ELj32ELj2048ELj137ELj32Eii21rocsparse_complex_numIfEEEvT5_PKS3_S5_NS_24const_host_device_scalarIT6_EEPKT4_S5_PKS7_SB_S5_SD_S8_SB_S5_SD_SB_PS3_PS7_21rocsparse_index_base_SG_SG_SG_bbb
    .private_segment_fixed_size: 0
    .sgpr_count:     84
    .sgpr_spill_count: 0
    .symbol:         _ZN9rocsparseL26csrgemm_fill_block_per_rowILj1024ELj32ELj2048ELj137ELj32Eii21rocsparse_complex_numIfEEEvT5_PKS3_S5_NS_24const_host_device_scalarIT6_EEPKT4_S5_PKS7_SB_S5_SD_S8_SB_S5_SD_SB_PS3_PS7_21rocsparse_index_base_SG_SG_SG_bbb.kd
    .uniform_work_group_size: 1
    .uses_dynamic_stack: false
    .vgpr_count:     24
    .vgpr_spill_count: 0
    .wavefront_size: 64
  - .agpr_count:     0
    .args:
      - .offset:         0
        .size:           4
        .value_kind:     by_value
      - .actual_access:  read_only
        .address_space:  global
        .offset:         8
        .size:           8
        .value_kind:     global_buffer
      - .actual_access:  read_only
        .address_space:  global
        .offset:         16
        .size:           8
        .value_kind:     global_buffer
      - .offset:         24
        .size:           8
        .value_kind:     by_value
      - .actual_access:  read_only
        .address_space:  global
        .offset:         32
        .size:           8
        .value_kind:     global_buffer
      - .actual_access:  read_only
        .address_space:  global
        .offset:         40
        .size:           8
        .value_kind:     global_buffer
      - .actual_access:  read_only
        .address_space:  global
        .offset:         48
        .size:           8
        .value_kind:     global_buffer
      - .actual_access:  read_only
        .address_space:  global
        .offset:         56
        .size:           8
        .value_kind:     global_buffer
      - .actual_access:  read_only
        .address_space:  global
        .offset:         64
        .size:           8
        .value_kind:     global_buffer
      - .actual_access:  read_only
        .address_space:  global
        .offset:         72
        .size:           8
        .value_kind:     global_buffer
      - .offset:         80
        .size:           8
        .value_kind:     by_value
      - .actual_access:  read_only
        .address_space:  global
        .offset:         88
        .size:           8
        .value_kind:     global_buffer
      - .actual_access:  read_only
        .address_space:  global
        .offset:         96
        .size:           8
        .value_kind:     global_buffer
      - .actual_access:  read_only
        .address_space:  global
        .offset:         104
        .size:           8
        .value_kind:     global_buffer
      - .actual_access:  read_only
        .address_space:  global
        .offset:         112
        .size:           8
        .value_kind:     global_buffer
      - .actual_access:  write_only
        .address_space:  global
        .offset:         120
        .size:           8
        .value_kind:     global_buffer
      - .actual_access:  write_only
        .address_space:  global
        .offset:         128
        .size:           8
        .value_kind:     global_buffer
      - .offset:         136
        .size:           4
        .value_kind:     by_value
      - .offset:         140
        .size:           4
        .value_kind:     by_value
      - .offset:         144
        .size:           4
        .value_kind:     by_value
      - .offset:         148
        .size:           4
        .value_kind:     by_value
      - .offset:         152
        .size:           1
        .value_kind:     by_value
      - .offset:         153
        .size:           1
        .value_kind:     by_value
      - .offset:         154
        .size:           1
        .value_kind:     by_value
    .group_segment_fixed_size: 0
    .kernarg_segment_align: 8
    .kernarg_segment_size: 156
    .language:       OpenCL C
    .language_version:
      - 2
      - 0
    .max_flat_workgroup_size: 1024
    .name:           _ZN9rocsparseL26csrgemm_fill_block_per_rowILj1024ELj32ELj2048ELj137ELj64Eii21rocsparse_complex_numIfEEEvT5_PKS3_S5_NS_24const_host_device_scalarIT6_EEPKT4_S5_PKS7_SB_S5_SD_S8_SB_S5_SD_SB_PS3_PS7_21rocsparse_index_base_SG_SG_SG_bbb
    .private_segment_fixed_size: 0
    .sgpr_count:     61
    .sgpr_spill_count: 0
    .symbol:         _ZN9rocsparseL26csrgemm_fill_block_per_rowILj1024ELj32ELj2048ELj137ELj64Eii21rocsparse_complex_numIfEEEvT5_PKS3_S5_NS_24const_host_device_scalarIT6_EEPKT4_S5_PKS7_SB_S5_SD_S8_SB_S5_SD_SB_PS3_PS7_21rocsparse_index_base_SG_SG_SG_bbb.kd
    .uniform_work_group_size: 1
    .uses_dynamic_stack: false
    .vgpr_count:     24
    .vgpr_spill_count: 0
    .wavefront_size: 64
  - .agpr_count:     0
    .args:
      - .offset:         0
        .size:           4
        .value_kind:     by_value
      - .actual_access:  read_only
        .address_space:  global
        .offset:         8
        .size:           8
        .value_kind:     global_buffer
      - .actual_access:  read_only
        .address_space:  global
        .offset:         16
        .size:           8
        .value_kind:     global_buffer
      - .offset:         24
        .size:           8
        .value_kind:     by_value
      - .actual_access:  read_only
        .address_space:  global
        .offset:         32
        .size:           8
        .value_kind:     global_buffer
      - .actual_access:  read_only
        .address_space:  global
        .offset:         40
        .size:           8
        .value_kind:     global_buffer
      - .actual_access:  read_only
        .address_space:  global
        .offset:         48
        .size:           8
        .value_kind:     global_buffer
      - .actual_access:  read_only
        .address_space:  global
        .offset:         56
        .size:           8
        .value_kind:     global_buffer
      - .actual_access:  read_only
        .address_space:  global
        .offset:         64
        .size:           8
        .value_kind:     global_buffer
      - .actual_access:  read_only
        .address_space:  global
        .offset:         72
        .size:           8
        .value_kind:     global_buffer
      - .offset:         80
        .size:           8
        .value_kind:     by_value
      - .actual_access:  read_only
        .address_space:  global
        .offset:         88
        .size:           8
        .value_kind:     global_buffer
      - .actual_access:  read_only
        .address_space:  global
        .offset:         96
        .size:           8
        .value_kind:     global_buffer
      - .actual_access:  read_only
        .address_space:  global
        .offset:         104
        .size:           8
        .value_kind:     global_buffer
      - .actual_access:  read_only
        .address_space:  global
        .offset:         112
        .size:           8
        .value_kind:     global_buffer
      - .actual_access:  write_only
        .address_space:  global
        .offset:         120
        .size:           8
        .value_kind:     global_buffer
      - .actual_access:  write_only
        .address_space:  global
        .offset:         128
        .size:           8
        .value_kind:     global_buffer
      - .offset:         136
        .size:           4
        .value_kind:     by_value
      - .offset:         140
        .size:           4
        .value_kind:     by_value
      - .offset:         144
        .size:           4
        .value_kind:     by_value
      - .offset:         148
        .size:           4
        .value_kind:     by_value
      - .offset:         152
        .size:           1
        .value_kind:     by_value
      - .offset:         153
        .size:           1
        .value_kind:     by_value
      - .offset:         154
        .size:           1
        .value_kind:     by_value
    .group_segment_fixed_size: 0
    .kernarg_segment_align: 8
    .kernarg_segment_size: 156
    .language:       OpenCL C
    .language_version:
      - 2
      - 0
    .max_flat_workgroup_size: 1024
    .name:           _ZN9rocsparseL26csrgemm_fill_block_per_rowILj1024ELj64ELj4096ELj137ELj32Eii21rocsparse_complex_numIfEEEvT5_PKS3_S5_NS_24const_host_device_scalarIT6_EEPKT4_S5_PKS7_SB_S5_SD_S8_SB_S5_SD_SB_PS3_PS7_21rocsparse_index_base_SG_SG_SG_bbb
    .private_segment_fixed_size: 0
    .sgpr_count:     84
    .sgpr_spill_count: 0
    .symbol:         _ZN9rocsparseL26csrgemm_fill_block_per_rowILj1024ELj64ELj4096ELj137ELj32Eii21rocsparse_complex_numIfEEEvT5_PKS3_S5_NS_24const_host_device_scalarIT6_EEPKT4_S5_PKS7_SB_S5_SD_S8_SB_S5_SD_SB_PS3_PS7_21rocsparse_index_base_SG_SG_SG_bbb.kd
    .uniform_work_group_size: 1
    .uses_dynamic_stack: false
    .vgpr_count:     24
    .vgpr_spill_count: 0
    .wavefront_size: 64
  - .agpr_count:     0
    .args:
      - .offset:         0
        .size:           4
        .value_kind:     by_value
      - .actual_access:  read_only
        .address_space:  global
        .offset:         8
        .size:           8
        .value_kind:     global_buffer
      - .actual_access:  read_only
        .address_space:  global
        .offset:         16
        .size:           8
        .value_kind:     global_buffer
      - .offset:         24
        .size:           8
        .value_kind:     by_value
      - .actual_access:  read_only
        .address_space:  global
        .offset:         32
        .size:           8
        .value_kind:     global_buffer
      - .actual_access:  read_only
        .address_space:  global
        .offset:         40
        .size:           8
        .value_kind:     global_buffer
      - .actual_access:  read_only
        .address_space:  global
        .offset:         48
        .size:           8
        .value_kind:     global_buffer
      - .actual_access:  read_only
        .address_space:  global
        .offset:         56
        .size:           8
        .value_kind:     global_buffer
      - .actual_access:  read_only
        .address_space:  global
        .offset:         64
        .size:           8
        .value_kind:     global_buffer
      - .actual_access:  read_only
        .address_space:  global
        .offset:         72
        .size:           8
        .value_kind:     global_buffer
      - .offset:         80
        .size:           8
        .value_kind:     by_value
      - .actual_access:  read_only
        .address_space:  global
        .offset:         88
        .size:           8
        .value_kind:     global_buffer
      - .actual_access:  read_only
        .address_space:  global
        .offset:         96
        .size:           8
        .value_kind:     global_buffer
      - .actual_access:  read_only
        .address_space:  global
        .offset:         104
        .size:           8
        .value_kind:     global_buffer
      - .actual_access:  read_only
        .address_space:  global
        .offset:         112
        .size:           8
        .value_kind:     global_buffer
      - .actual_access:  write_only
        .address_space:  global
        .offset:         120
        .size:           8
        .value_kind:     global_buffer
      - .actual_access:  write_only
        .address_space:  global
        .offset:         128
        .size:           8
        .value_kind:     global_buffer
      - .offset:         136
        .size:           4
        .value_kind:     by_value
      - .offset:         140
        .size:           4
        .value_kind:     by_value
      - .offset:         144
        .size:           4
        .value_kind:     by_value
      - .offset:         148
        .size:           4
        .value_kind:     by_value
      - .offset:         152
        .size:           1
        .value_kind:     by_value
      - .offset:         153
        .size:           1
        .value_kind:     by_value
      - .offset:         154
        .size:           1
        .value_kind:     by_value
    .group_segment_fixed_size: 0
    .kernarg_segment_align: 8
    .kernarg_segment_size: 156
    .language:       OpenCL C
    .language_version:
      - 2
      - 0
    .max_flat_workgroup_size: 1024
    .name:           _ZN9rocsparseL26csrgemm_fill_block_per_rowILj1024ELj64ELj4096ELj137ELj64Eii21rocsparse_complex_numIfEEEvT5_PKS3_S5_NS_24const_host_device_scalarIT6_EEPKT4_S5_PKS7_SB_S5_SD_S8_SB_S5_SD_SB_PS3_PS7_21rocsparse_index_base_SG_SG_SG_bbb
    .private_segment_fixed_size: 0
    .sgpr_count:     61
    .sgpr_spill_count: 0
    .symbol:         _ZN9rocsparseL26csrgemm_fill_block_per_rowILj1024ELj64ELj4096ELj137ELj64Eii21rocsparse_complex_numIfEEEvT5_PKS3_S5_NS_24const_host_device_scalarIT6_EEPKT4_S5_PKS7_SB_S5_SD_S8_SB_S5_SD_SB_PS3_PS7_21rocsparse_index_base_SG_SG_SG_bbb.kd
    .uniform_work_group_size: 1
    .uses_dynamic_stack: false
    .vgpr_count:     24
    .vgpr_spill_count: 0
    .wavefront_size: 64
  - .agpr_count:     0
    .args:
      - .offset:         0
        .size:           4
        .value_kind:     by_value
      - .actual_access:  read_only
        .address_space:  global
        .offset:         8
        .size:           8
        .value_kind:     global_buffer
      - .actual_access:  read_only
        .address_space:  global
        .offset:         16
        .size:           8
        .value_kind:     global_buffer
      - .offset:         24
        .size:           8
        .value_kind:     by_value
      - .actual_access:  read_only
        .address_space:  global
        .offset:         32
        .size:           8
        .value_kind:     global_buffer
      - .actual_access:  read_only
        .address_space:  global
        .offset:         40
        .size:           8
        .value_kind:     global_buffer
      - .actual_access:  read_only
        .address_space:  global
        .offset:         48
        .size:           8
        .value_kind:     global_buffer
      - .actual_access:  read_only
        .address_space:  global
        .offset:         56
        .size:           8
        .value_kind:     global_buffer
      - .actual_access:  read_only
        .address_space:  global
        .offset:         64
        .size:           8
        .value_kind:     global_buffer
      - .actual_access:  read_only
        .address_space:  global
        .offset:         72
        .size:           8
        .value_kind:     global_buffer
      - .offset:         80
        .size:           8
        .value_kind:     by_value
      - .actual_access:  read_only
        .address_space:  global
        .offset:         88
        .size:           8
        .value_kind:     global_buffer
      - .actual_access:  read_only
        .address_space:  global
        .offset:         96
        .size:           8
        .value_kind:     global_buffer
      - .actual_access:  read_only
        .address_space:  global
        .offset:         104
        .size:           8
        .value_kind:     global_buffer
      - .actual_access:  read_only
        .address_space:  global
        .offset:         112
        .size:           8
        .value_kind:     global_buffer
      - .actual_access:  write_only
        .address_space:  global
        .offset:         120
        .size:           8
        .value_kind:     global_buffer
      - .actual_access:  write_only
        .address_space:  global
        .offset:         128
        .size:           8
        .value_kind:     global_buffer
      - .offset:         136
        .size:           4
        .value_kind:     by_value
      - .offset:         140
        .size:           4
        .value_kind:     by_value
      - .offset:         144
        .size:           4
        .value_kind:     by_value
      - .offset:         148
        .size:           4
        .value_kind:     by_value
      - .offset:         152
        .size:           1
        .value_kind:     by_value
      - .offset:         153
        .size:           1
        .value_kind:     by_value
      - .offset:         154
        .size:           1
        .value_kind:     by_value
    .group_segment_fixed_size: 0
    .kernarg_segment_align: 8
    .kernarg_segment_size: 156
    .language:       OpenCL C
    .language_version:
      - 2
      - 0
    .max_flat_workgroup_size: 1024
    .name:           _ZN9rocsparseL26csrgemm_fill_block_per_rowILj1024ELj64ELj8192ELj137ELj32Eii21rocsparse_complex_numIfEEEvT5_PKS3_S5_NS_24const_host_device_scalarIT6_EEPKT4_S5_PKS7_SB_S5_SD_S8_SB_S5_SD_SB_PS3_PS7_21rocsparse_index_base_SG_SG_SG_bbb
    .private_segment_fixed_size: 0
    .sgpr_count:     100
    .sgpr_spill_count: 22
    .symbol:         _ZN9rocsparseL26csrgemm_fill_block_per_rowILj1024ELj64ELj8192ELj137ELj32Eii21rocsparse_complex_numIfEEEvT5_PKS3_S5_NS_24const_host_device_scalarIT6_EEPKT4_S5_PKS7_SB_S5_SD_S8_SB_S5_SD_SB_PS3_PS7_21rocsparse_index_base_SG_SG_SG_bbb.kd
    .uniform_work_group_size: 1
    .uses_dynamic_stack: false
    .vgpr_count:     25
    .vgpr_spill_count: 0
    .wavefront_size: 64
  - .agpr_count:     0
    .args:
      - .offset:         0
        .size:           4
        .value_kind:     by_value
      - .actual_access:  read_only
        .address_space:  global
        .offset:         8
        .size:           8
        .value_kind:     global_buffer
      - .actual_access:  read_only
        .address_space:  global
        .offset:         16
        .size:           8
        .value_kind:     global_buffer
      - .offset:         24
        .size:           8
        .value_kind:     by_value
      - .actual_access:  read_only
        .address_space:  global
        .offset:         32
        .size:           8
        .value_kind:     global_buffer
      - .actual_access:  read_only
        .address_space:  global
        .offset:         40
        .size:           8
        .value_kind:     global_buffer
      - .actual_access:  read_only
        .address_space:  global
        .offset:         48
        .size:           8
        .value_kind:     global_buffer
      - .actual_access:  read_only
        .address_space:  global
        .offset:         56
        .size:           8
        .value_kind:     global_buffer
      - .actual_access:  read_only
        .address_space:  global
        .offset:         64
        .size:           8
        .value_kind:     global_buffer
      - .actual_access:  read_only
        .address_space:  global
        .offset:         72
        .size:           8
        .value_kind:     global_buffer
      - .offset:         80
        .size:           8
        .value_kind:     by_value
      - .actual_access:  read_only
        .address_space:  global
        .offset:         88
        .size:           8
        .value_kind:     global_buffer
      - .actual_access:  read_only
        .address_space:  global
        .offset:         96
        .size:           8
        .value_kind:     global_buffer
      - .actual_access:  read_only
        .address_space:  global
        .offset:         104
        .size:           8
        .value_kind:     global_buffer
      - .actual_access:  read_only
        .address_space:  global
        .offset:         112
        .size:           8
        .value_kind:     global_buffer
      - .actual_access:  write_only
        .address_space:  global
        .offset:         120
        .size:           8
        .value_kind:     global_buffer
      - .actual_access:  write_only
        .address_space:  global
        .offset:         128
        .size:           8
        .value_kind:     global_buffer
      - .offset:         136
        .size:           4
        .value_kind:     by_value
      - .offset:         140
        .size:           4
        .value_kind:     by_value
      - .offset:         144
        .size:           4
        .value_kind:     by_value
      - .offset:         148
        .size:           4
        .value_kind:     by_value
      - .offset:         152
        .size:           1
        .value_kind:     by_value
      - .offset:         153
        .size:           1
        .value_kind:     by_value
      - .offset:         154
        .size:           1
        .value_kind:     by_value
    .group_segment_fixed_size: 0
    .kernarg_segment_align: 8
    .kernarg_segment_size: 156
    .language:       OpenCL C
    .language_version:
      - 2
      - 0
    .max_flat_workgroup_size: 1024
    .name:           _ZN9rocsparseL26csrgemm_fill_block_per_rowILj1024ELj64ELj8192ELj137ELj64Eii21rocsparse_complex_numIfEEEvT5_PKS3_S5_NS_24const_host_device_scalarIT6_EEPKT4_S5_PKS7_SB_S5_SD_S8_SB_S5_SD_SB_PS3_PS7_21rocsparse_index_base_SG_SG_SG_bbb
    .private_segment_fixed_size: 0
    .sgpr_count:     67
    .sgpr_spill_count: 0
    .symbol:         _ZN9rocsparseL26csrgemm_fill_block_per_rowILj1024ELj64ELj8192ELj137ELj64Eii21rocsparse_complex_numIfEEEvT5_PKS3_S5_NS_24const_host_device_scalarIT6_EEPKT4_S5_PKS7_SB_S5_SD_S8_SB_S5_SD_SB_PS3_PS7_21rocsparse_index_base_SG_SG_SG_bbb.kd
    .uniform_work_group_size: 1
    .uses_dynamic_stack: false
    .vgpr_count:     24
    .vgpr_spill_count: 0
    .wavefront_size: 64
  - .agpr_count:     0
    .args:
      - .offset:         0
        .size:           4
        .value_kind:     by_value
      - .actual_access:  read_only
        .address_space:  global
        .offset:         8
        .size:           8
        .value_kind:     global_buffer
      - .actual_access:  read_only
        .address_space:  global
        .offset:         16
        .size:           8
        .value_kind:     global_buffer
      - .offset:         24
        .size:           8
        .value_kind:     by_value
      - .actual_access:  read_only
        .address_space:  global
        .offset:         32
        .size:           8
        .value_kind:     global_buffer
      - .actual_access:  read_only
        .address_space:  global
        .offset:         40
        .size:           8
        .value_kind:     global_buffer
      - .actual_access:  read_only
        .address_space:  global
        .offset:         48
        .size:           8
        .value_kind:     global_buffer
      - .actual_access:  read_only
        .address_space:  global
        .offset:         56
        .size:           8
        .value_kind:     global_buffer
      - .actual_access:  read_only
        .address_space:  global
        .offset:         64
        .size:           8
        .value_kind:     global_buffer
      - .actual_access:  read_only
        .address_space:  global
        .offset:         72
        .size:           8
        .value_kind:     global_buffer
      - .offset:         80
        .size:           8
        .value_kind:     by_value
      - .actual_access:  read_only
        .address_space:  global
        .offset:         88
        .size:           8
        .value_kind:     global_buffer
      - .actual_access:  read_only
        .address_space:  global
        .offset:         96
        .size:           8
        .value_kind:     global_buffer
      - .actual_access:  read_only
        .address_space:  global
        .offset:         104
        .size:           8
        .value_kind:     global_buffer
      - .actual_access:  read_only
        .address_space:  global
        .offset:         112
        .size:           8
        .value_kind:     global_buffer
      - .actual_access:  write_only
        .address_space:  global
        .offset:         120
        .size:           8
        .value_kind:     global_buffer
      - .actual_access:  write_only
        .address_space:  global
        .offset:         128
        .size:           8
        .value_kind:     global_buffer
      - .offset:         136
        .size:           4
        .value_kind:     by_value
      - .offset:         140
        .size:           4
        .value_kind:     by_value
      - .offset:         144
        .size:           4
        .value_kind:     by_value
      - .offset:         148
        .size:           4
        .value_kind:     by_value
      - .offset:         152
        .size:           1
        .value_kind:     by_value
      - .offset:         153
        .size:           1
        .value_kind:     by_value
      - .offset:         154
        .size:           1
        .value_kind:     by_value
    .group_segment_fixed_size: 0
    .kernarg_segment_align: 8
    .kernarg_segment_size: 156
    .language:       OpenCL C
    .language_version:
      - 2
      - 0
    .max_flat_workgroup_size: 1024
    .name:           _ZN9rocsparseL26csrgemm_fill_block_per_rowILj1024ELj64ELj16384ELj137ELj32Eii21rocsparse_complex_numIfEEEvT5_PKS3_S5_NS_24const_host_device_scalarIT6_EEPKT4_S5_PKS7_SB_S5_SD_S8_SB_S5_SD_SB_PS3_PS7_21rocsparse_index_base_SG_SG_SG_bbb
    .private_segment_fixed_size: 0
    .sgpr_count:     100
    .sgpr_spill_count: 22
    .symbol:         _ZN9rocsparseL26csrgemm_fill_block_per_rowILj1024ELj64ELj16384ELj137ELj32Eii21rocsparse_complex_numIfEEEvT5_PKS3_S5_NS_24const_host_device_scalarIT6_EEPKT4_S5_PKS7_SB_S5_SD_S8_SB_S5_SD_SB_PS3_PS7_21rocsparse_index_base_SG_SG_SG_bbb.kd
    .uniform_work_group_size: 1
    .uses_dynamic_stack: false
    .vgpr_count:     25
    .vgpr_spill_count: 0
    .wavefront_size: 64
  - .agpr_count:     0
    .args:
      - .offset:         0
        .size:           4
        .value_kind:     by_value
      - .actual_access:  read_only
        .address_space:  global
        .offset:         8
        .size:           8
        .value_kind:     global_buffer
      - .actual_access:  read_only
        .address_space:  global
        .offset:         16
        .size:           8
        .value_kind:     global_buffer
      - .offset:         24
        .size:           8
        .value_kind:     by_value
      - .actual_access:  read_only
        .address_space:  global
        .offset:         32
        .size:           8
        .value_kind:     global_buffer
      - .actual_access:  read_only
        .address_space:  global
        .offset:         40
        .size:           8
        .value_kind:     global_buffer
      - .actual_access:  read_only
        .address_space:  global
        .offset:         48
        .size:           8
        .value_kind:     global_buffer
      - .actual_access:  read_only
        .address_space:  global
        .offset:         56
        .size:           8
        .value_kind:     global_buffer
      - .actual_access:  read_only
        .address_space:  global
        .offset:         64
        .size:           8
        .value_kind:     global_buffer
      - .actual_access:  read_only
        .address_space:  global
        .offset:         72
        .size:           8
        .value_kind:     global_buffer
      - .offset:         80
        .size:           8
        .value_kind:     by_value
      - .actual_access:  read_only
        .address_space:  global
        .offset:         88
        .size:           8
        .value_kind:     global_buffer
      - .actual_access:  read_only
        .address_space:  global
        .offset:         96
        .size:           8
        .value_kind:     global_buffer
      - .actual_access:  read_only
        .address_space:  global
        .offset:         104
        .size:           8
        .value_kind:     global_buffer
      - .actual_access:  read_only
        .address_space:  global
        .offset:         112
        .size:           8
        .value_kind:     global_buffer
      - .actual_access:  write_only
        .address_space:  global
        .offset:         120
        .size:           8
        .value_kind:     global_buffer
      - .actual_access:  write_only
        .address_space:  global
        .offset:         128
        .size:           8
        .value_kind:     global_buffer
      - .offset:         136
        .size:           4
        .value_kind:     by_value
      - .offset:         140
        .size:           4
        .value_kind:     by_value
      - .offset:         144
        .size:           4
        .value_kind:     by_value
      - .offset:         148
        .size:           4
        .value_kind:     by_value
      - .offset:         152
        .size:           1
        .value_kind:     by_value
      - .offset:         153
        .size:           1
        .value_kind:     by_value
      - .offset:         154
        .size:           1
        .value_kind:     by_value
    .group_segment_fixed_size: 0
    .kernarg_segment_align: 8
    .kernarg_segment_size: 156
    .language:       OpenCL C
    .language_version:
      - 2
      - 0
    .max_flat_workgroup_size: 1024
    .name:           _ZN9rocsparseL26csrgemm_fill_block_per_rowILj1024ELj64ELj16384ELj137ELj64Eii21rocsparse_complex_numIfEEEvT5_PKS3_S5_NS_24const_host_device_scalarIT6_EEPKT4_S5_PKS7_SB_S5_SD_S8_SB_S5_SD_SB_PS3_PS7_21rocsparse_index_base_SG_SG_SG_bbb
    .private_segment_fixed_size: 0
    .sgpr_count:     67
    .sgpr_spill_count: 0
    .symbol:         _ZN9rocsparseL26csrgemm_fill_block_per_rowILj1024ELj64ELj16384ELj137ELj64Eii21rocsparse_complex_numIfEEEvT5_PKS3_S5_NS_24const_host_device_scalarIT6_EEPKT4_S5_PKS7_SB_S5_SD_S8_SB_S5_SD_SB_PS3_PS7_21rocsparse_index_base_SG_SG_SG_bbb.kd
    .uniform_work_group_size: 1
    .uses_dynamic_stack: false
    .vgpr_count:     24
    .vgpr_spill_count: 0
    .wavefront_size: 64
  - .agpr_count:     0
    .args:
      - .offset:         0
        .size:           4
        .value_kind:     by_value
      - .actual_access:  read_only
        .address_space:  global
        .offset:         8
        .size:           8
        .value_kind:     global_buffer
      - .actual_access:  read_only
        .address_space:  global
        .offset:         16
        .size:           8
        .value_kind:     global_buffer
      - .offset:         24
        .size:           8
        .value_kind:     by_value
      - .actual_access:  read_only
        .address_space:  global
        .offset:         32
        .size:           8
        .value_kind:     global_buffer
      - .actual_access:  read_only
        .address_space:  global
        .offset:         40
        .size:           8
        .value_kind:     global_buffer
      - .actual_access:  read_only
        .address_space:  global
        .offset:         48
        .size:           8
        .value_kind:     global_buffer
      - .actual_access:  read_only
        .address_space:  global
        .offset:         56
        .size:           8
        .value_kind:     global_buffer
      - .actual_access:  read_only
        .address_space:  global
        .offset:         64
        .size:           8
        .value_kind:     global_buffer
      - .actual_access:  read_only
        .address_space:  global
        .offset:         72
        .size:           8
        .value_kind:     global_buffer
      - .offset:         80
        .size:           8
        .value_kind:     by_value
      - .actual_access:  read_only
        .address_space:  global
        .offset:         88
        .size:           8
        .value_kind:     global_buffer
      - .actual_access:  read_only
        .address_space:  global
        .offset:         96
        .size:           8
        .value_kind:     global_buffer
      - .actual_access:  read_only
        .address_space:  global
        .offset:         104
        .size:           8
        .value_kind:     global_buffer
      - .actual_access:  read_only
        .address_space:  global
        .offset:         112
        .size:           8
        .value_kind:     global_buffer
      - .actual_access:  write_only
        .address_space:  global
        .offset:         120
        .size:           8
        .value_kind:     global_buffer
      - .actual_access:  write_only
        .address_space:  global
        .offset:         128
        .size:           8
        .value_kind:     global_buffer
      - .offset:         136
        .size:           4
        .value_kind:     by_value
      - .offset:         140
        .size:           4
        .value_kind:     by_value
      - .offset:         144
        .size:           4
        .value_kind:     by_value
      - .offset:         148
        .size:           4
        .value_kind:     by_value
      - .offset:         152
        .size:           1
        .value_kind:     by_value
      - .offset:         153
        .size:           1
        .value_kind:     by_value
      - .offset:         154
        .size:           1
        .value_kind:     by_value
    .group_segment_fixed_size: 0
    .kernarg_segment_align: 8
    .kernarg_segment_size: 156
    .language:       OpenCL C
    .language_version:
      - 2
      - 0
    .max_flat_workgroup_size: 1024
    .name:           _ZN9rocsparseL26csrgemm_fill_block_per_rowILj1024ELj64ELj32768ELj137ELj32Eii21rocsparse_complex_numIfEEEvT5_PKS3_S5_NS_24const_host_device_scalarIT6_EEPKT4_S5_PKS7_SB_S5_SD_S8_SB_S5_SD_SB_PS3_PS7_21rocsparse_index_base_SG_SG_SG_bbb
    .private_segment_fixed_size: 0
    .sgpr_count:     100
    .sgpr_spill_count: 22
    .symbol:         _ZN9rocsparseL26csrgemm_fill_block_per_rowILj1024ELj64ELj32768ELj137ELj32Eii21rocsparse_complex_numIfEEEvT5_PKS3_S5_NS_24const_host_device_scalarIT6_EEPKT4_S5_PKS7_SB_S5_SD_S8_SB_S5_SD_SB_PS3_PS7_21rocsparse_index_base_SG_SG_SG_bbb.kd
    .uniform_work_group_size: 1
    .uses_dynamic_stack: false
    .vgpr_count:     25
    .vgpr_spill_count: 0
    .wavefront_size: 64
  - .agpr_count:     0
    .args:
      - .offset:         0
        .size:           4
        .value_kind:     by_value
      - .actual_access:  read_only
        .address_space:  global
        .offset:         8
        .size:           8
        .value_kind:     global_buffer
      - .actual_access:  read_only
        .address_space:  global
        .offset:         16
        .size:           8
        .value_kind:     global_buffer
      - .offset:         24
        .size:           8
        .value_kind:     by_value
      - .actual_access:  read_only
        .address_space:  global
        .offset:         32
        .size:           8
        .value_kind:     global_buffer
      - .actual_access:  read_only
        .address_space:  global
        .offset:         40
        .size:           8
        .value_kind:     global_buffer
      - .actual_access:  read_only
        .address_space:  global
        .offset:         48
        .size:           8
        .value_kind:     global_buffer
      - .actual_access:  read_only
        .address_space:  global
        .offset:         56
        .size:           8
        .value_kind:     global_buffer
      - .actual_access:  read_only
        .address_space:  global
        .offset:         64
        .size:           8
        .value_kind:     global_buffer
      - .actual_access:  read_only
        .address_space:  global
        .offset:         72
        .size:           8
        .value_kind:     global_buffer
      - .offset:         80
        .size:           8
        .value_kind:     by_value
      - .actual_access:  read_only
        .address_space:  global
        .offset:         88
        .size:           8
        .value_kind:     global_buffer
      - .actual_access:  read_only
        .address_space:  global
        .offset:         96
        .size:           8
        .value_kind:     global_buffer
      - .actual_access:  read_only
        .address_space:  global
        .offset:         104
        .size:           8
        .value_kind:     global_buffer
      - .actual_access:  read_only
        .address_space:  global
        .offset:         112
        .size:           8
        .value_kind:     global_buffer
      - .actual_access:  write_only
        .address_space:  global
        .offset:         120
        .size:           8
        .value_kind:     global_buffer
      - .actual_access:  write_only
        .address_space:  global
        .offset:         128
        .size:           8
        .value_kind:     global_buffer
      - .offset:         136
        .size:           4
        .value_kind:     by_value
      - .offset:         140
        .size:           4
        .value_kind:     by_value
      - .offset:         144
        .size:           4
        .value_kind:     by_value
      - .offset:         148
        .size:           4
        .value_kind:     by_value
      - .offset:         152
        .size:           1
        .value_kind:     by_value
      - .offset:         153
        .size:           1
        .value_kind:     by_value
      - .offset:         154
        .size:           1
        .value_kind:     by_value
    .group_segment_fixed_size: 0
    .kernarg_segment_align: 8
    .kernarg_segment_size: 156
    .language:       OpenCL C
    .language_version:
      - 2
      - 0
    .max_flat_workgroup_size: 1024
    .name:           _ZN9rocsparseL26csrgemm_fill_block_per_rowILj1024ELj64ELj32768ELj137ELj64Eii21rocsparse_complex_numIfEEEvT5_PKS3_S5_NS_24const_host_device_scalarIT6_EEPKT4_S5_PKS7_SB_S5_SD_S8_SB_S5_SD_SB_PS3_PS7_21rocsparse_index_base_SG_SG_SG_bbb
    .private_segment_fixed_size: 0
    .sgpr_count:     67
    .sgpr_spill_count: 0
    .symbol:         _ZN9rocsparseL26csrgemm_fill_block_per_rowILj1024ELj64ELj32768ELj137ELj64Eii21rocsparse_complex_numIfEEEvT5_PKS3_S5_NS_24const_host_device_scalarIT6_EEPKT4_S5_PKS7_SB_S5_SD_S8_SB_S5_SD_SB_PS3_PS7_21rocsparse_index_base_SG_SG_SG_bbb.kd
    .uniform_work_group_size: 1
    .uses_dynamic_stack: false
    .vgpr_count:     24
    .vgpr_spill_count: 0
    .wavefront_size: 64
  - .agpr_count:     0
    .args:
      - .offset:         0
        .size:           4
        .value_kind:     by_value
      - .actual_access:  read_only
        .address_space:  global
        .offset:         8
        .size:           8
        .value_kind:     global_buffer
      - .actual_access:  read_only
        .address_space:  global
        .offset:         16
        .size:           8
        .value_kind:     global_buffer
      - .offset:         24
        .size:           8
        .value_kind:     by_value
      - .actual_access:  read_only
        .address_space:  global
        .offset:         32
        .size:           8
        .value_kind:     global_buffer
      - .actual_access:  read_only
        .address_space:  global
        .offset:         40
        .size:           8
        .value_kind:     global_buffer
      - .actual_access:  read_only
        .address_space:  global
        .offset:         48
        .size:           8
        .value_kind:     global_buffer
      - .actual_access:  read_only
        .address_space:  global
        .offset:         56
        .size:           8
        .value_kind:     global_buffer
      - .actual_access:  read_only
        .address_space:  global
        .offset:         64
        .size:           8
        .value_kind:     global_buffer
      - .actual_access:  read_only
        .address_space:  global
        .offset:         72
        .size:           8
        .value_kind:     global_buffer
      - .offset:         80
        .size:           8
        .value_kind:     by_value
      - .actual_access:  read_only
        .address_space:  global
        .offset:         88
        .size:           8
        .value_kind:     global_buffer
      - .actual_access:  read_only
        .address_space:  global
        .offset:         96
        .size:           8
        .value_kind:     global_buffer
      - .actual_access:  read_only
        .address_space:  global
        .offset:         104
        .size:           8
        .value_kind:     global_buffer
      - .actual_access:  read_only
        .address_space:  global
        .offset:         112
        .size:           8
        .value_kind:     global_buffer
      - .actual_access:  write_only
        .address_space:  global
        .offset:         120
        .size:           8
        .value_kind:     global_buffer
      - .actual_access:  write_only
        .address_space:  global
        .offset:         128
        .size:           8
        .value_kind:     global_buffer
      - .address_space:  global
        .offset:         136
        .size:           8
        .value_kind:     global_buffer
      - .offset:         144
        .size:           4
        .value_kind:     by_value
      - .offset:         148
        .size:           4
        .value_kind:     by_value
      - .offset:         152
        .size:           4
        .value_kind:     by_value
      - .offset:         156
        .size:           4
        .value_kind:     by_value
      - .offset:         160
        .size:           1
        .value_kind:     by_value
      - .offset:         161
        .size:           1
        .value_kind:     by_value
      - .offset:         162
        .size:           1
        .value_kind:     by_value
    .group_segment_fixed_size: 18436
    .kernarg_segment_align: 8
    .kernarg_segment_size: 164
    .language:       OpenCL C
    .language_version:
      - 2
      - 0
    .max_flat_workgroup_size: 512
    .name:           _ZN9rocsparseL36csrgemm_fill_block_per_row_multipassILj512ELj16ELj2048ELj32Eii21rocsparse_complex_numIfEEEvT4_PKS3_S5_NS_24const_host_device_scalarIT5_EEPKT3_S5_PKS7_SB_S5_SD_S8_SB_S5_SD_SB_PS3_PS7_PS9_21rocsparse_index_base_SH_SH_SH_bbb
    .private_segment_fixed_size: 0
    .sgpr_count:     100
    .sgpr_spill_count: 4
    .symbol:         _ZN9rocsparseL36csrgemm_fill_block_per_row_multipassILj512ELj16ELj2048ELj32Eii21rocsparse_complex_numIfEEEvT4_PKS3_S5_NS_24const_host_device_scalarIT5_EEPKT3_S5_PKS7_SB_S5_SD_S8_SB_S5_SD_SB_PS3_PS7_PS9_21rocsparse_index_base_SH_SH_SH_bbb.kd
    .uniform_work_group_size: 1
    .uses_dynamic_stack: false
    .vgpr_count:     35
    .vgpr_spill_count: 0
    .wavefront_size: 64
  - .agpr_count:     0
    .args:
      - .offset:         0
        .size:           4
        .value_kind:     by_value
      - .actual_access:  read_only
        .address_space:  global
        .offset:         8
        .size:           8
        .value_kind:     global_buffer
      - .actual_access:  read_only
        .address_space:  global
        .offset:         16
        .size:           8
        .value_kind:     global_buffer
      - .offset:         24
        .size:           8
        .value_kind:     by_value
      - .actual_access:  read_only
        .address_space:  global
        .offset:         32
        .size:           8
        .value_kind:     global_buffer
      - .actual_access:  read_only
        .address_space:  global
        .offset:         40
        .size:           8
        .value_kind:     global_buffer
      - .actual_access:  read_only
        .address_space:  global
        .offset:         48
        .size:           8
        .value_kind:     global_buffer
      - .actual_access:  read_only
        .address_space:  global
        .offset:         56
        .size:           8
        .value_kind:     global_buffer
      - .actual_access:  read_only
        .address_space:  global
        .offset:         64
        .size:           8
        .value_kind:     global_buffer
      - .actual_access:  read_only
        .address_space:  global
        .offset:         72
        .size:           8
        .value_kind:     global_buffer
      - .offset:         80
        .size:           8
        .value_kind:     by_value
      - .actual_access:  read_only
        .address_space:  global
        .offset:         88
        .size:           8
        .value_kind:     global_buffer
      - .actual_access:  read_only
        .address_space:  global
        .offset:         96
        .size:           8
        .value_kind:     global_buffer
      - .actual_access:  read_only
        .address_space:  global
        .offset:         104
        .size:           8
        .value_kind:     global_buffer
      - .actual_access:  read_only
        .address_space:  global
        .offset:         112
        .size:           8
        .value_kind:     global_buffer
      - .actual_access:  write_only
        .address_space:  global
        .offset:         120
        .size:           8
        .value_kind:     global_buffer
      - .actual_access:  write_only
        .address_space:  global
        .offset:         128
        .size:           8
        .value_kind:     global_buffer
      - .address_space:  global
        .offset:         136
        .size:           8
        .value_kind:     global_buffer
      - .offset:         144
        .size:           4
        .value_kind:     by_value
      - .offset:         148
        .size:           4
        .value_kind:     by_value
      - .offset:         152
        .size:           4
        .value_kind:     by_value
      - .offset:         156
        .size:           4
        .value_kind:     by_value
      - .offset:         160
        .size:           1
        .value_kind:     by_value
      - .offset:         161
        .size:           1
        .value_kind:     by_value
      - .offset:         162
        .size:           1
        .value_kind:     by_value
    .group_segment_fixed_size: 18436
    .kernarg_segment_align: 8
    .kernarg_segment_size: 164
    .language:       OpenCL C
    .language_version:
      - 2
      - 0
    .max_flat_workgroup_size: 512
    .name:           _ZN9rocsparseL36csrgemm_fill_block_per_row_multipassILj512ELj16ELj2048ELj64Eii21rocsparse_complex_numIfEEEvT4_PKS3_S5_NS_24const_host_device_scalarIT5_EEPKT3_S5_PKS7_SB_S5_SD_S8_SB_S5_SD_SB_PS3_PS7_PS9_21rocsparse_index_base_SH_SH_SH_bbb
    .private_segment_fixed_size: 0
    .sgpr_count:     88
    .sgpr_spill_count: 0
    .symbol:         _ZN9rocsparseL36csrgemm_fill_block_per_row_multipassILj512ELj16ELj2048ELj64Eii21rocsparse_complex_numIfEEEvT4_PKS3_S5_NS_24const_host_device_scalarIT5_EEPKT3_S5_PKS7_SB_S5_SD_S8_SB_S5_SD_SB_PS3_PS7_PS9_21rocsparse_index_base_SH_SH_SH_bbb.kd
    .uniform_work_group_size: 1
    .uses_dynamic_stack: false
    .vgpr_count:     28
    .vgpr_spill_count: 0
    .wavefront_size: 64
  - .agpr_count:     0
    .args:
      - .offset:         0
        .size:           4
        .value_kind:     by_value
      - .actual_access:  read_only
        .address_space:  global
        .offset:         8
        .size:           8
        .value_kind:     global_buffer
      - .actual_access:  write_only
        .address_space:  global
        .offset:         16
        .size:           8
        .value_kind:     global_buffer
      - .actual_access:  write_only
        .address_space:  global
        .offset:         24
        .size:           8
        .value_kind:     global_buffer
      - .offset:         32
        .size:           4
        .value_kind:     by_value
      - .offset:         40
        .size:           4
        .value_kind:     hidden_block_count_x
      - .offset:         44
        .size:           4
        .value_kind:     hidden_block_count_y
      - .offset:         48
        .size:           4
        .value_kind:     hidden_block_count_z
      - .offset:         52
        .size:           2
        .value_kind:     hidden_group_size_x
      - .offset:         54
        .size:           2
        .value_kind:     hidden_group_size_y
      - .offset:         56
        .size:           2
        .value_kind:     hidden_group_size_z
      - .offset:         58
        .size:           2
        .value_kind:     hidden_remainder_x
      - .offset:         60
        .size:           2
        .value_kind:     hidden_remainder_y
      - .offset:         62
        .size:           2
        .value_kind:     hidden_remainder_z
      - .offset:         80
        .size:           8
        .value_kind:     hidden_global_offset_x
      - .offset:         88
        .size:           8
        .value_kind:     hidden_global_offset_y
      - .offset:         96
        .size:           8
        .value_kind:     hidden_global_offset_z
      - .offset:         104
        .size:           2
        .value_kind:     hidden_grid_dims
    .group_segment_fixed_size: 11264
    .kernarg_segment_align: 8
    .kernarg_segment_size: 296
    .language:       OpenCL C
    .language_version:
      - 2
      - 0
    .max_flat_workgroup_size: 256
    .name:           _ZN9rocsparseL26csrgemm_group_reduce_part2ILj256ELj11E21rocsparse_complex_numIdEiiEEvT3_PKT2_PS3_Pij
    .private_segment_fixed_size: 0
    .sgpr_count:     56
    .sgpr_spill_count: 0
    .symbol:         _ZN9rocsparseL26csrgemm_group_reduce_part2ILj256ELj11E21rocsparse_complex_numIdEiiEEvT3_PKT2_PS3_Pij.kd
    .uniform_work_group_size: 1
    .uses_dynamic_stack: false
    .vgpr_count:     22
    .vgpr_spill_count: 0
    .wavefront_size: 64
  - .agpr_count:     0
    .args:
      - .offset:         0
        .size:           4
        .value_kind:     by_value
      - .offset:         4
        .size:           4
        .value_kind:     by_value
      - .actual_access:  read_only
        .address_space:  global
        .offset:         8
        .size:           8
        .value_kind:     global_buffer
      - .actual_access:  read_only
        .address_space:  global
        .offset:         16
        .size:           8
        .value_kind:     global_buffer
      - .offset:         24
        .size:           16
        .value_kind:     by_value
      - .actual_access:  read_only
        .address_space:  global
        .offset:         40
        .size:           8
        .value_kind:     global_buffer
      - .actual_access:  read_only
        .address_space:  global
        .offset:         48
        .size:           8
        .value_kind:     global_buffer
      - .actual_access:  read_only
        .address_space:  global
        .offset:         56
        .size:           8
        .value_kind:     global_buffer
      - .actual_access:  read_only
        .address_space:  global
        .offset:         64
        .size:           8
        .value_kind:     global_buffer
      - .actual_access:  read_only
        .address_space:  global
        .offset:         72
        .size:           8
        .value_kind:     global_buffer
      - .actual_access:  read_only
        .address_space:  global
        .offset:         80
        .size:           8
        .value_kind:     global_buffer
      - .offset:         88
        .size:           16
        .value_kind:     by_value
      - .actual_access:  read_only
        .address_space:  global
        .offset:         104
        .size:           8
        .value_kind:     global_buffer
      - .actual_access:  read_only
        .address_space:  global
        .offset:         112
        .size:           8
        .value_kind:     global_buffer
      - .actual_access:  read_only
        .address_space:  global
        .offset:         120
        .size:           8
        .value_kind:     global_buffer
      - .actual_access:  read_only
        .address_space:  global
        .offset:         128
        .size:           8
        .value_kind:     global_buffer
      - .actual_access:  write_only
        .address_space:  global
        .offset:         136
        .size:           8
        .value_kind:     global_buffer
      - .actual_access:  write_only
        .address_space:  global
        .offset:         144
        .size:           8
        .value_kind:     global_buffer
      - .offset:         152
        .size:           4
        .value_kind:     by_value
      - .offset:         156
        .size:           4
        .value_kind:     by_value
      - .offset:         160
        .size:           4
        .value_kind:     by_value
      - .offset:         164
        .size:           4
        .value_kind:     by_value
      - .offset:         168
        .size:           1
        .value_kind:     by_value
      - .offset:         169
        .size:           1
        .value_kind:     by_value
      - .offset:         170
        .size:           1
        .value_kind:     by_value
    .group_segment_fixed_size: 10240
    .kernarg_segment_align: 8
    .kernarg_segment_size: 172
    .language:       OpenCL C
    .language_version:
      - 2
      - 0
    .max_flat_workgroup_size: 256
    .name:           _ZN9rocsparseL23csrgemm_fill_wf_per_rowILj256ELj8ELj16ELj137Eii21rocsparse_complex_numIdEEEvT4_S3_PKS3_S5_NS_24const_host_device_scalarIT5_EEPKT3_S5_PKS7_SB_S5_SD_S8_SB_S5_SD_SB_PS3_PS7_21rocsparse_index_base_SG_SG_SG_bbb
    .private_segment_fixed_size: 24
    .sgpr_count:     66
    .sgpr_spill_count: 0
    .symbol:         _ZN9rocsparseL23csrgemm_fill_wf_per_rowILj256ELj8ELj16ELj137Eii21rocsparse_complex_numIdEEEvT4_S3_PKS3_S5_NS_24const_host_device_scalarIT5_EEPKT3_S5_PKS7_SB_S5_SD_S8_SB_S5_SD_SB_PS3_PS7_21rocsparse_index_base_SG_SG_SG_bbb.kd
    .uniform_work_group_size: 1
    .uses_dynamic_stack: false
    .vgpr_count:     36
    .vgpr_spill_count: 0
    .wavefront_size: 64
  - .agpr_count:     0
    .args:
      - .offset:         0
        .size:           4
        .value_kind:     by_value
      - .offset:         4
        .size:           4
        .value_kind:     by_value
      - .actual_access:  read_only
        .address_space:  global
        .offset:         8
        .size:           8
        .value_kind:     global_buffer
      - .actual_access:  read_only
        .address_space:  global
        .offset:         16
        .size:           8
        .value_kind:     global_buffer
      - .offset:         24
        .size:           16
        .value_kind:     by_value
      - .actual_access:  read_only
        .address_space:  global
        .offset:         40
        .size:           8
        .value_kind:     global_buffer
      - .actual_access:  read_only
        .address_space:  global
        .offset:         48
        .size:           8
        .value_kind:     global_buffer
      - .actual_access:  read_only
        .address_space:  global
        .offset:         56
        .size:           8
        .value_kind:     global_buffer
      - .actual_access:  read_only
        .address_space:  global
        .offset:         64
        .size:           8
        .value_kind:     global_buffer
      - .actual_access:  read_only
        .address_space:  global
        .offset:         72
        .size:           8
        .value_kind:     global_buffer
      - .actual_access:  read_only
        .address_space:  global
        .offset:         80
        .size:           8
        .value_kind:     global_buffer
      - .offset:         88
        .size:           16
        .value_kind:     by_value
      - .actual_access:  read_only
        .address_space:  global
        .offset:         104
        .size:           8
        .value_kind:     global_buffer
      - .actual_access:  read_only
        .address_space:  global
        .offset:         112
        .size:           8
        .value_kind:     global_buffer
      - .actual_access:  read_only
        .address_space:  global
        .offset:         120
        .size:           8
        .value_kind:     global_buffer
      - .actual_access:  read_only
        .address_space:  global
        .offset:         128
        .size:           8
        .value_kind:     global_buffer
      - .actual_access:  write_only
        .address_space:  global
        .offset:         136
        .size:           8
        .value_kind:     global_buffer
      - .actual_access:  write_only
        .address_space:  global
        .offset:         144
        .size:           8
        .value_kind:     global_buffer
      - .offset:         152
        .size:           4
        .value_kind:     by_value
      - .offset:         156
        .size:           4
        .value_kind:     by_value
      - .offset:         160
        .size:           4
        .value_kind:     by_value
      - .offset:         164
        .size:           4
        .value_kind:     by_value
      - .offset:         168
        .size:           1
        .value_kind:     by_value
      - .offset:         169
        .size:           1
        .value_kind:     by_value
      - .offset:         170
        .size:           1
        .value_kind:     by_value
    .group_segment_fixed_size: 10240
    .kernarg_segment_align: 8
    .kernarg_segment_size: 172
    .language:       OpenCL C
    .language_version:
      - 2
      - 0
    .max_flat_workgroup_size: 256
    .name:           _ZN9rocsparseL23csrgemm_fill_wf_per_rowILj256ELj16ELj32ELj137Eii21rocsparse_complex_numIdEEEvT4_S3_PKS3_S5_NS_24const_host_device_scalarIT5_EEPKT3_S5_PKS7_SB_S5_SD_S8_SB_S5_SD_SB_PS3_PS7_21rocsparse_index_base_SG_SG_SG_bbb
    .private_segment_fixed_size: 24
    .sgpr_count:     66
    .sgpr_spill_count: 0
    .symbol:         _ZN9rocsparseL23csrgemm_fill_wf_per_rowILj256ELj16ELj32ELj137Eii21rocsparse_complex_numIdEEEvT4_S3_PKS3_S5_NS_24const_host_device_scalarIT5_EEPKT3_S5_PKS7_SB_S5_SD_S8_SB_S5_SD_SB_PS3_PS7_21rocsparse_index_base_SG_SG_SG_bbb.kd
    .uniform_work_group_size: 1
    .uses_dynamic_stack: false
    .vgpr_count:     36
    .vgpr_spill_count: 0
    .wavefront_size: 64
  - .agpr_count:     0
    .args:
      - .offset:         0
        .size:           4
        .value_kind:     by_value
      - .actual_access:  read_only
        .address_space:  global
        .offset:         8
        .size:           8
        .value_kind:     global_buffer
      - .actual_access:  read_only
        .address_space:  global
        .offset:         16
        .size:           8
        .value_kind:     global_buffer
      - .offset:         24
        .size:           16
        .value_kind:     by_value
      - .actual_access:  read_only
        .address_space:  global
        .offset:         40
        .size:           8
        .value_kind:     global_buffer
      - .actual_access:  read_only
        .address_space:  global
        .offset:         48
        .size:           8
        .value_kind:     global_buffer
      - .actual_access:  read_only
        .address_space:  global
        .offset:         56
        .size:           8
        .value_kind:     global_buffer
      - .actual_access:  read_only
        .address_space:  global
        .offset:         64
        .size:           8
        .value_kind:     global_buffer
      - .actual_access:  read_only
        .address_space:  global
        .offset:         72
        .size:           8
        .value_kind:     global_buffer
      - .actual_access:  read_only
        .address_space:  global
        .offset:         80
        .size:           8
        .value_kind:     global_buffer
      - .offset:         88
        .size:           16
        .value_kind:     by_value
      - .actual_access:  read_only
        .address_space:  global
        .offset:         104
        .size:           8
        .value_kind:     global_buffer
      - .actual_access:  read_only
        .address_space:  global
        .offset:         112
        .size:           8
        .value_kind:     global_buffer
      - .actual_access:  read_only
        .address_space:  global
        .offset:         120
        .size:           8
        .value_kind:     global_buffer
      - .actual_access:  read_only
        .address_space:  global
        .offset:         128
        .size:           8
        .value_kind:     global_buffer
      - .actual_access:  write_only
        .address_space:  global
        .offset:         136
        .size:           8
        .value_kind:     global_buffer
      - .actual_access:  write_only
        .address_space:  global
        .offset:         144
        .size:           8
        .value_kind:     global_buffer
      - .offset:         152
        .size:           4
        .value_kind:     by_value
      - .offset:         156
        .size:           4
        .value_kind:     by_value
      - .offset:         160
        .size:           4
        .value_kind:     by_value
      - .offset:         164
        .size:           4
        .value_kind:     by_value
      - .offset:         168
        .size:           1
        .value_kind:     by_value
      - .offset:         169
        .size:           1
        .value_kind:     by_value
      - .offset:         170
        .size:           1
        .value_kind:     by_value
    .group_segment_fixed_size: 0
    .kernarg_segment_align: 8
    .kernarg_segment_size: 172
    .language:       OpenCL C
    .language_version:
      - 2
      - 0
    .max_flat_workgroup_size: 128
    .name:           _ZN9rocsparseL26csrgemm_fill_block_per_rowILj128ELj16ELj256ELj137ELj32Eii21rocsparse_complex_numIdEEEvT5_PKS3_S5_NS_24const_host_device_scalarIT6_EEPKT4_S5_PKS7_SB_S5_SD_S8_SB_S5_SD_SB_PS3_PS7_21rocsparse_index_base_SG_SG_SG_bbb
    .private_segment_fixed_size: 40
    .sgpr_count:     64
    .sgpr_spill_count: 0
    .symbol:         _ZN9rocsparseL26csrgemm_fill_block_per_rowILj128ELj16ELj256ELj137ELj32Eii21rocsparse_complex_numIdEEEvT5_PKS3_S5_NS_24const_host_device_scalarIT6_EEPKT4_S5_PKS7_SB_S5_SD_S8_SB_S5_SD_SB_PS3_PS7_21rocsparse_index_base_SG_SG_SG_bbb.kd
    .uniform_work_group_size: 1
    .uses_dynamic_stack: false
    .vgpr_count:     32
    .vgpr_spill_count: 0
    .wavefront_size: 64
  - .agpr_count:     0
    .args:
      - .offset:         0
        .size:           4
        .value_kind:     by_value
      - .actual_access:  read_only
        .address_space:  global
        .offset:         8
        .size:           8
        .value_kind:     global_buffer
      - .actual_access:  read_only
        .address_space:  global
        .offset:         16
        .size:           8
        .value_kind:     global_buffer
      - .offset:         24
        .size:           16
        .value_kind:     by_value
      - .actual_access:  read_only
        .address_space:  global
        .offset:         40
        .size:           8
        .value_kind:     global_buffer
      - .actual_access:  read_only
        .address_space:  global
        .offset:         48
        .size:           8
        .value_kind:     global_buffer
      - .actual_access:  read_only
        .address_space:  global
        .offset:         56
        .size:           8
        .value_kind:     global_buffer
      - .actual_access:  read_only
        .address_space:  global
        .offset:         64
        .size:           8
        .value_kind:     global_buffer
      - .actual_access:  read_only
        .address_space:  global
        .offset:         72
        .size:           8
        .value_kind:     global_buffer
      - .actual_access:  read_only
        .address_space:  global
        .offset:         80
        .size:           8
        .value_kind:     global_buffer
      - .offset:         88
        .size:           16
        .value_kind:     by_value
      - .actual_access:  read_only
        .address_space:  global
        .offset:         104
        .size:           8
        .value_kind:     global_buffer
      - .actual_access:  read_only
        .address_space:  global
        .offset:         112
        .size:           8
        .value_kind:     global_buffer
      - .actual_access:  read_only
        .address_space:  global
        .offset:         120
        .size:           8
        .value_kind:     global_buffer
      - .actual_access:  read_only
        .address_space:  global
        .offset:         128
        .size:           8
        .value_kind:     global_buffer
      - .actual_access:  write_only
        .address_space:  global
        .offset:         136
        .size:           8
        .value_kind:     global_buffer
      - .actual_access:  write_only
        .address_space:  global
        .offset:         144
        .size:           8
        .value_kind:     global_buffer
      - .offset:         152
        .size:           4
        .value_kind:     by_value
      - .offset:         156
        .size:           4
        .value_kind:     by_value
      - .offset:         160
        .size:           4
        .value_kind:     by_value
      - .offset:         164
        .size:           4
        .value_kind:     by_value
      - .offset:         168
        .size:           1
        .value_kind:     by_value
      - .offset:         169
        .size:           1
        .value_kind:     by_value
      - .offset:         170
        .size:           1
        .value_kind:     by_value
    .group_segment_fixed_size: 0
    .kernarg_segment_align: 8
    .kernarg_segment_size: 172
    .language:       OpenCL C
    .language_version:
      - 2
      - 0
    .max_flat_workgroup_size: 128
    .name:           _ZN9rocsparseL26csrgemm_fill_block_per_rowILj128ELj16ELj256ELj137ELj64Eii21rocsparse_complex_numIdEEEvT5_PKS3_S5_NS_24const_host_device_scalarIT6_EEPKT4_S5_PKS7_SB_S5_SD_S8_SB_S5_SD_SB_PS3_PS7_21rocsparse_index_base_SG_SG_SG_bbb
    .private_segment_fixed_size: 40
    .sgpr_count:     64
    .sgpr_spill_count: 0
    .symbol:         _ZN9rocsparseL26csrgemm_fill_block_per_rowILj128ELj16ELj256ELj137ELj64Eii21rocsparse_complex_numIdEEEvT5_PKS3_S5_NS_24const_host_device_scalarIT6_EEPKT4_S5_PKS7_SB_S5_SD_S8_SB_S5_SD_SB_PS3_PS7_21rocsparse_index_base_SG_SG_SG_bbb.kd
    .uniform_work_group_size: 1
    .uses_dynamic_stack: false
    .vgpr_count:     34
    .vgpr_spill_count: 0
    .wavefront_size: 64
  - .agpr_count:     0
    .args:
      - .offset:         0
        .size:           4
        .value_kind:     by_value
      - .actual_access:  read_only
        .address_space:  global
        .offset:         8
        .size:           8
        .value_kind:     global_buffer
      - .actual_access:  read_only
        .address_space:  global
        .offset:         16
        .size:           8
        .value_kind:     global_buffer
      - .offset:         24
        .size:           16
        .value_kind:     by_value
      - .actual_access:  read_only
        .address_space:  global
        .offset:         40
        .size:           8
        .value_kind:     global_buffer
      - .actual_access:  read_only
        .address_space:  global
        .offset:         48
        .size:           8
        .value_kind:     global_buffer
      - .actual_access:  read_only
        .address_space:  global
        .offset:         56
        .size:           8
        .value_kind:     global_buffer
      - .actual_access:  read_only
        .address_space:  global
        .offset:         64
        .size:           8
        .value_kind:     global_buffer
      - .actual_access:  read_only
        .address_space:  global
        .offset:         72
        .size:           8
        .value_kind:     global_buffer
      - .actual_access:  read_only
        .address_space:  global
        .offset:         80
        .size:           8
        .value_kind:     global_buffer
      - .offset:         88
        .size:           16
        .value_kind:     by_value
      - .actual_access:  read_only
        .address_space:  global
        .offset:         104
        .size:           8
        .value_kind:     global_buffer
      - .actual_access:  read_only
        .address_space:  global
        .offset:         112
        .size:           8
        .value_kind:     global_buffer
      - .actual_access:  read_only
        .address_space:  global
        .offset:         120
        .size:           8
        .value_kind:     global_buffer
      - .actual_access:  read_only
        .address_space:  global
        .offset:         128
        .size:           8
        .value_kind:     global_buffer
      - .actual_access:  write_only
        .address_space:  global
        .offset:         136
        .size:           8
        .value_kind:     global_buffer
      - .actual_access:  write_only
        .address_space:  global
        .offset:         144
        .size:           8
        .value_kind:     global_buffer
      - .offset:         152
        .size:           4
        .value_kind:     by_value
      - .offset:         156
        .size:           4
        .value_kind:     by_value
      - .offset:         160
        .size:           4
        .value_kind:     by_value
      - .offset:         164
        .size:           4
        .value_kind:     by_value
      - .offset:         168
        .size:           1
        .value_kind:     by_value
      - .offset:         169
        .size:           1
        .value_kind:     by_value
      - .offset:         170
        .size:           1
        .value_kind:     by_value
    .group_segment_fixed_size: 0
    .kernarg_segment_align: 8
    .kernarg_segment_size: 172
    .language:       OpenCL C
    .language_version:
      - 2
      - 0
    .max_flat_workgroup_size: 256
    .name:           _ZN9rocsparseL26csrgemm_fill_block_per_rowILj256ELj32ELj512ELj137ELj32Eii21rocsparse_complex_numIdEEEvT5_PKS3_S5_NS_24const_host_device_scalarIT6_EEPKT4_S5_PKS7_SB_S5_SD_S8_SB_S5_SD_SB_PS3_PS7_21rocsparse_index_base_SG_SG_SG_bbb
    .private_segment_fixed_size: 40
    .sgpr_count:     64
    .sgpr_spill_count: 0
    .symbol:         _ZN9rocsparseL26csrgemm_fill_block_per_rowILj256ELj32ELj512ELj137ELj32Eii21rocsparse_complex_numIdEEEvT5_PKS3_S5_NS_24const_host_device_scalarIT6_EEPKT4_S5_PKS7_SB_S5_SD_S8_SB_S5_SD_SB_PS3_PS7_21rocsparse_index_base_SG_SG_SG_bbb.kd
    .uniform_work_group_size: 1
    .uses_dynamic_stack: false
    .vgpr_count:     34
    .vgpr_spill_count: 0
    .wavefront_size: 64
  - .agpr_count:     0
    .args:
      - .offset:         0
        .size:           4
        .value_kind:     by_value
      - .actual_access:  read_only
        .address_space:  global
        .offset:         8
        .size:           8
        .value_kind:     global_buffer
      - .actual_access:  read_only
        .address_space:  global
        .offset:         16
        .size:           8
        .value_kind:     global_buffer
      - .offset:         24
        .size:           16
        .value_kind:     by_value
      - .actual_access:  read_only
        .address_space:  global
        .offset:         40
        .size:           8
        .value_kind:     global_buffer
      - .actual_access:  read_only
        .address_space:  global
        .offset:         48
        .size:           8
        .value_kind:     global_buffer
      - .actual_access:  read_only
        .address_space:  global
        .offset:         56
        .size:           8
        .value_kind:     global_buffer
      - .actual_access:  read_only
        .address_space:  global
        .offset:         64
        .size:           8
        .value_kind:     global_buffer
      - .actual_access:  read_only
        .address_space:  global
        .offset:         72
        .size:           8
        .value_kind:     global_buffer
      - .actual_access:  read_only
        .address_space:  global
        .offset:         80
        .size:           8
        .value_kind:     global_buffer
      - .offset:         88
        .size:           16
        .value_kind:     by_value
      - .actual_access:  read_only
        .address_space:  global
        .offset:         104
        .size:           8
        .value_kind:     global_buffer
      - .actual_access:  read_only
        .address_space:  global
        .offset:         112
        .size:           8
        .value_kind:     global_buffer
      - .actual_access:  read_only
        .address_space:  global
        .offset:         120
        .size:           8
        .value_kind:     global_buffer
      - .actual_access:  read_only
        .address_space:  global
        .offset:         128
        .size:           8
        .value_kind:     global_buffer
      - .actual_access:  write_only
        .address_space:  global
        .offset:         136
        .size:           8
        .value_kind:     global_buffer
      - .actual_access:  write_only
        .address_space:  global
        .offset:         144
        .size:           8
        .value_kind:     global_buffer
      - .offset:         152
        .size:           4
        .value_kind:     by_value
      - .offset:         156
        .size:           4
        .value_kind:     by_value
      - .offset:         160
        .size:           4
        .value_kind:     by_value
      - .offset:         164
        .size:           4
        .value_kind:     by_value
      - .offset:         168
        .size:           1
        .value_kind:     by_value
      - .offset:         169
        .size:           1
        .value_kind:     by_value
      - .offset:         170
        .size:           1
        .value_kind:     by_value
    .group_segment_fixed_size: 0
    .kernarg_segment_align: 8
    .kernarg_segment_size: 172
    .language:       OpenCL C
    .language_version:
      - 2
      - 0
    .max_flat_workgroup_size: 256
    .name:           _ZN9rocsparseL26csrgemm_fill_block_per_rowILj256ELj32ELj512ELj137ELj64Eii21rocsparse_complex_numIdEEEvT5_PKS3_S5_NS_24const_host_device_scalarIT6_EEPKT4_S5_PKS7_SB_S5_SD_S8_SB_S5_SD_SB_PS3_PS7_21rocsparse_index_base_SG_SG_SG_bbb
    .private_segment_fixed_size: 40
    .sgpr_count:     64
    .sgpr_spill_count: 0
    .symbol:         _ZN9rocsparseL26csrgemm_fill_block_per_rowILj256ELj32ELj512ELj137ELj64Eii21rocsparse_complex_numIdEEEvT5_PKS3_S5_NS_24const_host_device_scalarIT6_EEPKT4_S5_PKS7_SB_S5_SD_S8_SB_S5_SD_SB_PS3_PS7_21rocsparse_index_base_SG_SG_SG_bbb.kd
    .uniform_work_group_size: 1
    .uses_dynamic_stack: false
    .vgpr_count:     32
    .vgpr_spill_count: 0
    .wavefront_size: 64
  - .agpr_count:     0
    .args:
      - .offset:         0
        .size:           4
        .value_kind:     by_value
      - .actual_access:  read_only
        .address_space:  global
        .offset:         8
        .size:           8
        .value_kind:     global_buffer
      - .actual_access:  read_only
        .address_space:  global
        .offset:         16
        .size:           8
        .value_kind:     global_buffer
      - .offset:         24
        .size:           16
        .value_kind:     by_value
      - .actual_access:  read_only
        .address_space:  global
        .offset:         40
        .size:           8
        .value_kind:     global_buffer
      - .actual_access:  read_only
        .address_space:  global
        .offset:         48
        .size:           8
        .value_kind:     global_buffer
      - .actual_access:  read_only
        .address_space:  global
        .offset:         56
        .size:           8
        .value_kind:     global_buffer
      - .actual_access:  read_only
        .address_space:  global
        .offset:         64
        .size:           8
        .value_kind:     global_buffer
      - .actual_access:  read_only
        .address_space:  global
        .offset:         72
        .size:           8
        .value_kind:     global_buffer
      - .actual_access:  read_only
        .address_space:  global
        .offset:         80
        .size:           8
        .value_kind:     global_buffer
      - .offset:         88
        .size:           16
        .value_kind:     by_value
      - .actual_access:  read_only
        .address_space:  global
        .offset:         104
        .size:           8
        .value_kind:     global_buffer
      - .actual_access:  read_only
        .address_space:  global
        .offset:         112
        .size:           8
        .value_kind:     global_buffer
      - .actual_access:  read_only
        .address_space:  global
        .offset:         120
        .size:           8
        .value_kind:     global_buffer
      - .actual_access:  read_only
        .address_space:  global
        .offset:         128
        .size:           8
        .value_kind:     global_buffer
      - .actual_access:  write_only
        .address_space:  global
        .offset:         136
        .size:           8
        .value_kind:     global_buffer
      - .actual_access:  write_only
        .address_space:  global
        .offset:         144
        .size:           8
        .value_kind:     global_buffer
      - .offset:         152
        .size:           4
        .value_kind:     by_value
      - .offset:         156
        .size:           4
        .value_kind:     by_value
      - .offset:         160
        .size:           4
        .value_kind:     by_value
      - .offset:         164
        .size:           4
        .value_kind:     by_value
      - .offset:         168
        .size:           1
        .value_kind:     by_value
      - .offset:         169
        .size:           1
        .value_kind:     by_value
      - .offset:         170
        .size:           1
        .value_kind:     by_value
    .group_segment_fixed_size: 0
    .kernarg_segment_align: 8
    .kernarg_segment_size: 172
    .language:       OpenCL C
    .language_version:
      - 2
      - 0
    .max_flat_workgroup_size: 512
    .name:           _ZN9rocsparseL26csrgemm_fill_block_per_rowILj512ELj32ELj1024ELj137ELj32Eii21rocsparse_complex_numIdEEEvT5_PKS3_S5_NS_24const_host_device_scalarIT6_EEPKT4_S5_PKS7_SB_S5_SD_S8_SB_S5_SD_SB_PS3_PS7_21rocsparse_index_base_SG_SG_SG_bbb
    .private_segment_fixed_size: 40
    .sgpr_count:     66
    .sgpr_spill_count: 0
    .symbol:         _ZN9rocsparseL26csrgemm_fill_block_per_rowILj512ELj32ELj1024ELj137ELj32Eii21rocsparse_complex_numIdEEEvT5_PKS3_S5_NS_24const_host_device_scalarIT6_EEPKT4_S5_PKS7_SB_S5_SD_S8_SB_S5_SD_SB_PS3_PS7_21rocsparse_index_base_SG_SG_SG_bbb.kd
    .uniform_work_group_size: 1
    .uses_dynamic_stack: false
    .vgpr_count:     34
    .vgpr_spill_count: 0
    .wavefront_size: 64
  - .agpr_count:     0
    .args:
      - .offset:         0
        .size:           4
        .value_kind:     by_value
      - .actual_access:  read_only
        .address_space:  global
        .offset:         8
        .size:           8
        .value_kind:     global_buffer
      - .actual_access:  read_only
        .address_space:  global
        .offset:         16
        .size:           8
        .value_kind:     global_buffer
      - .offset:         24
        .size:           16
        .value_kind:     by_value
      - .actual_access:  read_only
        .address_space:  global
        .offset:         40
        .size:           8
        .value_kind:     global_buffer
      - .actual_access:  read_only
        .address_space:  global
        .offset:         48
        .size:           8
        .value_kind:     global_buffer
      - .actual_access:  read_only
        .address_space:  global
        .offset:         56
        .size:           8
        .value_kind:     global_buffer
      - .actual_access:  read_only
        .address_space:  global
        .offset:         64
        .size:           8
        .value_kind:     global_buffer
      - .actual_access:  read_only
        .address_space:  global
        .offset:         72
        .size:           8
        .value_kind:     global_buffer
      - .actual_access:  read_only
        .address_space:  global
        .offset:         80
        .size:           8
        .value_kind:     global_buffer
      - .offset:         88
        .size:           16
        .value_kind:     by_value
      - .actual_access:  read_only
        .address_space:  global
        .offset:         104
        .size:           8
        .value_kind:     global_buffer
      - .actual_access:  read_only
        .address_space:  global
        .offset:         112
        .size:           8
        .value_kind:     global_buffer
      - .actual_access:  read_only
        .address_space:  global
        .offset:         120
        .size:           8
        .value_kind:     global_buffer
      - .actual_access:  read_only
        .address_space:  global
        .offset:         128
        .size:           8
        .value_kind:     global_buffer
      - .actual_access:  write_only
        .address_space:  global
        .offset:         136
        .size:           8
        .value_kind:     global_buffer
      - .actual_access:  write_only
        .address_space:  global
        .offset:         144
        .size:           8
        .value_kind:     global_buffer
      - .offset:         152
        .size:           4
        .value_kind:     by_value
      - .offset:         156
        .size:           4
        .value_kind:     by_value
      - .offset:         160
        .size:           4
        .value_kind:     by_value
      - .offset:         164
        .size:           4
        .value_kind:     by_value
      - .offset:         168
        .size:           1
        .value_kind:     by_value
      - .offset:         169
        .size:           1
        .value_kind:     by_value
      - .offset:         170
        .size:           1
        .value_kind:     by_value
    .group_segment_fixed_size: 0
    .kernarg_segment_align: 8
    .kernarg_segment_size: 172
    .language:       OpenCL C
    .language_version:
      - 2
      - 0
    .max_flat_workgroup_size: 512
    .name:           _ZN9rocsparseL26csrgemm_fill_block_per_rowILj512ELj32ELj1024ELj137ELj64Eii21rocsparse_complex_numIdEEEvT5_PKS3_S5_NS_24const_host_device_scalarIT6_EEPKT4_S5_PKS7_SB_S5_SD_S8_SB_S5_SD_SB_PS3_PS7_21rocsparse_index_base_SG_SG_SG_bbb
    .private_segment_fixed_size: 40
    .sgpr_count:     66
    .sgpr_spill_count: 0
    .symbol:         _ZN9rocsparseL26csrgemm_fill_block_per_rowILj512ELj32ELj1024ELj137ELj64Eii21rocsparse_complex_numIdEEEvT5_PKS3_S5_NS_24const_host_device_scalarIT6_EEPKT4_S5_PKS7_SB_S5_SD_S8_SB_S5_SD_SB_PS3_PS7_21rocsparse_index_base_SG_SG_SG_bbb.kd
    .uniform_work_group_size: 1
    .uses_dynamic_stack: false
    .vgpr_count:     34
    .vgpr_spill_count: 0
    .wavefront_size: 64
  - .agpr_count:     0
    .args:
      - .offset:         0
        .size:           4
        .value_kind:     by_value
      - .actual_access:  read_only
        .address_space:  global
        .offset:         8
        .size:           8
        .value_kind:     global_buffer
      - .actual_access:  read_only
        .address_space:  global
        .offset:         16
        .size:           8
        .value_kind:     global_buffer
      - .offset:         24
        .size:           16
        .value_kind:     by_value
      - .actual_access:  read_only
        .address_space:  global
        .offset:         40
        .size:           8
        .value_kind:     global_buffer
      - .actual_access:  read_only
        .address_space:  global
        .offset:         48
        .size:           8
        .value_kind:     global_buffer
      - .actual_access:  read_only
        .address_space:  global
        .offset:         56
        .size:           8
        .value_kind:     global_buffer
      - .actual_access:  read_only
        .address_space:  global
        .offset:         64
        .size:           8
        .value_kind:     global_buffer
      - .actual_access:  read_only
        .address_space:  global
        .offset:         72
        .size:           8
        .value_kind:     global_buffer
      - .actual_access:  read_only
        .address_space:  global
        .offset:         80
        .size:           8
        .value_kind:     global_buffer
      - .offset:         88
        .size:           16
        .value_kind:     by_value
      - .actual_access:  read_only
        .address_space:  global
        .offset:         104
        .size:           8
        .value_kind:     global_buffer
      - .actual_access:  read_only
        .address_space:  global
        .offset:         112
        .size:           8
        .value_kind:     global_buffer
      - .actual_access:  read_only
        .address_space:  global
        .offset:         120
        .size:           8
        .value_kind:     global_buffer
      - .actual_access:  read_only
        .address_space:  global
        .offset:         128
        .size:           8
        .value_kind:     global_buffer
      - .actual_access:  write_only
        .address_space:  global
        .offset:         136
        .size:           8
        .value_kind:     global_buffer
      - .actual_access:  write_only
        .address_space:  global
        .offset:         144
        .size:           8
        .value_kind:     global_buffer
      - .offset:         152
        .size:           4
        .value_kind:     by_value
      - .offset:         156
        .size:           4
        .value_kind:     by_value
      - .offset:         160
        .size:           4
        .value_kind:     by_value
      - .offset:         164
        .size:           4
        .value_kind:     by_value
      - .offset:         168
        .size:           1
        .value_kind:     by_value
      - .offset:         169
        .size:           1
        .value_kind:     by_value
      - .offset:         170
        .size:           1
        .value_kind:     by_value
    .group_segment_fixed_size: 0
    .kernarg_segment_align: 8
    .kernarg_segment_size: 172
    .language:       OpenCL C
    .language_version:
      - 2
      - 0
    .max_flat_workgroup_size: 1024
    .name:           _ZN9rocsparseL26csrgemm_fill_block_per_rowILj1024ELj32ELj2048ELj137ELj32Eii21rocsparse_complex_numIdEEEvT5_PKS3_S5_NS_24const_host_device_scalarIT6_EEPKT4_S5_PKS7_SB_S5_SD_S8_SB_S5_SD_SB_PS3_PS7_21rocsparse_index_base_SG_SG_SG_bbb
    .private_segment_fixed_size: 40
    .sgpr_count:     90
    .sgpr_spill_count: 0
    .symbol:         _ZN9rocsparseL26csrgemm_fill_block_per_rowILj1024ELj32ELj2048ELj137ELj32Eii21rocsparse_complex_numIdEEEvT5_PKS3_S5_NS_24const_host_device_scalarIT6_EEPKT4_S5_PKS7_SB_S5_SD_S8_SB_S5_SD_SB_PS3_PS7_21rocsparse_index_base_SG_SG_SG_bbb.kd
    .uniform_work_group_size: 1
    .uses_dynamic_stack: false
    .vgpr_count:     34
    .vgpr_spill_count: 0
    .wavefront_size: 64
  - .agpr_count:     0
    .args:
      - .offset:         0
        .size:           4
        .value_kind:     by_value
      - .actual_access:  read_only
        .address_space:  global
        .offset:         8
        .size:           8
        .value_kind:     global_buffer
      - .actual_access:  read_only
        .address_space:  global
        .offset:         16
        .size:           8
        .value_kind:     global_buffer
      - .offset:         24
        .size:           16
        .value_kind:     by_value
      - .actual_access:  read_only
        .address_space:  global
        .offset:         40
        .size:           8
        .value_kind:     global_buffer
      - .actual_access:  read_only
        .address_space:  global
        .offset:         48
        .size:           8
        .value_kind:     global_buffer
      - .actual_access:  read_only
        .address_space:  global
        .offset:         56
        .size:           8
        .value_kind:     global_buffer
      - .actual_access:  read_only
        .address_space:  global
        .offset:         64
        .size:           8
        .value_kind:     global_buffer
      - .actual_access:  read_only
        .address_space:  global
        .offset:         72
        .size:           8
        .value_kind:     global_buffer
      - .actual_access:  read_only
        .address_space:  global
        .offset:         80
        .size:           8
        .value_kind:     global_buffer
      - .offset:         88
        .size:           16
        .value_kind:     by_value
      - .actual_access:  read_only
        .address_space:  global
        .offset:         104
        .size:           8
        .value_kind:     global_buffer
      - .actual_access:  read_only
        .address_space:  global
        .offset:         112
        .size:           8
        .value_kind:     global_buffer
      - .actual_access:  read_only
        .address_space:  global
        .offset:         120
        .size:           8
        .value_kind:     global_buffer
      - .actual_access:  read_only
        .address_space:  global
        .offset:         128
        .size:           8
        .value_kind:     global_buffer
      - .actual_access:  write_only
        .address_space:  global
        .offset:         136
        .size:           8
        .value_kind:     global_buffer
      - .actual_access:  write_only
        .address_space:  global
        .offset:         144
        .size:           8
        .value_kind:     global_buffer
      - .offset:         152
        .size:           4
        .value_kind:     by_value
      - .offset:         156
        .size:           4
        .value_kind:     by_value
      - .offset:         160
        .size:           4
        .value_kind:     by_value
      - .offset:         164
        .size:           4
        .value_kind:     by_value
      - .offset:         168
        .size:           1
        .value_kind:     by_value
      - .offset:         169
        .size:           1
        .value_kind:     by_value
      - .offset:         170
        .size:           1
        .value_kind:     by_value
    .group_segment_fixed_size: 0
    .kernarg_segment_align: 8
    .kernarg_segment_size: 172
    .language:       OpenCL C
    .language_version:
      - 2
      - 0
    .max_flat_workgroup_size: 1024
    .name:           _ZN9rocsparseL26csrgemm_fill_block_per_rowILj1024ELj32ELj2048ELj137ELj64Eii21rocsparse_complex_numIdEEEvT5_PKS3_S5_NS_24const_host_device_scalarIT6_EEPKT4_S5_PKS7_SB_S5_SD_S8_SB_S5_SD_SB_PS3_PS7_21rocsparse_index_base_SG_SG_SG_bbb
    .private_segment_fixed_size: 40
    .sgpr_count:     66
    .sgpr_spill_count: 0
    .symbol:         _ZN9rocsparseL26csrgemm_fill_block_per_rowILj1024ELj32ELj2048ELj137ELj64Eii21rocsparse_complex_numIdEEEvT5_PKS3_S5_NS_24const_host_device_scalarIT6_EEPKT4_S5_PKS7_SB_S5_SD_S8_SB_S5_SD_SB_PS3_PS7_21rocsparse_index_base_SG_SG_SG_bbb.kd
    .uniform_work_group_size: 1
    .uses_dynamic_stack: false
    .vgpr_count:     34
    .vgpr_spill_count: 0
    .wavefront_size: 64
  - .agpr_count:     0
    .args:
      - .offset:         0
        .size:           4
        .value_kind:     by_value
      - .actual_access:  read_only
        .address_space:  global
        .offset:         8
        .size:           8
        .value_kind:     global_buffer
      - .actual_access:  read_only
        .address_space:  global
        .offset:         16
        .size:           8
        .value_kind:     global_buffer
      - .offset:         24
        .size:           16
        .value_kind:     by_value
      - .actual_access:  read_only
        .address_space:  global
        .offset:         40
        .size:           8
        .value_kind:     global_buffer
      - .actual_access:  read_only
        .address_space:  global
        .offset:         48
        .size:           8
        .value_kind:     global_buffer
      - .actual_access:  read_only
        .address_space:  global
        .offset:         56
        .size:           8
        .value_kind:     global_buffer
      - .actual_access:  read_only
        .address_space:  global
        .offset:         64
        .size:           8
        .value_kind:     global_buffer
      - .actual_access:  read_only
        .address_space:  global
        .offset:         72
        .size:           8
        .value_kind:     global_buffer
      - .actual_access:  read_only
        .address_space:  global
        .offset:         80
        .size:           8
        .value_kind:     global_buffer
      - .offset:         88
        .size:           16
        .value_kind:     by_value
      - .actual_access:  read_only
        .address_space:  global
        .offset:         104
        .size:           8
        .value_kind:     global_buffer
      - .actual_access:  read_only
        .address_space:  global
        .offset:         112
        .size:           8
        .value_kind:     global_buffer
      - .actual_access:  read_only
        .address_space:  global
        .offset:         120
        .size:           8
        .value_kind:     global_buffer
      - .actual_access:  read_only
        .address_space:  global
        .offset:         128
        .size:           8
        .value_kind:     global_buffer
      - .actual_access:  write_only
        .address_space:  global
        .offset:         136
        .size:           8
        .value_kind:     global_buffer
      - .actual_access:  write_only
        .address_space:  global
        .offset:         144
        .size:           8
        .value_kind:     global_buffer
      - .offset:         152
        .size:           4
        .value_kind:     by_value
      - .offset:         156
        .size:           4
        .value_kind:     by_value
      - .offset:         160
        .size:           4
        .value_kind:     by_value
      - .offset:         164
        .size:           4
        .value_kind:     by_value
      - .offset:         168
        .size:           1
        .value_kind:     by_value
      - .offset:         169
        .size:           1
        .value_kind:     by_value
      - .offset:         170
        .size:           1
        .value_kind:     by_value
    .group_segment_fixed_size: 0
    .kernarg_segment_align: 8
    .kernarg_segment_size: 172
    .language:       OpenCL C
    .language_version:
      - 2
      - 0
    .max_flat_workgroup_size: 1024
    .name:           _ZN9rocsparseL26csrgemm_fill_block_per_rowILj1024ELj64ELj4096ELj137ELj32Eii21rocsparse_complex_numIdEEEvT5_PKS3_S5_NS_24const_host_device_scalarIT6_EEPKT4_S5_PKS7_SB_S5_SD_S8_SB_S5_SD_SB_PS3_PS7_21rocsparse_index_base_SG_SG_SG_bbb
    .private_segment_fixed_size: 40
    .sgpr_count:     106
    .sgpr_spill_count: 28
    .symbol:         _ZN9rocsparseL26csrgemm_fill_block_per_rowILj1024ELj64ELj4096ELj137ELj32Eii21rocsparse_complex_numIdEEEvT5_PKS3_S5_NS_24const_host_device_scalarIT6_EEPKT4_S5_PKS7_SB_S5_SD_S8_SB_S5_SD_SB_PS3_PS7_21rocsparse_index_base_SG_SG_SG_bbb.kd
    .uniform_work_group_size: 1
    .uses_dynamic_stack: false
    .vgpr_count:     35
    .vgpr_spill_count: 0
    .wavefront_size: 64
  - .agpr_count:     0
    .args:
      - .offset:         0
        .size:           4
        .value_kind:     by_value
      - .actual_access:  read_only
        .address_space:  global
        .offset:         8
        .size:           8
        .value_kind:     global_buffer
      - .actual_access:  read_only
        .address_space:  global
        .offset:         16
        .size:           8
        .value_kind:     global_buffer
      - .offset:         24
        .size:           16
        .value_kind:     by_value
      - .actual_access:  read_only
        .address_space:  global
        .offset:         40
        .size:           8
        .value_kind:     global_buffer
      - .actual_access:  read_only
        .address_space:  global
        .offset:         48
        .size:           8
        .value_kind:     global_buffer
      - .actual_access:  read_only
        .address_space:  global
        .offset:         56
        .size:           8
        .value_kind:     global_buffer
      - .actual_access:  read_only
        .address_space:  global
        .offset:         64
        .size:           8
        .value_kind:     global_buffer
      - .actual_access:  read_only
        .address_space:  global
        .offset:         72
        .size:           8
        .value_kind:     global_buffer
      - .actual_access:  read_only
        .address_space:  global
        .offset:         80
        .size:           8
        .value_kind:     global_buffer
      - .offset:         88
        .size:           16
        .value_kind:     by_value
      - .actual_access:  read_only
        .address_space:  global
        .offset:         104
        .size:           8
        .value_kind:     global_buffer
      - .actual_access:  read_only
        .address_space:  global
        .offset:         112
        .size:           8
        .value_kind:     global_buffer
      - .actual_access:  read_only
        .address_space:  global
        .offset:         120
        .size:           8
        .value_kind:     global_buffer
      - .actual_access:  read_only
        .address_space:  global
        .offset:         128
        .size:           8
        .value_kind:     global_buffer
      - .actual_access:  write_only
        .address_space:  global
        .offset:         136
        .size:           8
        .value_kind:     global_buffer
      - .actual_access:  write_only
        .address_space:  global
        .offset:         144
        .size:           8
        .value_kind:     global_buffer
      - .offset:         152
        .size:           4
        .value_kind:     by_value
      - .offset:         156
        .size:           4
        .value_kind:     by_value
      - .offset:         160
        .size:           4
        .value_kind:     by_value
      - .offset:         164
        .size:           4
        .value_kind:     by_value
      - .offset:         168
        .size:           1
        .value_kind:     by_value
      - .offset:         169
        .size:           1
        .value_kind:     by_value
      - .offset:         170
        .size:           1
        .value_kind:     by_value
    .group_segment_fixed_size: 0
    .kernarg_segment_align: 8
    .kernarg_segment_size: 172
    .language:       OpenCL C
    .language_version:
      - 2
      - 0
    .max_flat_workgroup_size: 1024
    .name:           _ZN9rocsparseL26csrgemm_fill_block_per_rowILj1024ELj64ELj4096ELj137ELj64Eii21rocsparse_complex_numIdEEEvT5_PKS3_S5_NS_24const_host_device_scalarIT6_EEPKT4_S5_PKS7_SB_S5_SD_S8_SB_S5_SD_SB_PS3_PS7_21rocsparse_index_base_SG_SG_SG_bbb
    .private_segment_fixed_size: 40
    .sgpr_count:     73
    .sgpr_spill_count: 0
    .symbol:         _ZN9rocsparseL26csrgemm_fill_block_per_rowILj1024ELj64ELj4096ELj137ELj64Eii21rocsparse_complex_numIdEEEvT5_PKS3_S5_NS_24const_host_device_scalarIT6_EEPKT4_S5_PKS7_SB_S5_SD_S8_SB_S5_SD_SB_PS3_PS7_21rocsparse_index_base_SG_SG_SG_bbb.kd
    .uniform_work_group_size: 1
    .uses_dynamic_stack: false
    .vgpr_count:     34
    .vgpr_spill_count: 0
    .wavefront_size: 64
  - .agpr_count:     0
    .args:
      - .offset:         0
        .size:           4
        .value_kind:     by_value
      - .actual_access:  read_only
        .address_space:  global
        .offset:         8
        .size:           8
        .value_kind:     global_buffer
      - .actual_access:  read_only
        .address_space:  global
        .offset:         16
        .size:           8
        .value_kind:     global_buffer
      - .offset:         24
        .size:           16
        .value_kind:     by_value
      - .actual_access:  read_only
        .address_space:  global
        .offset:         40
        .size:           8
        .value_kind:     global_buffer
      - .actual_access:  read_only
        .address_space:  global
        .offset:         48
        .size:           8
        .value_kind:     global_buffer
      - .actual_access:  read_only
        .address_space:  global
        .offset:         56
        .size:           8
        .value_kind:     global_buffer
      - .actual_access:  read_only
        .address_space:  global
        .offset:         64
        .size:           8
        .value_kind:     global_buffer
      - .actual_access:  read_only
        .address_space:  global
        .offset:         72
        .size:           8
        .value_kind:     global_buffer
      - .actual_access:  read_only
        .address_space:  global
        .offset:         80
        .size:           8
        .value_kind:     global_buffer
      - .offset:         88
        .size:           16
        .value_kind:     by_value
      - .actual_access:  read_only
        .address_space:  global
        .offset:         104
        .size:           8
        .value_kind:     global_buffer
      - .actual_access:  read_only
        .address_space:  global
        .offset:         112
        .size:           8
        .value_kind:     global_buffer
      - .actual_access:  read_only
        .address_space:  global
        .offset:         120
        .size:           8
        .value_kind:     global_buffer
      - .actual_access:  read_only
        .address_space:  global
        .offset:         128
        .size:           8
        .value_kind:     global_buffer
      - .actual_access:  write_only
        .address_space:  global
        .offset:         136
        .size:           8
        .value_kind:     global_buffer
      - .actual_access:  write_only
        .address_space:  global
        .offset:         144
        .size:           8
        .value_kind:     global_buffer
      - .offset:         152
        .size:           4
        .value_kind:     by_value
      - .offset:         156
        .size:           4
        .value_kind:     by_value
      - .offset:         160
        .size:           4
        .value_kind:     by_value
      - .offset:         164
        .size:           4
        .value_kind:     by_value
      - .offset:         168
        .size:           1
        .value_kind:     by_value
      - .offset:         169
        .size:           1
        .value_kind:     by_value
      - .offset:         170
        .size:           1
        .value_kind:     by_value
    .group_segment_fixed_size: 0
    .kernarg_segment_align: 8
    .kernarg_segment_size: 172
    .language:       OpenCL C
    .language_version:
      - 2
      - 0
    .max_flat_workgroup_size: 1024
    .name:           _ZN9rocsparseL26csrgemm_fill_block_per_rowILj1024ELj64ELj8192ELj137ELj32Eii21rocsparse_complex_numIdEEEvT5_PKS3_S5_NS_24const_host_device_scalarIT6_EEPKT4_S5_PKS7_SB_S5_SD_S8_SB_S5_SD_SB_PS3_PS7_21rocsparse_index_base_SG_SG_SG_bbb
    .private_segment_fixed_size: 40
    .sgpr_count:     106
    .sgpr_spill_count: 22
    .symbol:         _ZN9rocsparseL26csrgemm_fill_block_per_rowILj1024ELj64ELj8192ELj137ELj32Eii21rocsparse_complex_numIdEEEvT5_PKS3_S5_NS_24const_host_device_scalarIT6_EEPKT4_S5_PKS7_SB_S5_SD_S8_SB_S5_SD_SB_PS3_PS7_21rocsparse_index_base_SG_SG_SG_bbb.kd
    .uniform_work_group_size: 1
    .uses_dynamic_stack: false
    .vgpr_count:     33
    .vgpr_spill_count: 0
    .wavefront_size: 64
  - .agpr_count:     0
    .args:
      - .offset:         0
        .size:           4
        .value_kind:     by_value
      - .actual_access:  read_only
        .address_space:  global
        .offset:         8
        .size:           8
        .value_kind:     global_buffer
      - .actual_access:  read_only
        .address_space:  global
        .offset:         16
        .size:           8
        .value_kind:     global_buffer
      - .offset:         24
        .size:           16
        .value_kind:     by_value
      - .actual_access:  read_only
        .address_space:  global
        .offset:         40
        .size:           8
        .value_kind:     global_buffer
      - .actual_access:  read_only
        .address_space:  global
        .offset:         48
        .size:           8
        .value_kind:     global_buffer
      - .actual_access:  read_only
        .address_space:  global
        .offset:         56
        .size:           8
        .value_kind:     global_buffer
      - .actual_access:  read_only
        .address_space:  global
        .offset:         64
        .size:           8
        .value_kind:     global_buffer
      - .actual_access:  read_only
        .address_space:  global
        .offset:         72
        .size:           8
        .value_kind:     global_buffer
      - .actual_access:  read_only
        .address_space:  global
        .offset:         80
        .size:           8
        .value_kind:     global_buffer
      - .offset:         88
        .size:           16
        .value_kind:     by_value
      - .actual_access:  read_only
        .address_space:  global
        .offset:         104
        .size:           8
        .value_kind:     global_buffer
      - .actual_access:  read_only
        .address_space:  global
        .offset:         112
        .size:           8
        .value_kind:     global_buffer
      - .actual_access:  read_only
        .address_space:  global
        .offset:         120
        .size:           8
        .value_kind:     global_buffer
      - .actual_access:  read_only
        .address_space:  global
        .offset:         128
        .size:           8
        .value_kind:     global_buffer
      - .actual_access:  write_only
        .address_space:  global
        .offset:         136
        .size:           8
        .value_kind:     global_buffer
      - .actual_access:  write_only
        .address_space:  global
        .offset:         144
        .size:           8
        .value_kind:     global_buffer
      - .offset:         152
        .size:           4
        .value_kind:     by_value
      - .offset:         156
        .size:           4
        .value_kind:     by_value
      - .offset:         160
        .size:           4
        .value_kind:     by_value
      - .offset:         164
        .size:           4
        .value_kind:     by_value
      - .offset:         168
        .size:           1
        .value_kind:     by_value
      - .offset:         169
        .size:           1
        .value_kind:     by_value
      - .offset:         170
        .size:           1
        .value_kind:     by_value
    .group_segment_fixed_size: 0
    .kernarg_segment_align: 8
    .kernarg_segment_size: 172
    .language:       OpenCL C
    .language_version:
      - 2
      - 0
    .max_flat_workgroup_size: 1024
    .name:           _ZN9rocsparseL26csrgemm_fill_block_per_rowILj1024ELj64ELj8192ELj137ELj64Eii21rocsparse_complex_numIdEEEvT5_PKS3_S5_NS_24const_host_device_scalarIT6_EEPKT4_S5_PKS7_SB_S5_SD_S8_SB_S5_SD_SB_PS3_PS7_21rocsparse_index_base_SG_SG_SG_bbb
    .private_segment_fixed_size: 40
    .sgpr_count:     73
    .sgpr_spill_count: 0
    .symbol:         _ZN9rocsparseL26csrgemm_fill_block_per_rowILj1024ELj64ELj8192ELj137ELj64Eii21rocsparse_complex_numIdEEEvT5_PKS3_S5_NS_24const_host_device_scalarIT6_EEPKT4_S5_PKS7_SB_S5_SD_S8_SB_S5_SD_SB_PS3_PS7_21rocsparse_index_base_SG_SG_SG_bbb.kd
    .uniform_work_group_size: 1
    .uses_dynamic_stack: false
    .vgpr_count:     32
    .vgpr_spill_count: 0
    .wavefront_size: 64
  - .agpr_count:     0
    .args:
      - .offset:         0
        .size:           4
        .value_kind:     by_value
      - .actual_access:  read_only
        .address_space:  global
        .offset:         8
        .size:           8
        .value_kind:     global_buffer
      - .actual_access:  read_only
        .address_space:  global
        .offset:         16
        .size:           8
        .value_kind:     global_buffer
      - .offset:         24
        .size:           16
        .value_kind:     by_value
      - .actual_access:  read_only
        .address_space:  global
        .offset:         40
        .size:           8
        .value_kind:     global_buffer
      - .actual_access:  read_only
        .address_space:  global
        .offset:         48
        .size:           8
        .value_kind:     global_buffer
      - .actual_access:  read_only
        .address_space:  global
        .offset:         56
        .size:           8
        .value_kind:     global_buffer
      - .actual_access:  read_only
        .address_space:  global
        .offset:         64
        .size:           8
        .value_kind:     global_buffer
      - .actual_access:  read_only
        .address_space:  global
        .offset:         72
        .size:           8
        .value_kind:     global_buffer
      - .actual_access:  read_only
        .address_space:  global
        .offset:         80
        .size:           8
        .value_kind:     global_buffer
      - .offset:         88
        .size:           16
        .value_kind:     by_value
      - .actual_access:  read_only
        .address_space:  global
        .offset:         104
        .size:           8
        .value_kind:     global_buffer
      - .actual_access:  read_only
        .address_space:  global
        .offset:         112
        .size:           8
        .value_kind:     global_buffer
      - .actual_access:  read_only
        .address_space:  global
        .offset:         120
        .size:           8
        .value_kind:     global_buffer
      - .actual_access:  read_only
        .address_space:  global
        .offset:         128
        .size:           8
        .value_kind:     global_buffer
      - .actual_access:  write_only
        .address_space:  global
        .offset:         136
        .size:           8
        .value_kind:     global_buffer
      - .actual_access:  write_only
        .address_space:  global
        .offset:         144
        .size:           8
        .value_kind:     global_buffer
      - .offset:         152
        .size:           4
        .value_kind:     by_value
      - .offset:         156
        .size:           4
        .value_kind:     by_value
      - .offset:         160
        .size:           4
        .value_kind:     by_value
      - .offset:         164
        .size:           4
        .value_kind:     by_value
      - .offset:         168
        .size:           1
        .value_kind:     by_value
      - .offset:         169
        .size:           1
        .value_kind:     by_value
      - .offset:         170
        .size:           1
        .value_kind:     by_value
    .group_segment_fixed_size: 0
    .kernarg_segment_align: 8
    .kernarg_segment_size: 172
    .language:       OpenCL C
    .language_version:
      - 2
      - 0
    .max_flat_workgroup_size: 1024
    .name:           _ZN9rocsparseL26csrgemm_fill_block_per_rowILj1024ELj64ELj16384ELj137ELj32Eii21rocsparse_complex_numIdEEEvT5_PKS3_S5_NS_24const_host_device_scalarIT6_EEPKT4_S5_PKS7_SB_S5_SD_S8_SB_S5_SD_SB_PS3_PS7_21rocsparse_index_base_SG_SG_SG_bbb
    .private_segment_fixed_size: 40
    .sgpr_count:     106
    .sgpr_spill_count: 28
    .symbol:         _ZN9rocsparseL26csrgemm_fill_block_per_rowILj1024ELj64ELj16384ELj137ELj32Eii21rocsparse_complex_numIdEEEvT5_PKS3_S5_NS_24const_host_device_scalarIT6_EEPKT4_S5_PKS7_SB_S5_SD_S8_SB_S5_SD_SB_PS3_PS7_21rocsparse_index_base_SG_SG_SG_bbb.kd
    .uniform_work_group_size: 1
    .uses_dynamic_stack: false
    .vgpr_count:     33
    .vgpr_spill_count: 0
    .wavefront_size: 64
  - .agpr_count:     0
    .args:
      - .offset:         0
        .size:           4
        .value_kind:     by_value
      - .actual_access:  read_only
        .address_space:  global
        .offset:         8
        .size:           8
        .value_kind:     global_buffer
      - .actual_access:  read_only
        .address_space:  global
        .offset:         16
        .size:           8
        .value_kind:     global_buffer
      - .offset:         24
        .size:           16
        .value_kind:     by_value
      - .actual_access:  read_only
        .address_space:  global
        .offset:         40
        .size:           8
        .value_kind:     global_buffer
      - .actual_access:  read_only
        .address_space:  global
        .offset:         48
        .size:           8
        .value_kind:     global_buffer
      - .actual_access:  read_only
        .address_space:  global
        .offset:         56
        .size:           8
        .value_kind:     global_buffer
      - .actual_access:  read_only
        .address_space:  global
        .offset:         64
        .size:           8
        .value_kind:     global_buffer
      - .actual_access:  read_only
        .address_space:  global
        .offset:         72
        .size:           8
        .value_kind:     global_buffer
      - .actual_access:  read_only
        .address_space:  global
        .offset:         80
        .size:           8
        .value_kind:     global_buffer
      - .offset:         88
        .size:           16
        .value_kind:     by_value
      - .actual_access:  read_only
        .address_space:  global
        .offset:         104
        .size:           8
        .value_kind:     global_buffer
      - .actual_access:  read_only
        .address_space:  global
        .offset:         112
        .size:           8
        .value_kind:     global_buffer
      - .actual_access:  read_only
        .address_space:  global
        .offset:         120
        .size:           8
        .value_kind:     global_buffer
      - .actual_access:  read_only
        .address_space:  global
        .offset:         128
        .size:           8
        .value_kind:     global_buffer
      - .actual_access:  write_only
        .address_space:  global
        .offset:         136
        .size:           8
        .value_kind:     global_buffer
      - .actual_access:  write_only
        .address_space:  global
        .offset:         144
        .size:           8
        .value_kind:     global_buffer
      - .offset:         152
        .size:           4
        .value_kind:     by_value
      - .offset:         156
        .size:           4
        .value_kind:     by_value
      - .offset:         160
        .size:           4
        .value_kind:     by_value
      - .offset:         164
        .size:           4
        .value_kind:     by_value
      - .offset:         168
        .size:           1
        .value_kind:     by_value
      - .offset:         169
        .size:           1
        .value_kind:     by_value
      - .offset:         170
        .size:           1
        .value_kind:     by_value
    .group_segment_fixed_size: 0
    .kernarg_segment_align: 8
    .kernarg_segment_size: 172
    .language:       OpenCL C
    .language_version:
      - 2
      - 0
    .max_flat_workgroup_size: 1024
    .name:           _ZN9rocsparseL26csrgemm_fill_block_per_rowILj1024ELj64ELj16384ELj137ELj64Eii21rocsparse_complex_numIdEEEvT5_PKS3_S5_NS_24const_host_device_scalarIT6_EEPKT4_S5_PKS7_SB_S5_SD_S8_SB_S5_SD_SB_PS3_PS7_21rocsparse_index_base_SG_SG_SG_bbb
    .private_segment_fixed_size: 40
    .sgpr_count:     73
    .sgpr_spill_count: 0
    .symbol:         _ZN9rocsparseL26csrgemm_fill_block_per_rowILj1024ELj64ELj16384ELj137ELj64Eii21rocsparse_complex_numIdEEEvT5_PKS3_S5_NS_24const_host_device_scalarIT6_EEPKT4_S5_PKS7_SB_S5_SD_S8_SB_S5_SD_SB_PS3_PS7_21rocsparse_index_base_SG_SG_SG_bbb.kd
    .uniform_work_group_size: 1
    .uses_dynamic_stack: false
    .vgpr_count:     34
    .vgpr_spill_count: 0
    .wavefront_size: 64
  - .agpr_count:     0
    .args:
      - .offset:         0
        .size:           4
        .value_kind:     by_value
      - .actual_access:  read_only
        .address_space:  global
        .offset:         8
        .size:           8
        .value_kind:     global_buffer
      - .actual_access:  read_only
        .address_space:  global
        .offset:         16
        .size:           8
        .value_kind:     global_buffer
      - .offset:         24
        .size:           16
        .value_kind:     by_value
      - .actual_access:  read_only
        .address_space:  global
        .offset:         40
        .size:           8
        .value_kind:     global_buffer
      - .actual_access:  read_only
        .address_space:  global
        .offset:         48
        .size:           8
        .value_kind:     global_buffer
      - .actual_access:  read_only
        .address_space:  global
        .offset:         56
        .size:           8
        .value_kind:     global_buffer
      - .actual_access:  read_only
        .address_space:  global
        .offset:         64
        .size:           8
        .value_kind:     global_buffer
      - .actual_access:  read_only
        .address_space:  global
        .offset:         72
        .size:           8
        .value_kind:     global_buffer
      - .actual_access:  read_only
        .address_space:  global
        .offset:         80
        .size:           8
        .value_kind:     global_buffer
      - .offset:         88
        .size:           16
        .value_kind:     by_value
      - .actual_access:  read_only
        .address_space:  global
        .offset:         104
        .size:           8
        .value_kind:     global_buffer
      - .actual_access:  read_only
        .address_space:  global
        .offset:         112
        .size:           8
        .value_kind:     global_buffer
      - .actual_access:  read_only
        .address_space:  global
        .offset:         120
        .size:           8
        .value_kind:     global_buffer
      - .actual_access:  read_only
        .address_space:  global
        .offset:         128
        .size:           8
        .value_kind:     global_buffer
      - .actual_access:  write_only
        .address_space:  global
        .offset:         136
        .size:           8
        .value_kind:     global_buffer
      - .actual_access:  write_only
        .address_space:  global
        .offset:         144
        .size:           8
        .value_kind:     global_buffer
      - .offset:         152
        .size:           4
        .value_kind:     by_value
      - .offset:         156
        .size:           4
        .value_kind:     by_value
      - .offset:         160
        .size:           4
        .value_kind:     by_value
      - .offset:         164
        .size:           4
        .value_kind:     by_value
      - .offset:         168
        .size:           1
        .value_kind:     by_value
      - .offset:         169
        .size:           1
        .value_kind:     by_value
      - .offset:         170
        .size:           1
        .value_kind:     by_value
    .group_segment_fixed_size: 0
    .kernarg_segment_align: 8
    .kernarg_segment_size: 172
    .language:       OpenCL C
    .language_version:
      - 2
      - 0
    .max_flat_workgroup_size: 1024
    .name:           _ZN9rocsparseL26csrgemm_fill_block_per_rowILj1024ELj64ELj32768ELj137ELj32Eii21rocsparse_complex_numIdEEEvT5_PKS3_S5_NS_24const_host_device_scalarIT6_EEPKT4_S5_PKS7_SB_S5_SD_S8_SB_S5_SD_SB_PS3_PS7_21rocsparse_index_base_SG_SG_SG_bbb
    .private_segment_fixed_size: 40
    .sgpr_count:     106
    .sgpr_spill_count: 28
    .symbol:         _ZN9rocsparseL26csrgemm_fill_block_per_rowILj1024ELj64ELj32768ELj137ELj32Eii21rocsparse_complex_numIdEEEvT5_PKS3_S5_NS_24const_host_device_scalarIT6_EEPKT4_S5_PKS7_SB_S5_SD_S8_SB_S5_SD_SB_PS3_PS7_21rocsparse_index_base_SG_SG_SG_bbb.kd
    .uniform_work_group_size: 1
    .uses_dynamic_stack: false
    .vgpr_count:     33
    .vgpr_spill_count: 0
    .wavefront_size: 64
  - .agpr_count:     0
    .args:
      - .offset:         0
        .size:           4
        .value_kind:     by_value
      - .actual_access:  read_only
        .address_space:  global
        .offset:         8
        .size:           8
        .value_kind:     global_buffer
      - .actual_access:  read_only
        .address_space:  global
        .offset:         16
        .size:           8
        .value_kind:     global_buffer
      - .offset:         24
        .size:           16
        .value_kind:     by_value
      - .actual_access:  read_only
        .address_space:  global
        .offset:         40
        .size:           8
        .value_kind:     global_buffer
      - .actual_access:  read_only
        .address_space:  global
        .offset:         48
        .size:           8
        .value_kind:     global_buffer
      - .actual_access:  read_only
        .address_space:  global
        .offset:         56
        .size:           8
        .value_kind:     global_buffer
      - .actual_access:  read_only
        .address_space:  global
        .offset:         64
        .size:           8
        .value_kind:     global_buffer
      - .actual_access:  read_only
        .address_space:  global
        .offset:         72
        .size:           8
        .value_kind:     global_buffer
      - .actual_access:  read_only
        .address_space:  global
        .offset:         80
        .size:           8
        .value_kind:     global_buffer
      - .offset:         88
        .size:           16
        .value_kind:     by_value
      - .actual_access:  read_only
        .address_space:  global
        .offset:         104
        .size:           8
        .value_kind:     global_buffer
      - .actual_access:  read_only
        .address_space:  global
        .offset:         112
        .size:           8
        .value_kind:     global_buffer
      - .actual_access:  read_only
        .address_space:  global
        .offset:         120
        .size:           8
        .value_kind:     global_buffer
      - .actual_access:  read_only
        .address_space:  global
        .offset:         128
        .size:           8
        .value_kind:     global_buffer
      - .actual_access:  write_only
        .address_space:  global
        .offset:         136
        .size:           8
        .value_kind:     global_buffer
      - .actual_access:  write_only
        .address_space:  global
        .offset:         144
        .size:           8
        .value_kind:     global_buffer
      - .offset:         152
        .size:           4
        .value_kind:     by_value
      - .offset:         156
        .size:           4
        .value_kind:     by_value
      - .offset:         160
        .size:           4
        .value_kind:     by_value
      - .offset:         164
        .size:           4
        .value_kind:     by_value
      - .offset:         168
        .size:           1
        .value_kind:     by_value
      - .offset:         169
        .size:           1
        .value_kind:     by_value
      - .offset:         170
        .size:           1
        .value_kind:     by_value
    .group_segment_fixed_size: 0
    .kernarg_segment_align: 8
    .kernarg_segment_size: 172
    .language:       OpenCL C
    .language_version:
      - 2
      - 0
    .max_flat_workgroup_size: 1024
    .name:           _ZN9rocsparseL26csrgemm_fill_block_per_rowILj1024ELj64ELj32768ELj137ELj64Eii21rocsparse_complex_numIdEEEvT5_PKS3_S5_NS_24const_host_device_scalarIT6_EEPKT4_S5_PKS7_SB_S5_SD_S8_SB_S5_SD_SB_PS3_PS7_21rocsparse_index_base_SG_SG_SG_bbb
    .private_segment_fixed_size: 40
    .sgpr_count:     73
    .sgpr_spill_count: 0
    .symbol:         _ZN9rocsparseL26csrgemm_fill_block_per_rowILj1024ELj64ELj32768ELj137ELj64Eii21rocsparse_complex_numIdEEEvT5_PKS3_S5_NS_24const_host_device_scalarIT6_EEPKT4_S5_PKS7_SB_S5_SD_S8_SB_S5_SD_SB_PS3_PS7_21rocsparse_index_base_SG_SG_SG_bbb.kd
    .uniform_work_group_size: 1
    .uses_dynamic_stack: false
    .vgpr_count:     34
    .vgpr_spill_count: 0
    .wavefront_size: 64
  - .agpr_count:     0
    .args:
      - .offset:         0
        .size:           4
        .value_kind:     by_value
      - .actual_access:  read_only
        .address_space:  global
        .offset:         8
        .size:           8
        .value_kind:     global_buffer
      - .actual_access:  read_only
        .address_space:  global
        .offset:         16
        .size:           8
        .value_kind:     global_buffer
      - .offset:         24
        .size:           16
        .value_kind:     by_value
      - .actual_access:  read_only
        .address_space:  global
        .offset:         40
        .size:           8
        .value_kind:     global_buffer
      - .actual_access:  read_only
        .address_space:  global
        .offset:         48
        .size:           8
        .value_kind:     global_buffer
      - .actual_access:  read_only
        .address_space:  global
        .offset:         56
        .size:           8
        .value_kind:     global_buffer
      - .actual_access:  read_only
        .address_space:  global
        .offset:         64
        .size:           8
        .value_kind:     global_buffer
      - .actual_access:  read_only
        .address_space:  global
        .offset:         72
        .size:           8
        .value_kind:     global_buffer
      - .actual_access:  read_only
        .address_space:  global
        .offset:         80
        .size:           8
        .value_kind:     global_buffer
      - .offset:         88
        .size:           16
        .value_kind:     by_value
      - .actual_access:  read_only
        .address_space:  global
        .offset:         104
        .size:           8
        .value_kind:     global_buffer
      - .actual_access:  read_only
        .address_space:  global
        .offset:         112
        .size:           8
        .value_kind:     global_buffer
      - .actual_access:  read_only
        .address_space:  global
        .offset:         120
        .size:           8
        .value_kind:     global_buffer
      - .actual_access:  read_only
        .address_space:  global
        .offset:         128
        .size:           8
        .value_kind:     global_buffer
      - .actual_access:  write_only
        .address_space:  global
        .offset:         136
        .size:           8
        .value_kind:     global_buffer
      - .actual_access:  write_only
        .address_space:  global
        .offset:         144
        .size:           8
        .value_kind:     global_buffer
      - .address_space:  global
        .offset:         152
        .size:           8
        .value_kind:     global_buffer
      - .offset:         160
        .size:           4
        .value_kind:     by_value
      - .offset:         164
        .size:           4
        .value_kind:     by_value
      - .offset:         168
        .size:           4
        .value_kind:     by_value
      - .offset:         172
        .size:           4
        .value_kind:     by_value
      - .offset:         176
        .size:           1
        .value_kind:     by_value
      - .offset:         177
        .size:           1
        .value_kind:     by_value
      - .offset:         178
        .size:           1
        .value_kind:     by_value
    .group_segment_fixed_size: 51208
    .kernarg_segment_align: 8
    .kernarg_segment_size: 180
    .language:       OpenCL C
    .language_version:
      - 2
      - 0
    .max_flat_workgroup_size: 512
    .name:           _ZN9rocsparseL36csrgemm_fill_block_per_row_multipassILj512ELj16ELj2048ELj32Eii21rocsparse_complex_numIdEEEvT4_PKS3_S5_NS_24const_host_device_scalarIT5_EEPKT3_S5_PKS7_SB_S5_SD_S8_SB_S5_SD_SB_PS3_PS7_PS9_21rocsparse_index_base_SH_SH_SH_bbb
    .private_segment_fixed_size: 0
    .sgpr_count:     100
    .sgpr_spill_count: 0
    .symbol:         _ZN9rocsparseL36csrgemm_fill_block_per_row_multipassILj512ELj16ELj2048ELj32Eii21rocsparse_complex_numIdEEEvT4_PKS3_S5_NS_24const_host_device_scalarIT5_EEPKT3_S5_PKS7_SB_S5_SD_S8_SB_S5_SD_SB_PS3_PS7_PS9_21rocsparse_index_base_SH_SH_SH_bbb.kd
    .uniform_work_group_size: 1
    .uses_dynamic_stack: false
    .vgpr_count:     45
    .vgpr_spill_count: 0
    .wavefront_size: 64
  - .agpr_count:     0
    .args:
      - .offset:         0
        .size:           4
        .value_kind:     by_value
      - .actual_access:  read_only
        .address_space:  global
        .offset:         8
        .size:           8
        .value_kind:     global_buffer
      - .actual_access:  read_only
        .address_space:  global
        .offset:         16
        .size:           8
        .value_kind:     global_buffer
      - .offset:         24
        .size:           16
        .value_kind:     by_value
      - .actual_access:  read_only
        .address_space:  global
        .offset:         40
        .size:           8
        .value_kind:     global_buffer
      - .actual_access:  read_only
        .address_space:  global
        .offset:         48
        .size:           8
        .value_kind:     global_buffer
      - .actual_access:  read_only
        .address_space:  global
        .offset:         56
        .size:           8
        .value_kind:     global_buffer
      - .actual_access:  read_only
        .address_space:  global
        .offset:         64
        .size:           8
        .value_kind:     global_buffer
      - .actual_access:  read_only
        .address_space:  global
        .offset:         72
        .size:           8
        .value_kind:     global_buffer
      - .actual_access:  read_only
        .address_space:  global
        .offset:         80
        .size:           8
        .value_kind:     global_buffer
      - .offset:         88
        .size:           16
        .value_kind:     by_value
      - .actual_access:  read_only
        .address_space:  global
        .offset:         104
        .size:           8
        .value_kind:     global_buffer
      - .actual_access:  read_only
        .address_space:  global
        .offset:         112
        .size:           8
        .value_kind:     global_buffer
      - .actual_access:  read_only
        .address_space:  global
        .offset:         120
        .size:           8
        .value_kind:     global_buffer
      - .actual_access:  read_only
        .address_space:  global
        .offset:         128
        .size:           8
        .value_kind:     global_buffer
      - .actual_access:  write_only
        .address_space:  global
        .offset:         136
        .size:           8
        .value_kind:     global_buffer
      - .actual_access:  write_only
        .address_space:  global
        .offset:         144
        .size:           8
        .value_kind:     global_buffer
      - .address_space:  global
        .offset:         152
        .size:           8
        .value_kind:     global_buffer
      - .offset:         160
        .size:           4
        .value_kind:     by_value
      - .offset:         164
        .size:           4
        .value_kind:     by_value
      - .offset:         168
        .size:           4
        .value_kind:     by_value
      - .offset:         172
        .size:           4
        .value_kind:     by_value
      - .offset:         176
        .size:           1
        .value_kind:     by_value
      - .offset:         177
        .size:           1
        .value_kind:     by_value
      - .offset:         178
        .size:           1
        .value_kind:     by_value
    .group_segment_fixed_size: 51208
    .kernarg_segment_align: 8
    .kernarg_segment_size: 180
    .language:       OpenCL C
    .language_version:
      - 2
      - 0
    .max_flat_workgroup_size: 512
    .name:           _ZN9rocsparseL36csrgemm_fill_block_per_row_multipassILj512ELj16ELj2048ELj64Eii21rocsparse_complex_numIdEEEvT4_PKS3_S5_NS_24const_host_device_scalarIT5_EEPKT3_S5_PKS7_SB_S5_SD_S8_SB_S5_SD_SB_PS3_PS7_PS9_21rocsparse_index_base_SH_SH_SH_bbb
    .private_segment_fixed_size: 0
    .sgpr_count:     84
    .sgpr_spill_count: 0
    .symbol:         _ZN9rocsparseL36csrgemm_fill_block_per_row_multipassILj512ELj16ELj2048ELj64Eii21rocsparse_complex_numIdEEEvT4_PKS3_S5_NS_24const_host_device_scalarIT5_EEPKT3_S5_PKS7_SB_S5_SD_S8_SB_S5_SD_SB_PS3_PS7_PS9_21rocsparse_index_base_SH_SH_SH_bbb.kd
    .uniform_work_group_size: 1
    .uses_dynamic_stack: false
    .vgpr_count:     44
    .vgpr_spill_count: 0
    .wavefront_size: 64
  - .agpr_count:     0
    .args:
      - .offset:         0
        .size:           8
        .value_kind:     by_value
      - .actual_access:  read_only
        .address_space:  global
        .offset:         8
        .size:           8
        .value_kind:     global_buffer
      - .actual_access:  write_only
        .address_space:  global
        .offset:         16
        .size:           8
        .value_kind:     global_buffer
      - .offset:         24
        .size:           4
        .value_kind:     hidden_block_count_x
      - .offset:         28
        .size:           4
        .value_kind:     hidden_block_count_y
      - .offset:         32
        .size:           4
        .value_kind:     hidden_block_count_z
      - .offset:         36
        .size:           2
        .value_kind:     hidden_group_size_x
      - .offset:         38
        .size:           2
        .value_kind:     hidden_group_size_y
      - .offset:         40
        .size:           2
        .value_kind:     hidden_group_size_z
      - .offset:         42
        .size:           2
        .value_kind:     hidden_remainder_x
      - .offset:         44
        .size:           2
        .value_kind:     hidden_remainder_y
      - .offset:         46
        .size:           2
        .value_kind:     hidden_remainder_z
      - .offset:         64
        .size:           8
        .value_kind:     hidden_global_offset_x
      - .offset:         72
        .size:           8
        .value_kind:     hidden_global_offset_y
      - .offset:         80
        .size:           8
        .value_kind:     hidden_global_offset_z
      - .offset:         88
        .size:           2
        .value_kind:     hidden_grid_dims
    .group_segment_fixed_size: 2048
    .kernarg_segment_align: 8
    .kernarg_segment_size: 280
    .language:       OpenCL C
    .language_version:
      - 2
      - 0
    .max_flat_workgroup_size: 256
    .name:           _ZN9rocsparseL25csrgemm_max_row_nnz_part1ILj256EllEEvT1_PKT0_PS1_
    .private_segment_fixed_size: 0
    .sgpr_count:     18
    .sgpr_spill_count: 0
    .symbol:         _ZN9rocsparseL25csrgemm_max_row_nnz_part1ILj256EllEEvT1_PKT0_PS1_.kd
    .uniform_work_group_size: 1
    .uses_dynamic_stack: false
    .vgpr_count:     14
    .vgpr_spill_count: 0
    .wavefront_size: 64
  - .agpr_count:     0
    .args:
      - .address_space:  global
        .offset:         0
        .size:           8
        .value_kind:     global_buffer
    .group_segment_fixed_size: 2048
    .kernarg_segment_align: 8
    .kernarg_segment_size: 8
    .language:       OpenCL C
    .language_version:
      - 2
      - 0
    .max_flat_workgroup_size: 256
    .name:           _ZN9rocsparseL25csrgemm_max_row_nnz_part2ILj256ElEEvPT0_
    .private_segment_fixed_size: 0
    .sgpr_count:     10
    .sgpr_spill_count: 0
    .symbol:         _ZN9rocsparseL25csrgemm_max_row_nnz_part2ILj256ElEEvPT0_.kd
    .uniform_work_group_size: 1
    .uses_dynamic_stack: false
    .vgpr_count:     6
    .vgpr_spill_count: 0
    .wavefront_size: 64
  - .agpr_count:     0
    .args:
      - .offset:         0
        .size:           8
        .value_kind:     by_value
      - .actual_access:  read_only
        .address_space:  global
        .offset:         8
        .size:           8
        .value_kind:     global_buffer
      - .actual_access:  write_only
        .address_space:  global
        .offset:         16
        .size:           8
        .value_kind:     global_buffer
      - .actual_access:  write_only
        .address_space:  global
        .offset:         24
        .size:           8
        .value_kind:     global_buffer
      - .offset:         32
        .size:           4
        .value_kind:     by_value
      - .offset:         40
        .size:           4
        .value_kind:     hidden_block_count_x
      - .offset:         44
        .size:           4
        .value_kind:     hidden_block_count_y
      - .offset:         48
        .size:           4
        .value_kind:     hidden_block_count_z
      - .offset:         52
        .size:           2
        .value_kind:     hidden_group_size_x
      - .offset:         54
        .size:           2
        .value_kind:     hidden_group_size_y
      - .offset:         56
        .size:           2
        .value_kind:     hidden_group_size_z
      - .offset:         58
        .size:           2
        .value_kind:     hidden_remainder_x
      - .offset:         60
        .size:           2
        .value_kind:     hidden_remainder_y
      - .offset:         62
        .size:           2
        .value_kind:     hidden_remainder_z
      - .offset:         80
        .size:           8
        .value_kind:     hidden_global_offset_x
      - .offset:         88
        .size:           8
        .value_kind:     hidden_global_offset_y
      - .offset:         96
        .size:           8
        .value_kind:     hidden_global_offset_z
      - .offset:         104
        .size:           2
        .value_kind:     hidden_grid_dims
    .group_segment_fixed_size: 22528
    .kernarg_segment_align: 8
    .kernarg_segment_size: 296
    .language:       OpenCL C
    .language_version:
      - 2
      - 0
    .max_flat_workgroup_size: 256
    .name:           _ZN9rocsparseL26csrgemm_group_reduce_part2ILj256ELj11EfllEEvT3_PKT2_PS1_Pij
    .private_segment_fixed_size: 0
    .sgpr_count:     68
    .sgpr_spill_count: 0
    .symbol:         _ZN9rocsparseL26csrgemm_group_reduce_part2ILj256ELj11EfllEEvT3_PKT2_PS1_Pij.kd
    .uniform_work_group_size: 1
    .uses_dynamic_stack: false
    .vgpr_count:     34
    .vgpr_spill_count: 0
    .wavefront_size: 64
  - .agpr_count:     0
    .args:
      - .address_space:  global
        .offset:         0
        .size:           8
        .value_kind:     global_buffer
    .group_segment_fixed_size: 22528
    .kernarg_segment_align: 8
    .kernarg_segment_size: 8
    .language:       OpenCL C
    .language_version:
      - 2
      - 0
    .max_flat_workgroup_size: 256
    .name:           _ZN9rocsparseL26csrgemm_group_reduce_part3ILj256ELj11ElEEvPT1_
    .private_segment_fixed_size: 0
    .sgpr_count:     10
    .sgpr_spill_count: 0
    .symbol:         _ZN9rocsparseL26csrgemm_group_reduce_part3ILj256ELj11ElEEvPT1_.kd
    .uniform_work_group_size: 1
    .uses_dynamic_stack: false
    .vgpr_count:     34
    .vgpr_spill_count: 0
    .wavefront_size: 64
  - .agpr_count:     0
    .args:
      - .offset:         0
        .size:           8
        .value_kind:     by_value
      - .offset:         8
        .size:           8
        .value_kind:     by_value
      - .actual_access:  read_only
        .address_space:  global
        .offset:         16
        .size:           8
        .value_kind:     global_buffer
      - .actual_access:  read_only
        .address_space:  global
        .offset:         24
        .size:           8
        .value_kind:     global_buffer
      - .offset:         32
        .size:           8
        .value_kind:     by_value
      - .actual_access:  read_only
        .address_space:  global
        .offset:         40
        .size:           8
        .value_kind:     global_buffer
      - .actual_access:  read_only
        .address_space:  global
        .offset:         48
        .size:           8
        .value_kind:     global_buffer
      - .actual_access:  read_only
        .address_space:  global
        .offset:         56
        .size:           8
        .value_kind:     global_buffer
      - .actual_access:  read_only
        .address_space:  global
        .offset:         64
        .size:           8
        .value_kind:     global_buffer
      - .actual_access:  read_only
        .address_space:  global
        .offset:         72
        .size:           8
        .value_kind:     global_buffer
      - .actual_access:  read_only
        .address_space:  global
        .offset:         80
        .size:           8
        .value_kind:     global_buffer
      - .offset:         88
        .size:           8
        .value_kind:     by_value
      - .actual_access:  read_only
        .address_space:  global
        .offset:         96
        .size:           8
        .value_kind:     global_buffer
      - .actual_access:  read_only
        .address_space:  global
        .offset:         104
        .size:           8
        .value_kind:     global_buffer
      - .actual_access:  read_only
        .address_space:  global
        .offset:         112
        .size:           8
        .value_kind:     global_buffer
      - .actual_access:  read_only
        .address_space:  global
        .offset:         120
        .size:           8
        .value_kind:     global_buffer
      - .actual_access:  write_only
        .address_space:  global
        .offset:         128
        .size:           8
        .value_kind:     global_buffer
      - .actual_access:  write_only
        .address_space:  global
        .offset:         136
        .size:           8
        .value_kind:     global_buffer
      - .offset:         144
        .size:           4
        .value_kind:     by_value
      - .offset:         148
        .size:           4
        .value_kind:     by_value
      - .offset:         152
        .size:           4
        .value_kind:     by_value
      - .offset:         156
        .size:           4
        .value_kind:     by_value
      - .offset:         160
        .size:           1
        .value_kind:     by_value
      - .offset:         161
        .size:           1
        .value_kind:     by_value
      - .offset:         162
        .size:           1
        .value_kind:     by_value
    .group_segment_fixed_size: 6144
    .kernarg_segment_align: 8
    .kernarg_segment_size: 164
    .language:       OpenCL C
    .language_version:
      - 2
      - 0
    .max_flat_workgroup_size: 256
    .name:           _ZN9rocsparseL23csrgemm_fill_wf_per_rowILj256ELj8ELj16ELj137EllfEEvT4_S1_PKS1_S3_NS_24const_host_device_scalarIT5_EEPKT3_S3_PKS5_S9_S3_SB_S6_S9_S3_SB_S9_PS1_PS5_21rocsparse_index_base_SE_SE_SE_bbb
    .private_segment_fixed_size: 0
    .sgpr_count:     56
    .sgpr_spill_count: 0
    .symbol:         _ZN9rocsparseL23csrgemm_fill_wf_per_rowILj256ELj8ELj16ELj137EllfEEvT4_S1_PKS1_S3_NS_24const_host_device_scalarIT5_EEPKT3_S3_PKS5_S9_S3_SB_S6_S9_S3_SB_S9_PS1_PS5_21rocsparse_index_base_SE_SE_SE_bbb.kd
    .uniform_work_group_size: 1
    .uses_dynamic_stack: false
    .vgpr_count:     29
    .vgpr_spill_count: 0
    .wavefront_size: 64
  - .agpr_count:     0
    .args:
      - .offset:         0
        .size:           8
        .value_kind:     by_value
      - .offset:         8
        .size:           8
        .value_kind:     by_value
      - .actual_access:  read_only
        .address_space:  global
        .offset:         16
        .size:           8
        .value_kind:     global_buffer
      - .actual_access:  read_only
        .address_space:  global
        .offset:         24
        .size:           8
        .value_kind:     global_buffer
      - .offset:         32
        .size:           8
        .value_kind:     by_value
      - .actual_access:  read_only
        .address_space:  global
        .offset:         40
        .size:           8
        .value_kind:     global_buffer
      - .actual_access:  read_only
        .address_space:  global
        .offset:         48
        .size:           8
        .value_kind:     global_buffer
      - .actual_access:  read_only
        .address_space:  global
        .offset:         56
        .size:           8
        .value_kind:     global_buffer
      - .actual_access:  read_only
        .address_space:  global
        .offset:         64
        .size:           8
        .value_kind:     global_buffer
      - .actual_access:  read_only
        .address_space:  global
        .offset:         72
        .size:           8
        .value_kind:     global_buffer
      - .actual_access:  read_only
        .address_space:  global
        .offset:         80
        .size:           8
        .value_kind:     global_buffer
      - .offset:         88
        .size:           8
        .value_kind:     by_value
      - .actual_access:  read_only
        .address_space:  global
        .offset:         96
        .size:           8
        .value_kind:     global_buffer
      - .actual_access:  read_only
        .address_space:  global
        .offset:         104
        .size:           8
        .value_kind:     global_buffer
      - .actual_access:  read_only
        .address_space:  global
        .offset:         112
        .size:           8
        .value_kind:     global_buffer
      - .actual_access:  read_only
        .address_space:  global
        .offset:         120
        .size:           8
        .value_kind:     global_buffer
      - .actual_access:  write_only
        .address_space:  global
        .offset:         128
        .size:           8
        .value_kind:     global_buffer
      - .actual_access:  write_only
        .address_space:  global
        .offset:         136
        .size:           8
        .value_kind:     global_buffer
      - .offset:         144
        .size:           4
        .value_kind:     by_value
      - .offset:         148
        .size:           4
        .value_kind:     by_value
      - .offset:         152
        .size:           4
        .value_kind:     by_value
      - .offset:         156
        .size:           4
        .value_kind:     by_value
      - .offset:         160
        .size:           1
        .value_kind:     by_value
      - .offset:         161
        .size:           1
        .value_kind:     by_value
      - .offset:         162
        .size:           1
        .value_kind:     by_value
    .group_segment_fixed_size: 6144
    .kernarg_segment_align: 8
    .kernarg_segment_size: 164
    .language:       OpenCL C
    .language_version:
      - 2
      - 0
    .max_flat_workgroup_size: 256
    .name:           _ZN9rocsparseL23csrgemm_fill_wf_per_rowILj256ELj16ELj32ELj137EllfEEvT4_S1_PKS1_S3_NS_24const_host_device_scalarIT5_EEPKT3_S3_PKS5_S9_S3_SB_S6_S9_S3_SB_S9_PS1_PS5_21rocsparse_index_base_SE_SE_SE_bbb
    .private_segment_fixed_size: 0
    .sgpr_count:     56
    .sgpr_spill_count: 0
    .symbol:         _ZN9rocsparseL23csrgemm_fill_wf_per_rowILj256ELj16ELj32ELj137EllfEEvT4_S1_PKS1_S3_NS_24const_host_device_scalarIT5_EEPKT3_S3_PKS5_S9_S3_SB_S6_S9_S3_SB_S9_PS1_PS5_21rocsparse_index_base_SE_SE_SE_bbb.kd
    .uniform_work_group_size: 1
    .uses_dynamic_stack: false
    .vgpr_count:     29
    .vgpr_spill_count: 0
    .wavefront_size: 64
  - .agpr_count:     0
    .args:
      - .offset:         0
        .size:           8
        .value_kind:     by_value
      - .actual_access:  read_only
        .address_space:  global
        .offset:         8
        .size:           8
        .value_kind:     global_buffer
      - .actual_access:  read_only
        .address_space:  global
        .offset:         16
        .size:           8
        .value_kind:     global_buffer
      - .offset:         24
        .size:           8
        .value_kind:     by_value
      - .actual_access:  read_only
        .address_space:  global
        .offset:         32
        .size:           8
        .value_kind:     global_buffer
      - .actual_access:  read_only
        .address_space:  global
        .offset:         40
        .size:           8
        .value_kind:     global_buffer
      - .actual_access:  read_only
        .address_space:  global
        .offset:         48
        .size:           8
        .value_kind:     global_buffer
      - .actual_access:  read_only
        .address_space:  global
        .offset:         56
        .size:           8
        .value_kind:     global_buffer
      - .actual_access:  read_only
        .address_space:  global
        .offset:         64
        .size:           8
        .value_kind:     global_buffer
      - .actual_access:  read_only
        .address_space:  global
        .offset:         72
        .size:           8
        .value_kind:     global_buffer
      - .offset:         80
        .size:           8
        .value_kind:     by_value
      - .actual_access:  read_only
        .address_space:  global
        .offset:         88
        .size:           8
        .value_kind:     global_buffer
      - .actual_access:  read_only
        .address_space:  global
        .offset:         96
        .size:           8
        .value_kind:     global_buffer
      - .actual_access:  read_only
        .address_space:  global
        .offset:         104
        .size:           8
        .value_kind:     global_buffer
      - .actual_access:  read_only
        .address_space:  global
        .offset:         112
        .size:           8
        .value_kind:     global_buffer
      - .actual_access:  write_only
        .address_space:  global
        .offset:         120
        .size:           8
        .value_kind:     global_buffer
      - .actual_access:  write_only
        .address_space:  global
        .offset:         128
        .size:           8
        .value_kind:     global_buffer
      - .offset:         136
        .size:           4
        .value_kind:     by_value
      - .offset:         140
        .size:           4
        .value_kind:     by_value
      - .offset:         144
        .size:           4
        .value_kind:     by_value
      - .offset:         148
        .size:           4
        .value_kind:     by_value
      - .offset:         152
        .size:           1
        .value_kind:     by_value
      - .offset:         153
        .size:           1
        .value_kind:     by_value
      - .offset:         154
        .size:           1
        .value_kind:     by_value
    .group_segment_fixed_size: 0
    .kernarg_segment_align: 8
    .kernarg_segment_size: 156
    .language:       OpenCL C
    .language_version:
      - 2
      - 0
    .max_flat_workgroup_size: 128
    .name:           _ZN9rocsparseL26csrgemm_fill_block_per_rowILj128ELj16ELj256ELj137ELj32EllfEEvT5_PKS1_S3_NS_24const_host_device_scalarIT6_EEPKT4_S3_PKS5_S9_S3_SB_S6_S9_S3_SB_S9_PS1_PS5_21rocsparse_index_base_SE_SE_SE_bbb
    .private_segment_fixed_size: 0
    .sgpr_count:     61
    .sgpr_spill_count: 0
    .symbol:         _ZN9rocsparseL26csrgemm_fill_block_per_rowILj128ELj16ELj256ELj137ELj32EllfEEvT5_PKS1_S3_NS_24const_host_device_scalarIT6_EEPKT4_S3_PKS5_S9_S3_SB_S6_S9_S3_SB_S9_PS1_PS5_21rocsparse_index_base_SE_SE_SE_bbb.kd
    .uniform_work_group_size: 1
    .uses_dynamic_stack: false
    .vgpr_count:     25
    .vgpr_spill_count: 0
    .wavefront_size: 64
  - .agpr_count:     0
    .args:
      - .offset:         0
        .size:           8
        .value_kind:     by_value
      - .actual_access:  read_only
        .address_space:  global
        .offset:         8
        .size:           8
        .value_kind:     global_buffer
      - .actual_access:  read_only
        .address_space:  global
        .offset:         16
        .size:           8
        .value_kind:     global_buffer
      - .offset:         24
        .size:           8
        .value_kind:     by_value
      - .actual_access:  read_only
        .address_space:  global
        .offset:         32
        .size:           8
        .value_kind:     global_buffer
      - .actual_access:  read_only
        .address_space:  global
        .offset:         40
        .size:           8
        .value_kind:     global_buffer
      - .actual_access:  read_only
        .address_space:  global
        .offset:         48
        .size:           8
        .value_kind:     global_buffer
      - .actual_access:  read_only
        .address_space:  global
        .offset:         56
        .size:           8
        .value_kind:     global_buffer
      - .actual_access:  read_only
        .address_space:  global
        .offset:         64
        .size:           8
        .value_kind:     global_buffer
      - .actual_access:  read_only
        .address_space:  global
        .offset:         72
        .size:           8
        .value_kind:     global_buffer
      - .offset:         80
        .size:           8
        .value_kind:     by_value
      - .actual_access:  read_only
        .address_space:  global
        .offset:         88
        .size:           8
        .value_kind:     global_buffer
      - .actual_access:  read_only
        .address_space:  global
        .offset:         96
        .size:           8
        .value_kind:     global_buffer
      - .actual_access:  read_only
        .address_space:  global
        .offset:         104
        .size:           8
        .value_kind:     global_buffer
      - .actual_access:  read_only
        .address_space:  global
        .offset:         112
        .size:           8
        .value_kind:     global_buffer
      - .actual_access:  write_only
        .address_space:  global
        .offset:         120
        .size:           8
        .value_kind:     global_buffer
      - .actual_access:  write_only
        .address_space:  global
        .offset:         128
        .size:           8
        .value_kind:     global_buffer
      - .offset:         136
        .size:           4
        .value_kind:     by_value
      - .offset:         140
        .size:           4
        .value_kind:     by_value
      - .offset:         144
        .size:           4
        .value_kind:     by_value
      - .offset:         148
        .size:           4
        .value_kind:     by_value
      - .offset:         152
        .size:           1
        .value_kind:     by_value
      - .offset:         153
        .size:           1
        .value_kind:     by_value
      - .offset:         154
        .size:           1
        .value_kind:     by_value
    .group_segment_fixed_size: 0
    .kernarg_segment_align: 8
    .kernarg_segment_size: 156
    .language:       OpenCL C
    .language_version:
      - 2
      - 0
    .max_flat_workgroup_size: 128
    .name:           _ZN9rocsparseL26csrgemm_fill_block_per_rowILj128ELj16ELj256ELj137ELj64EllfEEvT5_PKS1_S3_NS_24const_host_device_scalarIT6_EEPKT4_S3_PKS5_S9_S3_SB_S6_S9_S3_SB_S9_PS1_PS5_21rocsparse_index_base_SE_SE_SE_bbb
    .private_segment_fixed_size: 0
    .sgpr_count:     61
    .sgpr_spill_count: 0
    .symbol:         _ZN9rocsparseL26csrgemm_fill_block_per_rowILj128ELj16ELj256ELj137ELj64EllfEEvT5_PKS1_S3_NS_24const_host_device_scalarIT6_EEPKT4_S3_PKS5_S9_S3_SB_S6_S9_S3_SB_S9_PS1_PS5_21rocsparse_index_base_SE_SE_SE_bbb.kd
    .uniform_work_group_size: 1
    .uses_dynamic_stack: false
    .vgpr_count:     25
    .vgpr_spill_count: 0
    .wavefront_size: 64
  - .agpr_count:     0
    .args:
      - .offset:         0
        .size:           8
        .value_kind:     by_value
      - .actual_access:  read_only
        .address_space:  global
        .offset:         8
        .size:           8
        .value_kind:     global_buffer
      - .actual_access:  read_only
        .address_space:  global
        .offset:         16
        .size:           8
        .value_kind:     global_buffer
      - .offset:         24
        .size:           8
        .value_kind:     by_value
      - .actual_access:  read_only
        .address_space:  global
        .offset:         32
        .size:           8
        .value_kind:     global_buffer
      - .actual_access:  read_only
        .address_space:  global
        .offset:         40
        .size:           8
        .value_kind:     global_buffer
      - .actual_access:  read_only
        .address_space:  global
        .offset:         48
        .size:           8
        .value_kind:     global_buffer
      - .actual_access:  read_only
        .address_space:  global
        .offset:         56
        .size:           8
        .value_kind:     global_buffer
      - .actual_access:  read_only
        .address_space:  global
        .offset:         64
        .size:           8
        .value_kind:     global_buffer
      - .actual_access:  read_only
        .address_space:  global
        .offset:         72
        .size:           8
        .value_kind:     global_buffer
      - .offset:         80
        .size:           8
        .value_kind:     by_value
      - .actual_access:  read_only
        .address_space:  global
        .offset:         88
        .size:           8
        .value_kind:     global_buffer
      - .actual_access:  read_only
        .address_space:  global
        .offset:         96
        .size:           8
        .value_kind:     global_buffer
      - .actual_access:  read_only
        .address_space:  global
        .offset:         104
        .size:           8
        .value_kind:     global_buffer
      - .actual_access:  read_only
        .address_space:  global
        .offset:         112
        .size:           8
        .value_kind:     global_buffer
      - .actual_access:  write_only
        .address_space:  global
        .offset:         120
        .size:           8
        .value_kind:     global_buffer
      - .actual_access:  write_only
        .address_space:  global
        .offset:         128
        .size:           8
        .value_kind:     global_buffer
      - .offset:         136
        .size:           4
        .value_kind:     by_value
      - .offset:         140
        .size:           4
        .value_kind:     by_value
      - .offset:         144
        .size:           4
        .value_kind:     by_value
      - .offset:         148
        .size:           4
        .value_kind:     by_value
      - .offset:         152
        .size:           1
        .value_kind:     by_value
      - .offset:         153
        .size:           1
        .value_kind:     by_value
      - .offset:         154
        .size:           1
        .value_kind:     by_value
    .group_segment_fixed_size: 0
    .kernarg_segment_align: 8
    .kernarg_segment_size: 156
    .language:       OpenCL C
    .language_version:
      - 2
      - 0
    .max_flat_workgroup_size: 256
    .name:           _ZN9rocsparseL26csrgemm_fill_block_per_rowILj256ELj32ELj512ELj137ELj32EllfEEvT5_PKS1_S3_NS_24const_host_device_scalarIT6_EEPKT4_S3_PKS5_S9_S3_SB_S6_S9_S3_SB_S9_PS1_PS5_21rocsparse_index_base_SE_SE_SE_bbb
    .private_segment_fixed_size: 0
    .sgpr_count:     61
    .sgpr_spill_count: 0
    .symbol:         _ZN9rocsparseL26csrgemm_fill_block_per_rowILj256ELj32ELj512ELj137ELj32EllfEEvT5_PKS1_S3_NS_24const_host_device_scalarIT6_EEPKT4_S3_PKS5_S9_S3_SB_S6_S9_S3_SB_S9_PS1_PS5_21rocsparse_index_base_SE_SE_SE_bbb.kd
    .uniform_work_group_size: 1
    .uses_dynamic_stack: false
    .vgpr_count:     26
    .vgpr_spill_count: 0
    .wavefront_size: 64
  - .agpr_count:     0
    .args:
      - .offset:         0
        .size:           8
        .value_kind:     by_value
      - .actual_access:  read_only
        .address_space:  global
        .offset:         8
        .size:           8
        .value_kind:     global_buffer
      - .actual_access:  read_only
        .address_space:  global
        .offset:         16
        .size:           8
        .value_kind:     global_buffer
      - .offset:         24
        .size:           8
        .value_kind:     by_value
      - .actual_access:  read_only
        .address_space:  global
        .offset:         32
        .size:           8
        .value_kind:     global_buffer
      - .actual_access:  read_only
        .address_space:  global
        .offset:         40
        .size:           8
        .value_kind:     global_buffer
      - .actual_access:  read_only
        .address_space:  global
        .offset:         48
        .size:           8
        .value_kind:     global_buffer
      - .actual_access:  read_only
        .address_space:  global
        .offset:         56
        .size:           8
        .value_kind:     global_buffer
      - .actual_access:  read_only
        .address_space:  global
        .offset:         64
        .size:           8
        .value_kind:     global_buffer
      - .actual_access:  read_only
        .address_space:  global
        .offset:         72
        .size:           8
        .value_kind:     global_buffer
      - .offset:         80
        .size:           8
        .value_kind:     by_value
      - .actual_access:  read_only
        .address_space:  global
        .offset:         88
        .size:           8
        .value_kind:     global_buffer
      - .actual_access:  read_only
        .address_space:  global
        .offset:         96
        .size:           8
        .value_kind:     global_buffer
      - .actual_access:  read_only
        .address_space:  global
        .offset:         104
        .size:           8
        .value_kind:     global_buffer
      - .actual_access:  read_only
        .address_space:  global
        .offset:         112
        .size:           8
        .value_kind:     global_buffer
      - .actual_access:  write_only
        .address_space:  global
        .offset:         120
        .size:           8
        .value_kind:     global_buffer
      - .actual_access:  write_only
        .address_space:  global
        .offset:         128
        .size:           8
        .value_kind:     global_buffer
      - .offset:         136
        .size:           4
        .value_kind:     by_value
      - .offset:         140
        .size:           4
        .value_kind:     by_value
      - .offset:         144
        .size:           4
        .value_kind:     by_value
      - .offset:         148
        .size:           4
        .value_kind:     by_value
      - .offset:         152
        .size:           1
        .value_kind:     by_value
      - .offset:         153
        .size:           1
        .value_kind:     by_value
      - .offset:         154
        .size:           1
        .value_kind:     by_value
    .group_segment_fixed_size: 0
    .kernarg_segment_align: 8
    .kernarg_segment_size: 156
    .language:       OpenCL C
    .language_version:
      - 2
      - 0
    .max_flat_workgroup_size: 256
    .name:           _ZN9rocsparseL26csrgemm_fill_block_per_rowILj256ELj32ELj512ELj137ELj64EllfEEvT5_PKS1_S3_NS_24const_host_device_scalarIT6_EEPKT4_S3_PKS5_S9_S3_SB_S6_S9_S3_SB_S9_PS1_PS5_21rocsparse_index_base_SE_SE_SE_bbb
    .private_segment_fixed_size: 0
    .sgpr_count:     61
    .sgpr_spill_count: 0
    .symbol:         _ZN9rocsparseL26csrgemm_fill_block_per_rowILj256ELj32ELj512ELj137ELj64EllfEEvT5_PKS1_S3_NS_24const_host_device_scalarIT6_EEPKT4_S3_PKS5_S9_S3_SB_S6_S9_S3_SB_S9_PS1_PS5_21rocsparse_index_base_SE_SE_SE_bbb.kd
    .uniform_work_group_size: 1
    .uses_dynamic_stack: false
    .vgpr_count:     25
    .vgpr_spill_count: 0
    .wavefront_size: 64
  - .agpr_count:     0
    .args:
      - .offset:         0
        .size:           8
        .value_kind:     by_value
      - .actual_access:  read_only
        .address_space:  global
        .offset:         8
        .size:           8
        .value_kind:     global_buffer
      - .actual_access:  read_only
        .address_space:  global
        .offset:         16
        .size:           8
        .value_kind:     global_buffer
      - .offset:         24
        .size:           8
        .value_kind:     by_value
      - .actual_access:  read_only
        .address_space:  global
        .offset:         32
        .size:           8
        .value_kind:     global_buffer
      - .actual_access:  read_only
        .address_space:  global
        .offset:         40
        .size:           8
        .value_kind:     global_buffer
      - .actual_access:  read_only
        .address_space:  global
        .offset:         48
        .size:           8
        .value_kind:     global_buffer
      - .actual_access:  read_only
        .address_space:  global
        .offset:         56
        .size:           8
        .value_kind:     global_buffer
      - .actual_access:  read_only
        .address_space:  global
        .offset:         64
        .size:           8
        .value_kind:     global_buffer
      - .actual_access:  read_only
        .address_space:  global
        .offset:         72
        .size:           8
        .value_kind:     global_buffer
      - .offset:         80
        .size:           8
        .value_kind:     by_value
      - .actual_access:  read_only
        .address_space:  global
        .offset:         88
        .size:           8
        .value_kind:     global_buffer
      - .actual_access:  read_only
        .address_space:  global
        .offset:         96
        .size:           8
        .value_kind:     global_buffer
      - .actual_access:  read_only
        .address_space:  global
        .offset:         104
        .size:           8
        .value_kind:     global_buffer
      - .actual_access:  read_only
        .address_space:  global
        .offset:         112
        .size:           8
        .value_kind:     global_buffer
      - .actual_access:  write_only
        .address_space:  global
        .offset:         120
        .size:           8
        .value_kind:     global_buffer
      - .actual_access:  write_only
        .address_space:  global
        .offset:         128
        .size:           8
        .value_kind:     global_buffer
      - .offset:         136
        .size:           4
        .value_kind:     by_value
      - .offset:         140
        .size:           4
        .value_kind:     by_value
      - .offset:         144
        .size:           4
        .value_kind:     by_value
      - .offset:         148
        .size:           4
        .value_kind:     by_value
      - .offset:         152
        .size:           1
        .value_kind:     by_value
      - .offset:         153
        .size:           1
        .value_kind:     by_value
      - .offset:         154
        .size:           1
        .value_kind:     by_value
    .group_segment_fixed_size: 0
    .kernarg_segment_align: 8
    .kernarg_segment_size: 156
    .language:       OpenCL C
    .language_version:
      - 2
      - 0
    .max_flat_workgroup_size: 512
    .name:           _ZN9rocsparseL26csrgemm_fill_block_per_rowILj512ELj32ELj1024ELj137ELj32EllfEEvT5_PKS1_S3_NS_24const_host_device_scalarIT6_EEPKT4_S3_PKS5_S9_S3_SB_S6_S9_S3_SB_S9_PS1_PS5_21rocsparse_index_base_SE_SE_SE_bbb
    .private_segment_fixed_size: 0
    .sgpr_count:     59
    .sgpr_spill_count: 0
    .symbol:         _ZN9rocsparseL26csrgemm_fill_block_per_rowILj512ELj32ELj1024ELj137ELj32EllfEEvT5_PKS1_S3_NS_24const_host_device_scalarIT6_EEPKT4_S3_PKS5_S9_S3_SB_S6_S9_S3_SB_S9_PS1_PS5_21rocsparse_index_base_SE_SE_SE_bbb.kd
    .uniform_work_group_size: 1
    .uses_dynamic_stack: false
    .vgpr_count:     27
    .vgpr_spill_count: 0
    .wavefront_size: 64
  - .agpr_count:     0
    .args:
      - .offset:         0
        .size:           8
        .value_kind:     by_value
      - .actual_access:  read_only
        .address_space:  global
        .offset:         8
        .size:           8
        .value_kind:     global_buffer
      - .actual_access:  read_only
        .address_space:  global
        .offset:         16
        .size:           8
        .value_kind:     global_buffer
      - .offset:         24
        .size:           8
        .value_kind:     by_value
      - .actual_access:  read_only
        .address_space:  global
        .offset:         32
        .size:           8
        .value_kind:     global_buffer
      - .actual_access:  read_only
        .address_space:  global
        .offset:         40
        .size:           8
        .value_kind:     global_buffer
      - .actual_access:  read_only
        .address_space:  global
        .offset:         48
        .size:           8
        .value_kind:     global_buffer
      - .actual_access:  read_only
        .address_space:  global
        .offset:         56
        .size:           8
        .value_kind:     global_buffer
      - .actual_access:  read_only
        .address_space:  global
        .offset:         64
        .size:           8
        .value_kind:     global_buffer
      - .actual_access:  read_only
        .address_space:  global
        .offset:         72
        .size:           8
        .value_kind:     global_buffer
      - .offset:         80
        .size:           8
        .value_kind:     by_value
      - .actual_access:  read_only
        .address_space:  global
        .offset:         88
        .size:           8
        .value_kind:     global_buffer
      - .actual_access:  read_only
        .address_space:  global
        .offset:         96
        .size:           8
        .value_kind:     global_buffer
      - .actual_access:  read_only
        .address_space:  global
        .offset:         104
        .size:           8
        .value_kind:     global_buffer
      - .actual_access:  read_only
        .address_space:  global
        .offset:         112
        .size:           8
        .value_kind:     global_buffer
      - .actual_access:  write_only
        .address_space:  global
        .offset:         120
        .size:           8
        .value_kind:     global_buffer
      - .actual_access:  write_only
        .address_space:  global
        .offset:         128
        .size:           8
        .value_kind:     global_buffer
      - .offset:         136
        .size:           4
        .value_kind:     by_value
      - .offset:         140
        .size:           4
        .value_kind:     by_value
      - .offset:         144
        .size:           4
        .value_kind:     by_value
      - .offset:         148
        .size:           4
        .value_kind:     by_value
      - .offset:         152
        .size:           1
        .value_kind:     by_value
      - .offset:         153
        .size:           1
        .value_kind:     by_value
      - .offset:         154
        .size:           1
        .value_kind:     by_value
    .group_segment_fixed_size: 0
    .kernarg_segment_align: 8
    .kernarg_segment_size: 156
    .language:       OpenCL C
    .language_version:
      - 2
      - 0
    .max_flat_workgroup_size: 512
    .name:           _ZN9rocsparseL26csrgemm_fill_block_per_rowILj512ELj32ELj1024ELj137ELj64EllfEEvT5_PKS1_S3_NS_24const_host_device_scalarIT6_EEPKT4_S3_PKS5_S9_S3_SB_S6_S9_S3_SB_S9_PS1_PS5_21rocsparse_index_base_SE_SE_SE_bbb
    .private_segment_fixed_size: 0
    .sgpr_count:     59
    .sgpr_spill_count: 0
    .symbol:         _ZN9rocsparseL26csrgemm_fill_block_per_rowILj512ELj32ELj1024ELj137ELj64EllfEEvT5_PKS1_S3_NS_24const_host_device_scalarIT6_EEPKT4_S3_PKS5_S9_S3_SB_S6_S9_S3_SB_S9_PS1_PS5_21rocsparse_index_base_SE_SE_SE_bbb.kd
    .uniform_work_group_size: 1
    .uses_dynamic_stack: false
    .vgpr_count:     26
    .vgpr_spill_count: 0
    .wavefront_size: 64
  - .agpr_count:     0
    .args:
      - .offset:         0
        .size:           8
        .value_kind:     by_value
      - .actual_access:  read_only
        .address_space:  global
        .offset:         8
        .size:           8
        .value_kind:     global_buffer
      - .actual_access:  read_only
        .address_space:  global
        .offset:         16
        .size:           8
        .value_kind:     global_buffer
      - .offset:         24
        .size:           8
        .value_kind:     by_value
      - .actual_access:  read_only
        .address_space:  global
        .offset:         32
        .size:           8
        .value_kind:     global_buffer
      - .actual_access:  read_only
        .address_space:  global
        .offset:         40
        .size:           8
        .value_kind:     global_buffer
      - .actual_access:  read_only
        .address_space:  global
        .offset:         48
        .size:           8
        .value_kind:     global_buffer
      - .actual_access:  read_only
        .address_space:  global
        .offset:         56
        .size:           8
        .value_kind:     global_buffer
      - .actual_access:  read_only
        .address_space:  global
        .offset:         64
        .size:           8
        .value_kind:     global_buffer
      - .actual_access:  read_only
        .address_space:  global
        .offset:         72
        .size:           8
        .value_kind:     global_buffer
      - .offset:         80
        .size:           8
        .value_kind:     by_value
      - .actual_access:  read_only
        .address_space:  global
        .offset:         88
        .size:           8
        .value_kind:     global_buffer
      - .actual_access:  read_only
        .address_space:  global
        .offset:         96
        .size:           8
        .value_kind:     global_buffer
      - .actual_access:  read_only
        .address_space:  global
        .offset:         104
        .size:           8
        .value_kind:     global_buffer
      - .actual_access:  read_only
        .address_space:  global
        .offset:         112
        .size:           8
        .value_kind:     global_buffer
      - .actual_access:  write_only
        .address_space:  global
        .offset:         120
        .size:           8
        .value_kind:     global_buffer
      - .actual_access:  write_only
        .address_space:  global
        .offset:         128
        .size:           8
        .value_kind:     global_buffer
      - .offset:         136
        .size:           4
        .value_kind:     by_value
      - .offset:         140
        .size:           4
        .value_kind:     by_value
      - .offset:         144
        .size:           4
        .value_kind:     by_value
      - .offset:         148
        .size:           4
        .value_kind:     by_value
      - .offset:         152
        .size:           1
        .value_kind:     by_value
      - .offset:         153
        .size:           1
        .value_kind:     by_value
      - .offset:         154
        .size:           1
        .value_kind:     by_value
    .group_segment_fixed_size: 0
    .kernarg_segment_align: 8
    .kernarg_segment_size: 156
    .language:       OpenCL C
    .language_version:
      - 2
      - 0
    .max_flat_workgroup_size: 1024
    .name:           _ZN9rocsparseL26csrgemm_fill_block_per_rowILj1024ELj32ELj2048ELj137ELj32EllfEEvT5_PKS1_S3_NS_24const_host_device_scalarIT6_EEPKT4_S3_PKS5_S9_S3_SB_S6_S9_S3_SB_S9_PS1_PS5_21rocsparse_index_base_SE_SE_SE_bbb
    .private_segment_fixed_size: 0
    .sgpr_count:     86
    .sgpr_spill_count: 0
    .symbol:         _ZN9rocsparseL26csrgemm_fill_block_per_rowILj1024ELj32ELj2048ELj137ELj32EllfEEvT5_PKS1_S3_NS_24const_host_device_scalarIT6_EEPKT4_S3_PKS5_S9_S3_SB_S6_S9_S3_SB_S9_PS1_PS5_21rocsparse_index_base_SE_SE_SE_bbb.kd
    .uniform_work_group_size: 1
    .uses_dynamic_stack: false
    .vgpr_count:     27
    .vgpr_spill_count: 0
    .wavefront_size: 64
  - .agpr_count:     0
    .args:
      - .offset:         0
        .size:           8
        .value_kind:     by_value
      - .actual_access:  read_only
        .address_space:  global
        .offset:         8
        .size:           8
        .value_kind:     global_buffer
      - .actual_access:  read_only
        .address_space:  global
        .offset:         16
        .size:           8
        .value_kind:     global_buffer
      - .offset:         24
        .size:           8
        .value_kind:     by_value
      - .actual_access:  read_only
        .address_space:  global
        .offset:         32
        .size:           8
        .value_kind:     global_buffer
      - .actual_access:  read_only
        .address_space:  global
        .offset:         40
        .size:           8
        .value_kind:     global_buffer
      - .actual_access:  read_only
        .address_space:  global
        .offset:         48
        .size:           8
        .value_kind:     global_buffer
      - .actual_access:  read_only
        .address_space:  global
        .offset:         56
        .size:           8
        .value_kind:     global_buffer
      - .actual_access:  read_only
        .address_space:  global
        .offset:         64
        .size:           8
        .value_kind:     global_buffer
      - .actual_access:  read_only
        .address_space:  global
        .offset:         72
        .size:           8
        .value_kind:     global_buffer
      - .offset:         80
        .size:           8
        .value_kind:     by_value
      - .actual_access:  read_only
        .address_space:  global
        .offset:         88
        .size:           8
        .value_kind:     global_buffer
      - .actual_access:  read_only
        .address_space:  global
        .offset:         96
        .size:           8
        .value_kind:     global_buffer
      - .actual_access:  read_only
        .address_space:  global
        .offset:         104
        .size:           8
        .value_kind:     global_buffer
      - .actual_access:  read_only
        .address_space:  global
        .offset:         112
        .size:           8
        .value_kind:     global_buffer
      - .actual_access:  write_only
        .address_space:  global
        .offset:         120
        .size:           8
        .value_kind:     global_buffer
      - .actual_access:  write_only
        .address_space:  global
        .offset:         128
        .size:           8
        .value_kind:     global_buffer
      - .offset:         136
        .size:           4
        .value_kind:     by_value
      - .offset:         140
        .size:           4
        .value_kind:     by_value
      - .offset:         144
        .size:           4
        .value_kind:     by_value
      - .offset:         148
        .size:           4
        .value_kind:     by_value
      - .offset:         152
        .size:           1
        .value_kind:     by_value
      - .offset:         153
        .size:           1
        .value_kind:     by_value
      - .offset:         154
        .size:           1
        .value_kind:     by_value
    .group_segment_fixed_size: 0
    .kernarg_segment_align: 8
    .kernarg_segment_size: 156
    .language:       OpenCL C
    .language_version:
      - 2
      - 0
    .max_flat_workgroup_size: 1024
    .name:           _ZN9rocsparseL26csrgemm_fill_block_per_rowILj1024ELj32ELj2048ELj137ELj64EllfEEvT5_PKS1_S3_NS_24const_host_device_scalarIT6_EEPKT4_S3_PKS5_S9_S3_SB_S6_S9_S3_SB_S9_PS1_PS5_21rocsparse_index_base_SE_SE_SE_bbb
    .private_segment_fixed_size: 0
    .sgpr_count:     59
    .sgpr_spill_count: 0
    .symbol:         _ZN9rocsparseL26csrgemm_fill_block_per_rowILj1024ELj32ELj2048ELj137ELj64EllfEEvT5_PKS1_S3_NS_24const_host_device_scalarIT6_EEPKT4_S3_PKS5_S9_S3_SB_S6_S9_S3_SB_S9_PS1_PS5_21rocsparse_index_base_SE_SE_SE_bbb.kd
    .uniform_work_group_size: 1
    .uses_dynamic_stack: false
    .vgpr_count:     26
    .vgpr_spill_count: 0
    .wavefront_size: 64
  - .agpr_count:     0
    .args:
      - .offset:         0
        .size:           8
        .value_kind:     by_value
      - .actual_access:  read_only
        .address_space:  global
        .offset:         8
        .size:           8
        .value_kind:     global_buffer
      - .actual_access:  read_only
        .address_space:  global
        .offset:         16
        .size:           8
        .value_kind:     global_buffer
      - .offset:         24
        .size:           8
        .value_kind:     by_value
      - .actual_access:  read_only
        .address_space:  global
        .offset:         32
        .size:           8
        .value_kind:     global_buffer
      - .actual_access:  read_only
        .address_space:  global
        .offset:         40
        .size:           8
        .value_kind:     global_buffer
      - .actual_access:  read_only
        .address_space:  global
        .offset:         48
        .size:           8
        .value_kind:     global_buffer
      - .actual_access:  read_only
        .address_space:  global
        .offset:         56
        .size:           8
        .value_kind:     global_buffer
      - .actual_access:  read_only
        .address_space:  global
        .offset:         64
        .size:           8
        .value_kind:     global_buffer
      - .actual_access:  read_only
        .address_space:  global
        .offset:         72
        .size:           8
        .value_kind:     global_buffer
      - .offset:         80
        .size:           8
        .value_kind:     by_value
      - .actual_access:  read_only
        .address_space:  global
        .offset:         88
        .size:           8
        .value_kind:     global_buffer
      - .actual_access:  read_only
        .address_space:  global
        .offset:         96
        .size:           8
        .value_kind:     global_buffer
      - .actual_access:  read_only
        .address_space:  global
        .offset:         104
        .size:           8
        .value_kind:     global_buffer
      - .actual_access:  read_only
        .address_space:  global
        .offset:         112
        .size:           8
        .value_kind:     global_buffer
      - .actual_access:  write_only
        .address_space:  global
        .offset:         120
        .size:           8
        .value_kind:     global_buffer
      - .actual_access:  write_only
        .address_space:  global
        .offset:         128
        .size:           8
        .value_kind:     global_buffer
      - .offset:         136
        .size:           4
        .value_kind:     by_value
      - .offset:         140
        .size:           4
        .value_kind:     by_value
      - .offset:         144
        .size:           4
        .value_kind:     by_value
      - .offset:         148
        .size:           4
        .value_kind:     by_value
      - .offset:         152
        .size:           1
        .value_kind:     by_value
      - .offset:         153
        .size:           1
        .value_kind:     by_value
      - .offset:         154
        .size:           1
        .value_kind:     by_value
    .group_segment_fixed_size: 0
    .kernarg_segment_align: 8
    .kernarg_segment_size: 156
    .language:       OpenCL C
    .language_version:
      - 2
      - 0
    .max_flat_workgroup_size: 1024
    .name:           _ZN9rocsparseL26csrgemm_fill_block_per_rowILj1024ELj64ELj4096ELj137ELj32EllfEEvT5_PKS1_S3_NS_24const_host_device_scalarIT6_EEPKT4_S3_PKS5_S9_S3_SB_S6_S9_S3_SB_S9_PS1_PS5_21rocsparse_index_base_SE_SE_SE_bbb
    .private_segment_fixed_size: 0
    .sgpr_count:     86
    .sgpr_spill_count: 0
    .symbol:         _ZN9rocsparseL26csrgemm_fill_block_per_rowILj1024ELj64ELj4096ELj137ELj32EllfEEvT5_PKS1_S3_NS_24const_host_device_scalarIT6_EEPKT4_S3_PKS5_S9_S3_SB_S6_S9_S3_SB_S9_PS1_PS5_21rocsparse_index_base_SE_SE_SE_bbb.kd
    .uniform_work_group_size: 1
    .uses_dynamic_stack: false
    .vgpr_count:     26
    .vgpr_spill_count: 0
    .wavefront_size: 64
  - .agpr_count:     0
    .args:
      - .offset:         0
        .size:           8
        .value_kind:     by_value
      - .actual_access:  read_only
        .address_space:  global
        .offset:         8
        .size:           8
        .value_kind:     global_buffer
      - .actual_access:  read_only
        .address_space:  global
        .offset:         16
        .size:           8
        .value_kind:     global_buffer
      - .offset:         24
        .size:           8
        .value_kind:     by_value
      - .actual_access:  read_only
        .address_space:  global
        .offset:         32
        .size:           8
        .value_kind:     global_buffer
      - .actual_access:  read_only
        .address_space:  global
        .offset:         40
        .size:           8
        .value_kind:     global_buffer
      - .actual_access:  read_only
        .address_space:  global
        .offset:         48
        .size:           8
        .value_kind:     global_buffer
      - .actual_access:  read_only
        .address_space:  global
        .offset:         56
        .size:           8
        .value_kind:     global_buffer
      - .actual_access:  read_only
        .address_space:  global
        .offset:         64
        .size:           8
        .value_kind:     global_buffer
      - .actual_access:  read_only
        .address_space:  global
        .offset:         72
        .size:           8
        .value_kind:     global_buffer
      - .offset:         80
        .size:           8
        .value_kind:     by_value
      - .actual_access:  read_only
        .address_space:  global
        .offset:         88
        .size:           8
        .value_kind:     global_buffer
      - .actual_access:  read_only
        .address_space:  global
        .offset:         96
        .size:           8
        .value_kind:     global_buffer
      - .actual_access:  read_only
        .address_space:  global
        .offset:         104
        .size:           8
        .value_kind:     global_buffer
      - .actual_access:  read_only
        .address_space:  global
        .offset:         112
        .size:           8
        .value_kind:     global_buffer
      - .actual_access:  write_only
        .address_space:  global
        .offset:         120
        .size:           8
        .value_kind:     global_buffer
      - .actual_access:  write_only
        .address_space:  global
        .offset:         128
        .size:           8
        .value_kind:     global_buffer
      - .offset:         136
        .size:           4
        .value_kind:     by_value
      - .offset:         140
        .size:           4
        .value_kind:     by_value
      - .offset:         144
        .size:           4
        .value_kind:     by_value
      - .offset:         148
        .size:           4
        .value_kind:     by_value
      - .offset:         152
        .size:           1
        .value_kind:     by_value
      - .offset:         153
        .size:           1
        .value_kind:     by_value
      - .offset:         154
        .size:           1
        .value_kind:     by_value
    .group_segment_fixed_size: 0
    .kernarg_segment_align: 8
    .kernarg_segment_size: 156
    .language:       OpenCL C
    .language_version:
      - 2
      - 0
    .max_flat_workgroup_size: 1024
    .name:           _ZN9rocsparseL26csrgemm_fill_block_per_rowILj1024ELj64ELj4096ELj137ELj64EllfEEvT5_PKS1_S3_NS_24const_host_device_scalarIT6_EEPKT4_S3_PKS5_S9_S3_SB_S6_S9_S3_SB_S9_PS1_PS5_21rocsparse_index_base_SE_SE_SE_bbb
    .private_segment_fixed_size: 0
    .sgpr_count:     59
    .sgpr_spill_count: 0
    .symbol:         _ZN9rocsparseL26csrgemm_fill_block_per_rowILj1024ELj64ELj4096ELj137ELj64EllfEEvT5_PKS1_S3_NS_24const_host_device_scalarIT6_EEPKT4_S3_PKS5_S9_S3_SB_S6_S9_S3_SB_S9_PS1_PS5_21rocsparse_index_base_SE_SE_SE_bbb.kd
    .uniform_work_group_size: 1
    .uses_dynamic_stack: false
    .vgpr_count:     27
    .vgpr_spill_count: 0
    .wavefront_size: 64
  - .agpr_count:     0
    .args:
      - .offset:         0
        .size:           8
        .value_kind:     by_value
      - .actual_access:  read_only
        .address_space:  global
        .offset:         8
        .size:           8
        .value_kind:     global_buffer
      - .actual_access:  read_only
        .address_space:  global
        .offset:         16
        .size:           8
        .value_kind:     global_buffer
      - .offset:         24
        .size:           8
        .value_kind:     by_value
      - .actual_access:  read_only
        .address_space:  global
        .offset:         32
        .size:           8
        .value_kind:     global_buffer
      - .actual_access:  read_only
        .address_space:  global
        .offset:         40
        .size:           8
        .value_kind:     global_buffer
      - .actual_access:  read_only
        .address_space:  global
        .offset:         48
        .size:           8
        .value_kind:     global_buffer
      - .actual_access:  read_only
        .address_space:  global
        .offset:         56
        .size:           8
        .value_kind:     global_buffer
      - .actual_access:  read_only
        .address_space:  global
        .offset:         64
        .size:           8
        .value_kind:     global_buffer
      - .actual_access:  read_only
        .address_space:  global
        .offset:         72
        .size:           8
        .value_kind:     global_buffer
      - .offset:         80
        .size:           8
        .value_kind:     by_value
      - .actual_access:  read_only
        .address_space:  global
        .offset:         88
        .size:           8
        .value_kind:     global_buffer
      - .actual_access:  read_only
        .address_space:  global
        .offset:         96
        .size:           8
        .value_kind:     global_buffer
      - .actual_access:  read_only
        .address_space:  global
        .offset:         104
        .size:           8
        .value_kind:     global_buffer
      - .actual_access:  read_only
        .address_space:  global
        .offset:         112
        .size:           8
        .value_kind:     global_buffer
      - .actual_access:  write_only
        .address_space:  global
        .offset:         120
        .size:           8
        .value_kind:     global_buffer
      - .actual_access:  write_only
        .address_space:  global
        .offset:         128
        .size:           8
        .value_kind:     global_buffer
      - .offset:         136
        .size:           4
        .value_kind:     by_value
      - .offset:         140
        .size:           4
        .value_kind:     by_value
      - .offset:         144
        .size:           4
        .value_kind:     by_value
      - .offset:         148
        .size:           4
        .value_kind:     by_value
      - .offset:         152
        .size:           1
        .value_kind:     by_value
      - .offset:         153
        .size:           1
        .value_kind:     by_value
      - .offset:         154
        .size:           1
        .value_kind:     by_value
    .group_segment_fixed_size: 0
    .kernarg_segment_align: 8
    .kernarg_segment_size: 156
    .language:       OpenCL C
    .language_version:
      - 2
      - 0
    .max_flat_workgroup_size: 1024
    .name:           _ZN9rocsparseL26csrgemm_fill_block_per_rowILj1024ELj64ELj8192ELj137ELj32EllfEEvT5_PKS1_S3_NS_24const_host_device_scalarIT6_EEPKT4_S3_PKS5_S9_S3_SB_S6_S9_S3_SB_S9_PS1_PS5_21rocsparse_index_base_SE_SE_SE_bbb
    .private_segment_fixed_size: 0
    .sgpr_count:     100
    .sgpr_spill_count: 22
    .symbol:         _ZN9rocsparseL26csrgemm_fill_block_per_rowILj1024ELj64ELj8192ELj137ELj32EllfEEvT5_PKS1_S3_NS_24const_host_device_scalarIT6_EEPKT4_S3_PKS5_S9_S3_SB_S6_S9_S3_SB_S9_PS1_PS5_21rocsparse_index_base_SE_SE_SE_bbb.kd
    .uniform_work_group_size: 1
    .uses_dynamic_stack: false
    .vgpr_count:     26
    .vgpr_spill_count: 0
    .wavefront_size: 64
  - .agpr_count:     0
    .args:
      - .offset:         0
        .size:           8
        .value_kind:     by_value
      - .actual_access:  read_only
        .address_space:  global
        .offset:         8
        .size:           8
        .value_kind:     global_buffer
      - .actual_access:  read_only
        .address_space:  global
        .offset:         16
        .size:           8
        .value_kind:     global_buffer
      - .offset:         24
        .size:           8
        .value_kind:     by_value
      - .actual_access:  read_only
        .address_space:  global
        .offset:         32
        .size:           8
        .value_kind:     global_buffer
      - .actual_access:  read_only
        .address_space:  global
        .offset:         40
        .size:           8
        .value_kind:     global_buffer
      - .actual_access:  read_only
        .address_space:  global
        .offset:         48
        .size:           8
        .value_kind:     global_buffer
      - .actual_access:  read_only
        .address_space:  global
        .offset:         56
        .size:           8
        .value_kind:     global_buffer
      - .actual_access:  read_only
        .address_space:  global
        .offset:         64
        .size:           8
        .value_kind:     global_buffer
      - .actual_access:  read_only
        .address_space:  global
        .offset:         72
        .size:           8
        .value_kind:     global_buffer
      - .offset:         80
        .size:           8
        .value_kind:     by_value
      - .actual_access:  read_only
        .address_space:  global
        .offset:         88
        .size:           8
        .value_kind:     global_buffer
      - .actual_access:  read_only
        .address_space:  global
        .offset:         96
        .size:           8
        .value_kind:     global_buffer
      - .actual_access:  read_only
        .address_space:  global
        .offset:         104
        .size:           8
        .value_kind:     global_buffer
      - .actual_access:  read_only
        .address_space:  global
        .offset:         112
        .size:           8
        .value_kind:     global_buffer
      - .actual_access:  write_only
        .address_space:  global
        .offset:         120
        .size:           8
        .value_kind:     global_buffer
      - .actual_access:  write_only
        .address_space:  global
        .offset:         128
        .size:           8
        .value_kind:     global_buffer
      - .offset:         136
        .size:           4
        .value_kind:     by_value
      - .offset:         140
        .size:           4
        .value_kind:     by_value
      - .offset:         144
        .size:           4
        .value_kind:     by_value
      - .offset:         148
        .size:           4
        .value_kind:     by_value
      - .offset:         152
        .size:           1
        .value_kind:     by_value
      - .offset:         153
        .size:           1
        .value_kind:     by_value
      - .offset:         154
        .size:           1
        .value_kind:     by_value
    .group_segment_fixed_size: 0
    .kernarg_segment_align: 8
    .kernarg_segment_size: 156
    .language:       OpenCL C
    .language_version:
      - 2
      - 0
    .max_flat_workgroup_size: 1024
    .name:           _ZN9rocsparseL26csrgemm_fill_block_per_rowILj1024ELj64ELj8192ELj137ELj64EllfEEvT5_PKS1_S3_NS_24const_host_device_scalarIT6_EEPKT4_S3_PKS5_S9_S3_SB_S6_S9_S3_SB_S9_PS1_PS5_21rocsparse_index_base_SE_SE_SE_bbb
    .private_segment_fixed_size: 0
    .sgpr_count:     69
    .sgpr_spill_count: 0
    .symbol:         _ZN9rocsparseL26csrgemm_fill_block_per_rowILj1024ELj64ELj8192ELj137ELj64EllfEEvT5_PKS1_S3_NS_24const_host_device_scalarIT6_EEPKT4_S3_PKS5_S9_S3_SB_S6_S9_S3_SB_S9_PS1_PS5_21rocsparse_index_base_SE_SE_SE_bbb.kd
    .uniform_work_group_size: 1
    .uses_dynamic_stack: false
    .vgpr_count:     26
    .vgpr_spill_count: 0
    .wavefront_size: 64
  - .agpr_count:     0
    .args:
      - .offset:         0
        .size:           8
        .value_kind:     by_value
      - .actual_access:  read_only
        .address_space:  global
        .offset:         8
        .size:           8
        .value_kind:     global_buffer
      - .actual_access:  read_only
        .address_space:  global
        .offset:         16
        .size:           8
        .value_kind:     global_buffer
      - .offset:         24
        .size:           8
        .value_kind:     by_value
      - .actual_access:  read_only
        .address_space:  global
        .offset:         32
        .size:           8
        .value_kind:     global_buffer
      - .actual_access:  read_only
        .address_space:  global
        .offset:         40
        .size:           8
        .value_kind:     global_buffer
      - .actual_access:  read_only
        .address_space:  global
        .offset:         48
        .size:           8
        .value_kind:     global_buffer
      - .actual_access:  read_only
        .address_space:  global
        .offset:         56
        .size:           8
        .value_kind:     global_buffer
      - .actual_access:  read_only
        .address_space:  global
        .offset:         64
        .size:           8
        .value_kind:     global_buffer
      - .actual_access:  read_only
        .address_space:  global
        .offset:         72
        .size:           8
        .value_kind:     global_buffer
      - .offset:         80
        .size:           8
        .value_kind:     by_value
      - .actual_access:  read_only
        .address_space:  global
        .offset:         88
        .size:           8
        .value_kind:     global_buffer
      - .actual_access:  read_only
        .address_space:  global
        .offset:         96
        .size:           8
        .value_kind:     global_buffer
      - .actual_access:  read_only
        .address_space:  global
        .offset:         104
        .size:           8
        .value_kind:     global_buffer
      - .actual_access:  read_only
        .address_space:  global
        .offset:         112
        .size:           8
        .value_kind:     global_buffer
      - .actual_access:  write_only
        .address_space:  global
        .offset:         120
        .size:           8
        .value_kind:     global_buffer
      - .actual_access:  write_only
        .address_space:  global
        .offset:         128
        .size:           8
        .value_kind:     global_buffer
      - .offset:         136
        .size:           4
        .value_kind:     by_value
      - .offset:         140
        .size:           4
        .value_kind:     by_value
      - .offset:         144
        .size:           4
        .value_kind:     by_value
      - .offset:         148
        .size:           4
        .value_kind:     by_value
      - .offset:         152
        .size:           1
        .value_kind:     by_value
      - .offset:         153
        .size:           1
        .value_kind:     by_value
      - .offset:         154
        .size:           1
        .value_kind:     by_value
    .group_segment_fixed_size: 0
    .kernarg_segment_align: 8
    .kernarg_segment_size: 156
    .language:       OpenCL C
    .language_version:
      - 2
      - 0
    .max_flat_workgroup_size: 1024
    .name:           _ZN9rocsparseL26csrgemm_fill_block_per_rowILj1024ELj64ELj16384ELj137ELj32EllfEEvT5_PKS1_S3_NS_24const_host_device_scalarIT6_EEPKT4_S3_PKS5_S9_S3_SB_S6_S9_S3_SB_S9_PS1_PS5_21rocsparse_index_base_SE_SE_SE_bbb
    .private_segment_fixed_size: 0
    .sgpr_count:     100
    .sgpr_spill_count: 28
    .symbol:         _ZN9rocsparseL26csrgemm_fill_block_per_rowILj1024ELj64ELj16384ELj137ELj32EllfEEvT5_PKS1_S3_NS_24const_host_device_scalarIT6_EEPKT4_S3_PKS5_S9_S3_SB_S6_S9_S3_SB_S9_PS1_PS5_21rocsparse_index_base_SE_SE_SE_bbb.kd
    .uniform_work_group_size: 1
    .uses_dynamic_stack: false
    .vgpr_count:     27
    .vgpr_spill_count: 0
    .wavefront_size: 64
  - .agpr_count:     0
    .args:
      - .offset:         0
        .size:           8
        .value_kind:     by_value
      - .actual_access:  read_only
        .address_space:  global
        .offset:         8
        .size:           8
        .value_kind:     global_buffer
      - .actual_access:  read_only
        .address_space:  global
        .offset:         16
        .size:           8
        .value_kind:     global_buffer
      - .offset:         24
        .size:           8
        .value_kind:     by_value
      - .actual_access:  read_only
        .address_space:  global
        .offset:         32
        .size:           8
        .value_kind:     global_buffer
      - .actual_access:  read_only
        .address_space:  global
        .offset:         40
        .size:           8
        .value_kind:     global_buffer
      - .actual_access:  read_only
        .address_space:  global
        .offset:         48
        .size:           8
        .value_kind:     global_buffer
      - .actual_access:  read_only
        .address_space:  global
        .offset:         56
        .size:           8
        .value_kind:     global_buffer
      - .actual_access:  read_only
        .address_space:  global
        .offset:         64
        .size:           8
        .value_kind:     global_buffer
      - .actual_access:  read_only
        .address_space:  global
        .offset:         72
        .size:           8
        .value_kind:     global_buffer
      - .offset:         80
        .size:           8
        .value_kind:     by_value
      - .actual_access:  read_only
        .address_space:  global
        .offset:         88
        .size:           8
        .value_kind:     global_buffer
      - .actual_access:  read_only
        .address_space:  global
        .offset:         96
        .size:           8
        .value_kind:     global_buffer
      - .actual_access:  read_only
        .address_space:  global
        .offset:         104
        .size:           8
        .value_kind:     global_buffer
      - .actual_access:  read_only
        .address_space:  global
        .offset:         112
        .size:           8
        .value_kind:     global_buffer
      - .actual_access:  write_only
        .address_space:  global
        .offset:         120
        .size:           8
        .value_kind:     global_buffer
      - .actual_access:  write_only
        .address_space:  global
        .offset:         128
        .size:           8
        .value_kind:     global_buffer
      - .offset:         136
        .size:           4
        .value_kind:     by_value
      - .offset:         140
        .size:           4
        .value_kind:     by_value
      - .offset:         144
        .size:           4
        .value_kind:     by_value
      - .offset:         148
        .size:           4
        .value_kind:     by_value
      - .offset:         152
        .size:           1
        .value_kind:     by_value
      - .offset:         153
        .size:           1
        .value_kind:     by_value
      - .offset:         154
        .size:           1
        .value_kind:     by_value
    .group_segment_fixed_size: 0
    .kernarg_segment_align: 8
    .kernarg_segment_size: 156
    .language:       OpenCL C
    .language_version:
      - 2
      - 0
    .max_flat_workgroup_size: 1024
    .name:           _ZN9rocsparseL26csrgemm_fill_block_per_rowILj1024ELj64ELj16384ELj137ELj64EllfEEvT5_PKS1_S3_NS_24const_host_device_scalarIT6_EEPKT4_S3_PKS5_S9_S3_SB_S6_S9_S3_SB_S9_PS1_PS5_21rocsparse_index_base_SE_SE_SE_bbb
    .private_segment_fixed_size: 0
    .sgpr_count:     69
    .sgpr_spill_count: 0
    .symbol:         _ZN9rocsparseL26csrgemm_fill_block_per_rowILj1024ELj64ELj16384ELj137ELj64EllfEEvT5_PKS1_S3_NS_24const_host_device_scalarIT6_EEPKT4_S3_PKS5_S9_S3_SB_S6_S9_S3_SB_S9_PS1_PS5_21rocsparse_index_base_SE_SE_SE_bbb.kd
    .uniform_work_group_size: 1
    .uses_dynamic_stack: false
    .vgpr_count:     27
    .vgpr_spill_count: 0
    .wavefront_size: 64
  - .agpr_count:     0
    .args:
      - .offset:         0
        .size:           8
        .value_kind:     by_value
      - .actual_access:  read_only
        .address_space:  global
        .offset:         8
        .size:           8
        .value_kind:     global_buffer
      - .actual_access:  read_only
        .address_space:  global
        .offset:         16
        .size:           8
        .value_kind:     global_buffer
      - .offset:         24
        .size:           8
        .value_kind:     by_value
      - .actual_access:  read_only
        .address_space:  global
        .offset:         32
        .size:           8
        .value_kind:     global_buffer
      - .actual_access:  read_only
        .address_space:  global
        .offset:         40
        .size:           8
        .value_kind:     global_buffer
      - .actual_access:  read_only
        .address_space:  global
        .offset:         48
        .size:           8
        .value_kind:     global_buffer
      - .actual_access:  read_only
        .address_space:  global
        .offset:         56
        .size:           8
        .value_kind:     global_buffer
      - .actual_access:  read_only
        .address_space:  global
        .offset:         64
        .size:           8
        .value_kind:     global_buffer
      - .actual_access:  read_only
        .address_space:  global
        .offset:         72
        .size:           8
        .value_kind:     global_buffer
      - .offset:         80
        .size:           8
        .value_kind:     by_value
      - .actual_access:  read_only
        .address_space:  global
        .offset:         88
        .size:           8
        .value_kind:     global_buffer
      - .actual_access:  read_only
        .address_space:  global
        .offset:         96
        .size:           8
        .value_kind:     global_buffer
      - .actual_access:  read_only
        .address_space:  global
        .offset:         104
        .size:           8
        .value_kind:     global_buffer
      - .actual_access:  read_only
        .address_space:  global
        .offset:         112
        .size:           8
        .value_kind:     global_buffer
      - .actual_access:  write_only
        .address_space:  global
        .offset:         120
        .size:           8
        .value_kind:     global_buffer
      - .actual_access:  write_only
        .address_space:  global
        .offset:         128
        .size:           8
        .value_kind:     global_buffer
      - .offset:         136
        .size:           4
        .value_kind:     by_value
      - .offset:         140
        .size:           4
        .value_kind:     by_value
      - .offset:         144
        .size:           4
        .value_kind:     by_value
      - .offset:         148
        .size:           4
        .value_kind:     by_value
      - .offset:         152
        .size:           1
        .value_kind:     by_value
      - .offset:         153
        .size:           1
        .value_kind:     by_value
      - .offset:         154
        .size:           1
        .value_kind:     by_value
    .group_segment_fixed_size: 0
    .kernarg_segment_align: 8
    .kernarg_segment_size: 156
    .language:       OpenCL C
    .language_version:
      - 2
      - 0
    .max_flat_workgroup_size: 1024
    .name:           _ZN9rocsparseL26csrgemm_fill_block_per_rowILj1024ELj64ELj32768ELj137ELj32EllfEEvT5_PKS1_S3_NS_24const_host_device_scalarIT6_EEPKT4_S3_PKS5_S9_S3_SB_S6_S9_S3_SB_S9_PS1_PS5_21rocsparse_index_base_SE_SE_SE_bbb
    .private_segment_fixed_size: 0
    .sgpr_count:     100
    .sgpr_spill_count: 28
    .symbol:         _ZN9rocsparseL26csrgemm_fill_block_per_rowILj1024ELj64ELj32768ELj137ELj32EllfEEvT5_PKS1_S3_NS_24const_host_device_scalarIT6_EEPKT4_S3_PKS5_S9_S3_SB_S6_S9_S3_SB_S9_PS1_PS5_21rocsparse_index_base_SE_SE_SE_bbb.kd
    .uniform_work_group_size: 1
    .uses_dynamic_stack: false
    .vgpr_count:     27
    .vgpr_spill_count: 0
    .wavefront_size: 64
  - .agpr_count:     0
    .args:
      - .offset:         0
        .size:           8
        .value_kind:     by_value
      - .actual_access:  read_only
        .address_space:  global
        .offset:         8
        .size:           8
        .value_kind:     global_buffer
      - .actual_access:  read_only
        .address_space:  global
        .offset:         16
        .size:           8
        .value_kind:     global_buffer
      - .offset:         24
        .size:           8
        .value_kind:     by_value
      - .actual_access:  read_only
        .address_space:  global
        .offset:         32
        .size:           8
        .value_kind:     global_buffer
      - .actual_access:  read_only
        .address_space:  global
        .offset:         40
        .size:           8
        .value_kind:     global_buffer
      - .actual_access:  read_only
        .address_space:  global
        .offset:         48
        .size:           8
        .value_kind:     global_buffer
      - .actual_access:  read_only
        .address_space:  global
        .offset:         56
        .size:           8
        .value_kind:     global_buffer
      - .actual_access:  read_only
        .address_space:  global
        .offset:         64
        .size:           8
        .value_kind:     global_buffer
      - .actual_access:  read_only
        .address_space:  global
        .offset:         72
        .size:           8
        .value_kind:     global_buffer
      - .offset:         80
        .size:           8
        .value_kind:     by_value
      - .actual_access:  read_only
        .address_space:  global
        .offset:         88
        .size:           8
        .value_kind:     global_buffer
      - .actual_access:  read_only
        .address_space:  global
        .offset:         96
        .size:           8
        .value_kind:     global_buffer
      - .actual_access:  read_only
        .address_space:  global
        .offset:         104
        .size:           8
        .value_kind:     global_buffer
      - .actual_access:  read_only
        .address_space:  global
        .offset:         112
        .size:           8
        .value_kind:     global_buffer
      - .actual_access:  write_only
        .address_space:  global
        .offset:         120
        .size:           8
        .value_kind:     global_buffer
      - .actual_access:  write_only
        .address_space:  global
        .offset:         128
        .size:           8
        .value_kind:     global_buffer
      - .offset:         136
        .size:           4
        .value_kind:     by_value
      - .offset:         140
        .size:           4
        .value_kind:     by_value
      - .offset:         144
        .size:           4
        .value_kind:     by_value
      - .offset:         148
        .size:           4
        .value_kind:     by_value
      - .offset:         152
        .size:           1
        .value_kind:     by_value
      - .offset:         153
        .size:           1
        .value_kind:     by_value
      - .offset:         154
        .size:           1
        .value_kind:     by_value
    .group_segment_fixed_size: 0
    .kernarg_segment_align: 8
    .kernarg_segment_size: 156
    .language:       OpenCL C
    .language_version:
      - 2
      - 0
    .max_flat_workgroup_size: 1024
    .name:           _ZN9rocsparseL26csrgemm_fill_block_per_rowILj1024ELj64ELj32768ELj137ELj64EllfEEvT5_PKS1_S3_NS_24const_host_device_scalarIT6_EEPKT4_S3_PKS5_S9_S3_SB_S6_S9_S3_SB_S9_PS1_PS5_21rocsparse_index_base_SE_SE_SE_bbb
    .private_segment_fixed_size: 0
    .sgpr_count:     69
    .sgpr_spill_count: 0
    .symbol:         _ZN9rocsparseL26csrgemm_fill_block_per_rowILj1024ELj64ELj32768ELj137ELj64EllfEEvT5_PKS1_S3_NS_24const_host_device_scalarIT6_EEPKT4_S3_PKS5_S9_S3_SB_S6_S9_S3_SB_S9_PS1_PS5_21rocsparse_index_base_SE_SE_SE_bbb.kd
    .uniform_work_group_size: 1
    .uses_dynamic_stack: false
    .vgpr_count:     27
    .vgpr_spill_count: 0
    .wavefront_size: 64
  - .agpr_count:     0
    .args:
      - .offset:         0
        .size:           8
        .value_kind:     by_value
      - .actual_access:  read_only
        .address_space:  global
        .offset:         8
        .size:           8
        .value_kind:     global_buffer
      - .actual_access:  read_only
        .address_space:  global
        .offset:         16
        .size:           8
        .value_kind:     global_buffer
      - .offset:         24
        .size:           8
        .value_kind:     by_value
      - .actual_access:  read_only
        .address_space:  global
        .offset:         32
        .size:           8
        .value_kind:     global_buffer
      - .actual_access:  read_only
        .address_space:  global
        .offset:         40
        .size:           8
        .value_kind:     global_buffer
      - .actual_access:  read_only
        .address_space:  global
        .offset:         48
        .size:           8
        .value_kind:     global_buffer
      - .actual_access:  read_only
        .address_space:  global
        .offset:         56
        .size:           8
        .value_kind:     global_buffer
      - .actual_access:  read_only
        .address_space:  global
        .offset:         64
        .size:           8
        .value_kind:     global_buffer
      - .actual_access:  read_only
        .address_space:  global
        .offset:         72
        .size:           8
        .value_kind:     global_buffer
      - .offset:         80
        .size:           8
        .value_kind:     by_value
      - .actual_access:  read_only
        .address_space:  global
        .offset:         88
        .size:           8
        .value_kind:     global_buffer
      - .actual_access:  read_only
        .address_space:  global
        .offset:         96
        .size:           8
        .value_kind:     global_buffer
      - .actual_access:  read_only
        .address_space:  global
        .offset:         104
        .size:           8
        .value_kind:     global_buffer
      - .actual_access:  read_only
        .address_space:  global
        .offset:         112
        .size:           8
        .value_kind:     global_buffer
      - .actual_access:  write_only
        .address_space:  global
        .offset:         120
        .size:           8
        .value_kind:     global_buffer
      - .actual_access:  write_only
        .address_space:  global
        .offset:         128
        .size:           8
        .value_kind:     global_buffer
      - .address_space:  global
        .offset:         136
        .size:           8
        .value_kind:     global_buffer
      - .offset:         144
        .size:           4
        .value_kind:     by_value
      - .offset:         148
        .size:           4
        .value_kind:     by_value
      - .offset:         152
        .size:           4
        .value_kind:     by_value
      - .offset:         156
        .size:           4
        .value_kind:     by_value
      - .offset:         160
        .size:           1
        .value_kind:     by_value
      - .offset:         161
        .size:           1
        .value_kind:     by_value
      - .offset:         162
        .size:           1
        .value_kind:     by_value
    .group_segment_fixed_size: 10248
    .kernarg_segment_align: 8
    .kernarg_segment_size: 164
    .language:       OpenCL C
    .language_version:
      - 2
      - 0
    .max_flat_workgroup_size: 512
    .name:           _ZN9rocsparseL36csrgemm_fill_block_per_row_multipassILj512ELj16ELj2048ELj32EllfEEvT4_PKS1_S3_NS_24const_host_device_scalarIT5_EEPKT3_S3_PKS5_S9_S3_SB_S6_S9_S3_SB_S9_PS1_PS5_PS7_21rocsparse_index_base_SF_SF_SF_bbb
    .private_segment_fixed_size: 0
    .sgpr_count:     100
    .sgpr_spill_count: 8
    .symbol:         _ZN9rocsparseL36csrgemm_fill_block_per_row_multipassILj512ELj16ELj2048ELj32EllfEEvT4_PKS1_S3_NS_24const_host_device_scalarIT5_EEPKT3_S3_PKS5_S9_S3_SB_S6_S9_S3_SB_S9_PS1_PS5_PS7_21rocsparse_index_base_SF_SF_SF_bbb.kd
    .uniform_work_group_size: 1
    .uses_dynamic_stack: false
    .vgpr_count:     44
    .vgpr_spill_count: 0
    .wavefront_size: 64
  - .agpr_count:     0
    .args:
      - .offset:         0
        .size:           8
        .value_kind:     by_value
      - .actual_access:  read_only
        .address_space:  global
        .offset:         8
        .size:           8
        .value_kind:     global_buffer
      - .actual_access:  read_only
        .address_space:  global
        .offset:         16
        .size:           8
        .value_kind:     global_buffer
      - .offset:         24
        .size:           8
        .value_kind:     by_value
      - .actual_access:  read_only
        .address_space:  global
        .offset:         32
        .size:           8
        .value_kind:     global_buffer
      - .actual_access:  read_only
        .address_space:  global
        .offset:         40
        .size:           8
        .value_kind:     global_buffer
      - .actual_access:  read_only
        .address_space:  global
        .offset:         48
        .size:           8
        .value_kind:     global_buffer
      - .actual_access:  read_only
        .address_space:  global
        .offset:         56
        .size:           8
        .value_kind:     global_buffer
      - .actual_access:  read_only
        .address_space:  global
        .offset:         64
        .size:           8
        .value_kind:     global_buffer
      - .actual_access:  read_only
        .address_space:  global
        .offset:         72
        .size:           8
        .value_kind:     global_buffer
      - .offset:         80
        .size:           8
        .value_kind:     by_value
      - .actual_access:  read_only
        .address_space:  global
        .offset:         88
        .size:           8
        .value_kind:     global_buffer
      - .actual_access:  read_only
        .address_space:  global
        .offset:         96
        .size:           8
        .value_kind:     global_buffer
      - .actual_access:  read_only
        .address_space:  global
        .offset:         104
        .size:           8
        .value_kind:     global_buffer
      - .actual_access:  read_only
        .address_space:  global
        .offset:         112
        .size:           8
        .value_kind:     global_buffer
      - .actual_access:  write_only
        .address_space:  global
        .offset:         120
        .size:           8
        .value_kind:     global_buffer
      - .actual_access:  write_only
        .address_space:  global
        .offset:         128
        .size:           8
        .value_kind:     global_buffer
      - .address_space:  global
        .offset:         136
        .size:           8
        .value_kind:     global_buffer
      - .offset:         144
        .size:           4
        .value_kind:     by_value
      - .offset:         148
        .size:           4
        .value_kind:     by_value
      - .offset:         152
        .size:           4
        .value_kind:     by_value
      - .offset:         156
        .size:           4
        .value_kind:     by_value
      - .offset:         160
        .size:           1
        .value_kind:     by_value
      - .offset:         161
        .size:           1
        .value_kind:     by_value
      - .offset:         162
        .size:           1
        .value_kind:     by_value
    .group_segment_fixed_size: 10248
    .kernarg_segment_align: 8
    .kernarg_segment_size: 164
    .language:       OpenCL C
    .language_version:
      - 2
      - 0
    .max_flat_workgroup_size: 512
    .name:           _ZN9rocsparseL36csrgemm_fill_block_per_row_multipassILj512ELj16ELj2048ELj64EllfEEvT4_PKS1_S3_NS_24const_host_device_scalarIT5_EEPKT3_S3_PKS5_S9_S3_SB_S6_S9_S3_SB_S9_PS1_PS5_PS7_21rocsparse_index_base_SF_SF_SF_bbb
    .private_segment_fixed_size: 0
    .sgpr_count:     88
    .sgpr_spill_count: 0
    .symbol:         _ZN9rocsparseL36csrgemm_fill_block_per_row_multipassILj512ELj16ELj2048ELj64EllfEEvT4_PKS1_S3_NS_24const_host_device_scalarIT5_EEPKT3_S3_PKS5_S9_S3_SB_S6_S9_S3_SB_S9_PS1_PS5_PS7_21rocsparse_index_base_SF_SF_SF_bbb.kd
    .uniform_work_group_size: 1
    .uses_dynamic_stack: false
    .vgpr_count:     43
    .vgpr_spill_count: 0
    .wavefront_size: 64
  - .agpr_count:     0
    .args:
      - .offset:         0
        .size:           8
        .value_kind:     by_value
      - .actual_access:  read_only
        .address_space:  global
        .offset:         8
        .size:           8
        .value_kind:     global_buffer
      - .actual_access:  write_only
        .address_space:  global
        .offset:         16
        .size:           8
        .value_kind:     global_buffer
      - .actual_access:  write_only
        .address_space:  global
        .offset:         24
        .size:           8
        .value_kind:     global_buffer
      - .offset:         32
        .size:           4
        .value_kind:     by_value
      - .offset:         40
        .size:           4
        .value_kind:     hidden_block_count_x
      - .offset:         44
        .size:           4
        .value_kind:     hidden_block_count_y
      - .offset:         48
        .size:           4
        .value_kind:     hidden_block_count_z
      - .offset:         52
        .size:           2
        .value_kind:     hidden_group_size_x
      - .offset:         54
        .size:           2
        .value_kind:     hidden_group_size_y
      - .offset:         56
        .size:           2
        .value_kind:     hidden_group_size_z
      - .offset:         58
        .size:           2
        .value_kind:     hidden_remainder_x
      - .offset:         60
        .size:           2
        .value_kind:     hidden_remainder_y
      - .offset:         62
        .size:           2
        .value_kind:     hidden_remainder_z
      - .offset:         80
        .size:           8
        .value_kind:     hidden_global_offset_x
      - .offset:         88
        .size:           8
        .value_kind:     hidden_global_offset_y
      - .offset:         96
        .size:           8
        .value_kind:     hidden_global_offset_z
      - .offset:         104
        .size:           2
        .value_kind:     hidden_grid_dims
    .group_segment_fixed_size: 22528
    .kernarg_segment_align: 8
    .kernarg_segment_size: 296
    .language:       OpenCL C
    .language_version:
      - 2
      - 0
    .max_flat_workgroup_size: 256
    .name:           _ZN9rocsparseL26csrgemm_group_reduce_part2ILj256ELj11EdllEEvT3_PKT2_PS1_Pij
    .private_segment_fixed_size: 0
    .sgpr_count:     68
    .sgpr_spill_count: 0
    .symbol:         _ZN9rocsparseL26csrgemm_group_reduce_part2ILj256ELj11EdllEEvT3_PKT2_PS1_Pij.kd
    .uniform_work_group_size: 1
    .uses_dynamic_stack: false
    .vgpr_count:     34
    .vgpr_spill_count: 0
    .wavefront_size: 64
  - .agpr_count:     0
    .args:
      - .offset:         0
        .size:           8
        .value_kind:     by_value
      - .offset:         8
        .size:           8
        .value_kind:     by_value
      - .actual_access:  read_only
        .address_space:  global
        .offset:         16
        .size:           8
        .value_kind:     global_buffer
      - .actual_access:  read_only
        .address_space:  global
        .offset:         24
        .size:           8
        .value_kind:     global_buffer
      - .offset:         32
        .size:           8
        .value_kind:     by_value
      - .actual_access:  read_only
        .address_space:  global
        .offset:         40
        .size:           8
        .value_kind:     global_buffer
      - .actual_access:  read_only
        .address_space:  global
        .offset:         48
        .size:           8
        .value_kind:     global_buffer
      - .actual_access:  read_only
        .address_space:  global
        .offset:         56
        .size:           8
        .value_kind:     global_buffer
      - .actual_access:  read_only
        .address_space:  global
        .offset:         64
        .size:           8
        .value_kind:     global_buffer
      - .actual_access:  read_only
        .address_space:  global
        .offset:         72
        .size:           8
        .value_kind:     global_buffer
      - .actual_access:  read_only
        .address_space:  global
        .offset:         80
        .size:           8
        .value_kind:     global_buffer
      - .offset:         88
        .size:           8
        .value_kind:     by_value
      - .actual_access:  read_only
        .address_space:  global
        .offset:         96
        .size:           8
        .value_kind:     global_buffer
      - .actual_access:  read_only
        .address_space:  global
        .offset:         104
        .size:           8
        .value_kind:     global_buffer
      - .actual_access:  read_only
        .address_space:  global
        .offset:         112
        .size:           8
        .value_kind:     global_buffer
      - .actual_access:  read_only
        .address_space:  global
        .offset:         120
        .size:           8
        .value_kind:     global_buffer
      - .actual_access:  write_only
        .address_space:  global
        .offset:         128
        .size:           8
        .value_kind:     global_buffer
      - .actual_access:  write_only
        .address_space:  global
        .offset:         136
        .size:           8
        .value_kind:     global_buffer
      - .offset:         144
        .size:           4
        .value_kind:     by_value
      - .offset:         148
        .size:           4
        .value_kind:     by_value
      - .offset:         152
        .size:           4
        .value_kind:     by_value
      - .offset:         156
        .size:           4
        .value_kind:     by_value
      - .offset:         160
        .size:           1
        .value_kind:     by_value
      - .offset:         161
        .size:           1
        .value_kind:     by_value
      - .offset:         162
        .size:           1
        .value_kind:     by_value
    .group_segment_fixed_size: 8192
    .kernarg_segment_align: 8
    .kernarg_segment_size: 164
    .language:       OpenCL C
    .language_version:
      - 2
      - 0
    .max_flat_workgroup_size: 256
    .name:           _ZN9rocsparseL23csrgemm_fill_wf_per_rowILj256ELj8ELj16ELj137ElldEEvT4_S1_PKS1_S3_NS_24const_host_device_scalarIT5_EEPKT3_S3_PKS5_S9_S3_SB_S6_S9_S3_SB_S9_PS1_PS5_21rocsparse_index_base_SE_SE_SE_bbb
    .private_segment_fixed_size: 0
    .sgpr_count:     56
    .sgpr_spill_count: 0
    .symbol:         _ZN9rocsparseL23csrgemm_fill_wf_per_rowILj256ELj8ELj16ELj137ElldEEvT4_S1_PKS1_S3_NS_24const_host_device_scalarIT5_EEPKT3_S3_PKS5_S9_S3_SB_S6_S9_S3_SB_S9_PS1_PS5_21rocsparse_index_base_SE_SE_SE_bbb.kd
    .uniform_work_group_size: 1
    .uses_dynamic_stack: false
    .vgpr_count:     32
    .vgpr_spill_count: 0
    .wavefront_size: 64
  - .agpr_count:     0
    .args:
      - .offset:         0
        .size:           8
        .value_kind:     by_value
      - .offset:         8
        .size:           8
        .value_kind:     by_value
      - .actual_access:  read_only
        .address_space:  global
        .offset:         16
        .size:           8
        .value_kind:     global_buffer
      - .actual_access:  read_only
        .address_space:  global
        .offset:         24
        .size:           8
        .value_kind:     global_buffer
      - .offset:         32
        .size:           8
        .value_kind:     by_value
      - .actual_access:  read_only
        .address_space:  global
        .offset:         40
        .size:           8
        .value_kind:     global_buffer
      - .actual_access:  read_only
        .address_space:  global
        .offset:         48
        .size:           8
        .value_kind:     global_buffer
      - .actual_access:  read_only
        .address_space:  global
        .offset:         56
        .size:           8
        .value_kind:     global_buffer
      - .actual_access:  read_only
        .address_space:  global
        .offset:         64
        .size:           8
        .value_kind:     global_buffer
      - .actual_access:  read_only
        .address_space:  global
        .offset:         72
        .size:           8
        .value_kind:     global_buffer
      - .actual_access:  read_only
        .address_space:  global
        .offset:         80
        .size:           8
        .value_kind:     global_buffer
      - .offset:         88
        .size:           8
        .value_kind:     by_value
      - .actual_access:  read_only
        .address_space:  global
        .offset:         96
        .size:           8
        .value_kind:     global_buffer
      - .actual_access:  read_only
        .address_space:  global
        .offset:         104
        .size:           8
        .value_kind:     global_buffer
      - .actual_access:  read_only
        .address_space:  global
        .offset:         112
        .size:           8
        .value_kind:     global_buffer
      - .actual_access:  read_only
        .address_space:  global
        .offset:         120
        .size:           8
        .value_kind:     global_buffer
      - .actual_access:  write_only
        .address_space:  global
        .offset:         128
        .size:           8
        .value_kind:     global_buffer
      - .actual_access:  write_only
        .address_space:  global
        .offset:         136
        .size:           8
        .value_kind:     global_buffer
      - .offset:         144
        .size:           4
        .value_kind:     by_value
      - .offset:         148
        .size:           4
        .value_kind:     by_value
      - .offset:         152
        .size:           4
        .value_kind:     by_value
      - .offset:         156
        .size:           4
        .value_kind:     by_value
      - .offset:         160
        .size:           1
        .value_kind:     by_value
      - .offset:         161
        .size:           1
        .value_kind:     by_value
      - .offset:         162
        .size:           1
        .value_kind:     by_value
    .group_segment_fixed_size: 8192
    .kernarg_segment_align: 8
    .kernarg_segment_size: 164
    .language:       OpenCL C
    .language_version:
      - 2
      - 0
    .max_flat_workgroup_size: 256
    .name:           _ZN9rocsparseL23csrgemm_fill_wf_per_rowILj256ELj16ELj32ELj137ElldEEvT4_S1_PKS1_S3_NS_24const_host_device_scalarIT5_EEPKT3_S3_PKS5_S9_S3_SB_S6_S9_S3_SB_S9_PS1_PS5_21rocsparse_index_base_SE_SE_SE_bbb
    .private_segment_fixed_size: 0
    .sgpr_count:     56
    .sgpr_spill_count: 0
    .symbol:         _ZN9rocsparseL23csrgemm_fill_wf_per_rowILj256ELj16ELj32ELj137ElldEEvT4_S1_PKS1_S3_NS_24const_host_device_scalarIT5_EEPKT3_S3_PKS5_S9_S3_SB_S6_S9_S3_SB_S9_PS1_PS5_21rocsparse_index_base_SE_SE_SE_bbb.kd
    .uniform_work_group_size: 1
    .uses_dynamic_stack: false
    .vgpr_count:     32
    .vgpr_spill_count: 0
    .wavefront_size: 64
  - .agpr_count:     0
    .args:
      - .offset:         0
        .size:           8
        .value_kind:     by_value
      - .actual_access:  read_only
        .address_space:  global
        .offset:         8
        .size:           8
        .value_kind:     global_buffer
      - .actual_access:  read_only
        .address_space:  global
        .offset:         16
        .size:           8
        .value_kind:     global_buffer
      - .offset:         24
        .size:           8
        .value_kind:     by_value
      - .actual_access:  read_only
        .address_space:  global
        .offset:         32
        .size:           8
        .value_kind:     global_buffer
      - .actual_access:  read_only
        .address_space:  global
        .offset:         40
        .size:           8
        .value_kind:     global_buffer
      - .actual_access:  read_only
        .address_space:  global
        .offset:         48
        .size:           8
        .value_kind:     global_buffer
      - .actual_access:  read_only
        .address_space:  global
        .offset:         56
        .size:           8
        .value_kind:     global_buffer
      - .actual_access:  read_only
        .address_space:  global
        .offset:         64
        .size:           8
        .value_kind:     global_buffer
      - .actual_access:  read_only
        .address_space:  global
        .offset:         72
        .size:           8
        .value_kind:     global_buffer
      - .offset:         80
        .size:           8
        .value_kind:     by_value
      - .actual_access:  read_only
        .address_space:  global
        .offset:         88
        .size:           8
        .value_kind:     global_buffer
      - .actual_access:  read_only
        .address_space:  global
        .offset:         96
        .size:           8
        .value_kind:     global_buffer
      - .actual_access:  read_only
        .address_space:  global
        .offset:         104
        .size:           8
        .value_kind:     global_buffer
      - .actual_access:  read_only
        .address_space:  global
        .offset:         112
        .size:           8
        .value_kind:     global_buffer
      - .actual_access:  write_only
        .address_space:  global
        .offset:         120
        .size:           8
        .value_kind:     global_buffer
      - .actual_access:  write_only
        .address_space:  global
        .offset:         128
        .size:           8
        .value_kind:     global_buffer
      - .offset:         136
        .size:           4
        .value_kind:     by_value
      - .offset:         140
        .size:           4
        .value_kind:     by_value
      - .offset:         144
        .size:           4
        .value_kind:     by_value
      - .offset:         148
        .size:           4
        .value_kind:     by_value
      - .offset:         152
        .size:           1
        .value_kind:     by_value
      - .offset:         153
        .size:           1
        .value_kind:     by_value
      - .offset:         154
        .size:           1
        .value_kind:     by_value
    .group_segment_fixed_size: 0
    .kernarg_segment_align: 8
    .kernarg_segment_size: 156
    .language:       OpenCL C
    .language_version:
      - 2
      - 0
    .max_flat_workgroup_size: 128
    .name:           _ZN9rocsparseL26csrgemm_fill_block_per_rowILj128ELj16ELj256ELj137ELj32ElldEEvT5_PKS1_S3_NS_24const_host_device_scalarIT6_EEPKT4_S3_PKS5_S9_S3_SB_S6_S9_S3_SB_S9_PS1_PS5_21rocsparse_index_base_SE_SE_SE_bbb
    .private_segment_fixed_size: 0
    .sgpr_count:     61
    .sgpr_spill_count: 0
    .symbol:         _ZN9rocsparseL26csrgemm_fill_block_per_rowILj128ELj16ELj256ELj137ELj32ElldEEvT5_PKS1_S3_NS_24const_host_device_scalarIT6_EEPKT4_S3_PKS5_S9_S3_SB_S6_S9_S3_SB_S9_PS1_PS5_21rocsparse_index_base_SE_SE_SE_bbb.kd
    .uniform_work_group_size: 1
    .uses_dynamic_stack: false
    .vgpr_count:     28
    .vgpr_spill_count: 0
    .wavefront_size: 64
  - .agpr_count:     0
    .args:
      - .offset:         0
        .size:           8
        .value_kind:     by_value
      - .actual_access:  read_only
        .address_space:  global
        .offset:         8
        .size:           8
        .value_kind:     global_buffer
      - .actual_access:  read_only
        .address_space:  global
        .offset:         16
        .size:           8
        .value_kind:     global_buffer
      - .offset:         24
        .size:           8
        .value_kind:     by_value
      - .actual_access:  read_only
        .address_space:  global
        .offset:         32
        .size:           8
        .value_kind:     global_buffer
      - .actual_access:  read_only
        .address_space:  global
        .offset:         40
        .size:           8
        .value_kind:     global_buffer
      - .actual_access:  read_only
        .address_space:  global
        .offset:         48
        .size:           8
        .value_kind:     global_buffer
      - .actual_access:  read_only
        .address_space:  global
        .offset:         56
        .size:           8
        .value_kind:     global_buffer
      - .actual_access:  read_only
        .address_space:  global
        .offset:         64
        .size:           8
        .value_kind:     global_buffer
      - .actual_access:  read_only
        .address_space:  global
        .offset:         72
        .size:           8
        .value_kind:     global_buffer
      - .offset:         80
        .size:           8
        .value_kind:     by_value
      - .actual_access:  read_only
        .address_space:  global
        .offset:         88
        .size:           8
        .value_kind:     global_buffer
      - .actual_access:  read_only
        .address_space:  global
        .offset:         96
        .size:           8
        .value_kind:     global_buffer
      - .actual_access:  read_only
        .address_space:  global
        .offset:         104
        .size:           8
        .value_kind:     global_buffer
      - .actual_access:  read_only
        .address_space:  global
        .offset:         112
        .size:           8
        .value_kind:     global_buffer
      - .actual_access:  write_only
        .address_space:  global
        .offset:         120
        .size:           8
        .value_kind:     global_buffer
      - .actual_access:  write_only
        .address_space:  global
        .offset:         128
        .size:           8
        .value_kind:     global_buffer
      - .offset:         136
        .size:           4
        .value_kind:     by_value
      - .offset:         140
        .size:           4
        .value_kind:     by_value
      - .offset:         144
        .size:           4
        .value_kind:     by_value
      - .offset:         148
        .size:           4
        .value_kind:     by_value
      - .offset:         152
        .size:           1
        .value_kind:     by_value
      - .offset:         153
        .size:           1
        .value_kind:     by_value
      - .offset:         154
        .size:           1
        .value_kind:     by_value
    .group_segment_fixed_size: 0
    .kernarg_segment_align: 8
    .kernarg_segment_size: 156
    .language:       OpenCL C
    .language_version:
      - 2
      - 0
    .max_flat_workgroup_size: 128
    .name:           _ZN9rocsparseL26csrgemm_fill_block_per_rowILj128ELj16ELj256ELj137ELj64ElldEEvT5_PKS1_S3_NS_24const_host_device_scalarIT6_EEPKT4_S3_PKS5_S9_S3_SB_S6_S9_S3_SB_S9_PS1_PS5_21rocsparse_index_base_SE_SE_SE_bbb
    .private_segment_fixed_size: 0
    .sgpr_count:     61
    .sgpr_spill_count: 0
    .symbol:         _ZN9rocsparseL26csrgemm_fill_block_per_rowILj128ELj16ELj256ELj137ELj64ElldEEvT5_PKS1_S3_NS_24const_host_device_scalarIT6_EEPKT4_S3_PKS5_S9_S3_SB_S6_S9_S3_SB_S9_PS1_PS5_21rocsparse_index_base_SE_SE_SE_bbb.kd
    .uniform_work_group_size: 1
    .uses_dynamic_stack: false
    .vgpr_count:     28
    .vgpr_spill_count: 0
    .wavefront_size: 64
  - .agpr_count:     0
    .args:
      - .offset:         0
        .size:           8
        .value_kind:     by_value
      - .actual_access:  read_only
        .address_space:  global
        .offset:         8
        .size:           8
        .value_kind:     global_buffer
      - .actual_access:  read_only
        .address_space:  global
        .offset:         16
        .size:           8
        .value_kind:     global_buffer
      - .offset:         24
        .size:           8
        .value_kind:     by_value
      - .actual_access:  read_only
        .address_space:  global
        .offset:         32
        .size:           8
        .value_kind:     global_buffer
      - .actual_access:  read_only
        .address_space:  global
        .offset:         40
        .size:           8
        .value_kind:     global_buffer
      - .actual_access:  read_only
        .address_space:  global
        .offset:         48
        .size:           8
        .value_kind:     global_buffer
      - .actual_access:  read_only
        .address_space:  global
        .offset:         56
        .size:           8
        .value_kind:     global_buffer
      - .actual_access:  read_only
        .address_space:  global
        .offset:         64
        .size:           8
        .value_kind:     global_buffer
      - .actual_access:  read_only
        .address_space:  global
        .offset:         72
        .size:           8
        .value_kind:     global_buffer
      - .offset:         80
        .size:           8
        .value_kind:     by_value
      - .actual_access:  read_only
        .address_space:  global
        .offset:         88
        .size:           8
        .value_kind:     global_buffer
      - .actual_access:  read_only
        .address_space:  global
        .offset:         96
        .size:           8
        .value_kind:     global_buffer
      - .actual_access:  read_only
        .address_space:  global
        .offset:         104
        .size:           8
        .value_kind:     global_buffer
      - .actual_access:  read_only
        .address_space:  global
        .offset:         112
        .size:           8
        .value_kind:     global_buffer
      - .actual_access:  write_only
        .address_space:  global
        .offset:         120
        .size:           8
        .value_kind:     global_buffer
      - .actual_access:  write_only
        .address_space:  global
        .offset:         128
        .size:           8
        .value_kind:     global_buffer
      - .offset:         136
        .size:           4
        .value_kind:     by_value
      - .offset:         140
        .size:           4
        .value_kind:     by_value
      - .offset:         144
        .size:           4
        .value_kind:     by_value
      - .offset:         148
        .size:           4
        .value_kind:     by_value
      - .offset:         152
        .size:           1
        .value_kind:     by_value
      - .offset:         153
        .size:           1
        .value_kind:     by_value
      - .offset:         154
        .size:           1
        .value_kind:     by_value
    .group_segment_fixed_size: 0
    .kernarg_segment_align: 8
    .kernarg_segment_size: 156
    .language:       OpenCL C
    .language_version:
      - 2
      - 0
    .max_flat_workgroup_size: 256
    .name:           _ZN9rocsparseL26csrgemm_fill_block_per_rowILj256ELj32ELj512ELj137ELj32ElldEEvT5_PKS1_S3_NS_24const_host_device_scalarIT6_EEPKT4_S3_PKS5_S9_S3_SB_S6_S9_S3_SB_S9_PS1_PS5_21rocsparse_index_base_SE_SE_SE_bbb
    .private_segment_fixed_size: 0
    .sgpr_count:     61
    .sgpr_spill_count: 0
    .symbol:         _ZN9rocsparseL26csrgemm_fill_block_per_rowILj256ELj32ELj512ELj137ELj32ElldEEvT5_PKS1_S3_NS_24const_host_device_scalarIT6_EEPKT4_S3_PKS5_S9_S3_SB_S6_S9_S3_SB_S9_PS1_PS5_21rocsparse_index_base_SE_SE_SE_bbb.kd
    .uniform_work_group_size: 1
    .uses_dynamic_stack: false
    .vgpr_count:     29
    .vgpr_spill_count: 0
    .wavefront_size: 64
  - .agpr_count:     0
    .args:
      - .offset:         0
        .size:           8
        .value_kind:     by_value
      - .actual_access:  read_only
        .address_space:  global
        .offset:         8
        .size:           8
        .value_kind:     global_buffer
      - .actual_access:  read_only
        .address_space:  global
        .offset:         16
        .size:           8
        .value_kind:     global_buffer
      - .offset:         24
        .size:           8
        .value_kind:     by_value
      - .actual_access:  read_only
        .address_space:  global
        .offset:         32
        .size:           8
        .value_kind:     global_buffer
      - .actual_access:  read_only
        .address_space:  global
        .offset:         40
        .size:           8
        .value_kind:     global_buffer
      - .actual_access:  read_only
        .address_space:  global
        .offset:         48
        .size:           8
        .value_kind:     global_buffer
      - .actual_access:  read_only
        .address_space:  global
        .offset:         56
        .size:           8
        .value_kind:     global_buffer
      - .actual_access:  read_only
        .address_space:  global
        .offset:         64
        .size:           8
        .value_kind:     global_buffer
      - .actual_access:  read_only
        .address_space:  global
        .offset:         72
        .size:           8
        .value_kind:     global_buffer
      - .offset:         80
        .size:           8
        .value_kind:     by_value
      - .actual_access:  read_only
        .address_space:  global
        .offset:         88
        .size:           8
        .value_kind:     global_buffer
      - .actual_access:  read_only
        .address_space:  global
        .offset:         96
        .size:           8
        .value_kind:     global_buffer
      - .actual_access:  read_only
        .address_space:  global
        .offset:         104
        .size:           8
        .value_kind:     global_buffer
      - .actual_access:  read_only
        .address_space:  global
        .offset:         112
        .size:           8
        .value_kind:     global_buffer
      - .actual_access:  write_only
        .address_space:  global
        .offset:         120
        .size:           8
        .value_kind:     global_buffer
      - .actual_access:  write_only
        .address_space:  global
        .offset:         128
        .size:           8
        .value_kind:     global_buffer
      - .offset:         136
        .size:           4
        .value_kind:     by_value
      - .offset:         140
        .size:           4
        .value_kind:     by_value
      - .offset:         144
        .size:           4
        .value_kind:     by_value
      - .offset:         148
        .size:           4
        .value_kind:     by_value
      - .offset:         152
        .size:           1
        .value_kind:     by_value
      - .offset:         153
        .size:           1
        .value_kind:     by_value
      - .offset:         154
        .size:           1
        .value_kind:     by_value
    .group_segment_fixed_size: 0
    .kernarg_segment_align: 8
    .kernarg_segment_size: 156
    .language:       OpenCL C
    .language_version:
      - 2
      - 0
    .max_flat_workgroup_size: 256
    .name:           _ZN9rocsparseL26csrgemm_fill_block_per_rowILj256ELj32ELj512ELj137ELj64ElldEEvT5_PKS1_S3_NS_24const_host_device_scalarIT6_EEPKT4_S3_PKS5_S9_S3_SB_S6_S9_S3_SB_S9_PS1_PS5_21rocsparse_index_base_SE_SE_SE_bbb
    .private_segment_fixed_size: 0
    .sgpr_count:     61
    .sgpr_spill_count: 0
    .symbol:         _ZN9rocsparseL26csrgemm_fill_block_per_rowILj256ELj32ELj512ELj137ELj64ElldEEvT5_PKS1_S3_NS_24const_host_device_scalarIT6_EEPKT4_S3_PKS5_S9_S3_SB_S6_S9_S3_SB_S9_PS1_PS5_21rocsparse_index_base_SE_SE_SE_bbb.kd
    .uniform_work_group_size: 1
    .uses_dynamic_stack: false
    .vgpr_count:     28
    .vgpr_spill_count: 0
    .wavefront_size: 64
  - .agpr_count:     0
    .args:
      - .offset:         0
        .size:           8
        .value_kind:     by_value
      - .actual_access:  read_only
        .address_space:  global
        .offset:         8
        .size:           8
        .value_kind:     global_buffer
      - .actual_access:  read_only
        .address_space:  global
        .offset:         16
        .size:           8
        .value_kind:     global_buffer
      - .offset:         24
        .size:           8
        .value_kind:     by_value
      - .actual_access:  read_only
        .address_space:  global
        .offset:         32
        .size:           8
        .value_kind:     global_buffer
      - .actual_access:  read_only
        .address_space:  global
        .offset:         40
        .size:           8
        .value_kind:     global_buffer
      - .actual_access:  read_only
        .address_space:  global
        .offset:         48
        .size:           8
        .value_kind:     global_buffer
      - .actual_access:  read_only
        .address_space:  global
        .offset:         56
        .size:           8
        .value_kind:     global_buffer
      - .actual_access:  read_only
        .address_space:  global
        .offset:         64
        .size:           8
        .value_kind:     global_buffer
      - .actual_access:  read_only
        .address_space:  global
        .offset:         72
        .size:           8
        .value_kind:     global_buffer
      - .offset:         80
        .size:           8
        .value_kind:     by_value
      - .actual_access:  read_only
        .address_space:  global
        .offset:         88
        .size:           8
        .value_kind:     global_buffer
      - .actual_access:  read_only
        .address_space:  global
        .offset:         96
        .size:           8
        .value_kind:     global_buffer
      - .actual_access:  read_only
        .address_space:  global
        .offset:         104
        .size:           8
        .value_kind:     global_buffer
      - .actual_access:  read_only
        .address_space:  global
        .offset:         112
        .size:           8
        .value_kind:     global_buffer
      - .actual_access:  write_only
        .address_space:  global
        .offset:         120
        .size:           8
        .value_kind:     global_buffer
      - .actual_access:  write_only
        .address_space:  global
        .offset:         128
        .size:           8
        .value_kind:     global_buffer
      - .offset:         136
        .size:           4
        .value_kind:     by_value
      - .offset:         140
        .size:           4
        .value_kind:     by_value
      - .offset:         144
        .size:           4
        .value_kind:     by_value
      - .offset:         148
        .size:           4
        .value_kind:     by_value
      - .offset:         152
        .size:           1
        .value_kind:     by_value
      - .offset:         153
        .size:           1
        .value_kind:     by_value
      - .offset:         154
        .size:           1
        .value_kind:     by_value
    .group_segment_fixed_size: 0
    .kernarg_segment_align: 8
    .kernarg_segment_size: 156
    .language:       OpenCL C
    .language_version:
      - 2
      - 0
    .max_flat_workgroup_size: 512
    .name:           _ZN9rocsparseL26csrgemm_fill_block_per_rowILj512ELj32ELj1024ELj137ELj32ElldEEvT5_PKS1_S3_NS_24const_host_device_scalarIT6_EEPKT4_S3_PKS5_S9_S3_SB_S6_S9_S3_SB_S9_PS1_PS5_21rocsparse_index_base_SE_SE_SE_bbb
    .private_segment_fixed_size: 0
    .sgpr_count:     59
    .sgpr_spill_count: 0
    .symbol:         _ZN9rocsparseL26csrgemm_fill_block_per_rowILj512ELj32ELj1024ELj137ELj32ElldEEvT5_PKS1_S3_NS_24const_host_device_scalarIT6_EEPKT4_S3_PKS5_S9_S3_SB_S6_S9_S3_SB_S9_PS1_PS5_21rocsparse_index_base_SE_SE_SE_bbb.kd
    .uniform_work_group_size: 1
    .uses_dynamic_stack: false
    .vgpr_count:     30
    .vgpr_spill_count: 0
    .wavefront_size: 64
  - .agpr_count:     0
    .args:
      - .offset:         0
        .size:           8
        .value_kind:     by_value
      - .actual_access:  read_only
        .address_space:  global
        .offset:         8
        .size:           8
        .value_kind:     global_buffer
      - .actual_access:  read_only
        .address_space:  global
        .offset:         16
        .size:           8
        .value_kind:     global_buffer
      - .offset:         24
        .size:           8
        .value_kind:     by_value
      - .actual_access:  read_only
        .address_space:  global
        .offset:         32
        .size:           8
        .value_kind:     global_buffer
      - .actual_access:  read_only
        .address_space:  global
        .offset:         40
        .size:           8
        .value_kind:     global_buffer
      - .actual_access:  read_only
        .address_space:  global
        .offset:         48
        .size:           8
        .value_kind:     global_buffer
      - .actual_access:  read_only
        .address_space:  global
        .offset:         56
        .size:           8
        .value_kind:     global_buffer
      - .actual_access:  read_only
        .address_space:  global
        .offset:         64
        .size:           8
        .value_kind:     global_buffer
      - .actual_access:  read_only
        .address_space:  global
        .offset:         72
        .size:           8
        .value_kind:     global_buffer
      - .offset:         80
        .size:           8
        .value_kind:     by_value
      - .actual_access:  read_only
        .address_space:  global
        .offset:         88
        .size:           8
        .value_kind:     global_buffer
      - .actual_access:  read_only
        .address_space:  global
        .offset:         96
        .size:           8
        .value_kind:     global_buffer
      - .actual_access:  read_only
        .address_space:  global
        .offset:         104
        .size:           8
        .value_kind:     global_buffer
      - .actual_access:  read_only
        .address_space:  global
        .offset:         112
        .size:           8
        .value_kind:     global_buffer
      - .actual_access:  write_only
        .address_space:  global
        .offset:         120
        .size:           8
        .value_kind:     global_buffer
      - .actual_access:  write_only
        .address_space:  global
        .offset:         128
        .size:           8
        .value_kind:     global_buffer
      - .offset:         136
        .size:           4
        .value_kind:     by_value
      - .offset:         140
        .size:           4
        .value_kind:     by_value
      - .offset:         144
        .size:           4
        .value_kind:     by_value
      - .offset:         148
        .size:           4
        .value_kind:     by_value
      - .offset:         152
        .size:           1
        .value_kind:     by_value
      - .offset:         153
        .size:           1
        .value_kind:     by_value
      - .offset:         154
        .size:           1
        .value_kind:     by_value
    .group_segment_fixed_size: 0
    .kernarg_segment_align: 8
    .kernarg_segment_size: 156
    .language:       OpenCL C
    .language_version:
      - 2
      - 0
    .max_flat_workgroup_size: 512
    .name:           _ZN9rocsparseL26csrgemm_fill_block_per_rowILj512ELj32ELj1024ELj137ELj64ElldEEvT5_PKS1_S3_NS_24const_host_device_scalarIT6_EEPKT4_S3_PKS5_S9_S3_SB_S6_S9_S3_SB_S9_PS1_PS5_21rocsparse_index_base_SE_SE_SE_bbb
    .private_segment_fixed_size: 0
    .sgpr_count:     59
    .sgpr_spill_count: 0
    .symbol:         _ZN9rocsparseL26csrgemm_fill_block_per_rowILj512ELj32ELj1024ELj137ELj64ElldEEvT5_PKS1_S3_NS_24const_host_device_scalarIT6_EEPKT4_S3_PKS5_S9_S3_SB_S6_S9_S3_SB_S9_PS1_PS5_21rocsparse_index_base_SE_SE_SE_bbb.kd
    .uniform_work_group_size: 1
    .uses_dynamic_stack: false
    .vgpr_count:     29
    .vgpr_spill_count: 0
    .wavefront_size: 64
  - .agpr_count:     0
    .args:
      - .offset:         0
        .size:           8
        .value_kind:     by_value
      - .actual_access:  read_only
        .address_space:  global
        .offset:         8
        .size:           8
        .value_kind:     global_buffer
      - .actual_access:  read_only
        .address_space:  global
        .offset:         16
        .size:           8
        .value_kind:     global_buffer
      - .offset:         24
        .size:           8
        .value_kind:     by_value
      - .actual_access:  read_only
        .address_space:  global
        .offset:         32
        .size:           8
        .value_kind:     global_buffer
      - .actual_access:  read_only
        .address_space:  global
        .offset:         40
        .size:           8
        .value_kind:     global_buffer
      - .actual_access:  read_only
        .address_space:  global
        .offset:         48
        .size:           8
        .value_kind:     global_buffer
      - .actual_access:  read_only
        .address_space:  global
        .offset:         56
        .size:           8
        .value_kind:     global_buffer
      - .actual_access:  read_only
        .address_space:  global
        .offset:         64
        .size:           8
        .value_kind:     global_buffer
      - .actual_access:  read_only
        .address_space:  global
        .offset:         72
        .size:           8
        .value_kind:     global_buffer
      - .offset:         80
        .size:           8
        .value_kind:     by_value
      - .actual_access:  read_only
        .address_space:  global
        .offset:         88
        .size:           8
        .value_kind:     global_buffer
      - .actual_access:  read_only
        .address_space:  global
        .offset:         96
        .size:           8
        .value_kind:     global_buffer
      - .actual_access:  read_only
        .address_space:  global
        .offset:         104
        .size:           8
        .value_kind:     global_buffer
      - .actual_access:  read_only
        .address_space:  global
        .offset:         112
        .size:           8
        .value_kind:     global_buffer
      - .actual_access:  write_only
        .address_space:  global
        .offset:         120
        .size:           8
        .value_kind:     global_buffer
      - .actual_access:  write_only
        .address_space:  global
        .offset:         128
        .size:           8
        .value_kind:     global_buffer
      - .offset:         136
        .size:           4
        .value_kind:     by_value
      - .offset:         140
        .size:           4
        .value_kind:     by_value
      - .offset:         144
        .size:           4
        .value_kind:     by_value
      - .offset:         148
        .size:           4
        .value_kind:     by_value
      - .offset:         152
        .size:           1
        .value_kind:     by_value
      - .offset:         153
        .size:           1
        .value_kind:     by_value
      - .offset:         154
        .size:           1
        .value_kind:     by_value
    .group_segment_fixed_size: 0
    .kernarg_segment_align: 8
    .kernarg_segment_size: 156
    .language:       OpenCL C
    .language_version:
      - 2
      - 0
    .max_flat_workgroup_size: 1024
    .name:           _ZN9rocsparseL26csrgemm_fill_block_per_rowILj1024ELj32ELj2048ELj137ELj32ElldEEvT5_PKS1_S3_NS_24const_host_device_scalarIT6_EEPKT4_S3_PKS5_S9_S3_SB_S6_S9_S3_SB_S9_PS1_PS5_21rocsparse_index_base_SE_SE_SE_bbb
    .private_segment_fixed_size: 0
    .sgpr_count:     86
    .sgpr_spill_count: 0
    .symbol:         _ZN9rocsparseL26csrgemm_fill_block_per_rowILj1024ELj32ELj2048ELj137ELj32ElldEEvT5_PKS1_S3_NS_24const_host_device_scalarIT6_EEPKT4_S3_PKS5_S9_S3_SB_S6_S9_S3_SB_S9_PS1_PS5_21rocsparse_index_base_SE_SE_SE_bbb.kd
    .uniform_work_group_size: 1
    .uses_dynamic_stack: false
    .vgpr_count:     30
    .vgpr_spill_count: 0
    .wavefront_size: 64
  - .agpr_count:     0
    .args:
      - .offset:         0
        .size:           8
        .value_kind:     by_value
      - .actual_access:  read_only
        .address_space:  global
        .offset:         8
        .size:           8
        .value_kind:     global_buffer
      - .actual_access:  read_only
        .address_space:  global
        .offset:         16
        .size:           8
        .value_kind:     global_buffer
      - .offset:         24
        .size:           8
        .value_kind:     by_value
      - .actual_access:  read_only
        .address_space:  global
        .offset:         32
        .size:           8
        .value_kind:     global_buffer
      - .actual_access:  read_only
        .address_space:  global
        .offset:         40
        .size:           8
        .value_kind:     global_buffer
      - .actual_access:  read_only
        .address_space:  global
        .offset:         48
        .size:           8
        .value_kind:     global_buffer
      - .actual_access:  read_only
        .address_space:  global
        .offset:         56
        .size:           8
        .value_kind:     global_buffer
      - .actual_access:  read_only
        .address_space:  global
        .offset:         64
        .size:           8
        .value_kind:     global_buffer
      - .actual_access:  read_only
        .address_space:  global
        .offset:         72
        .size:           8
        .value_kind:     global_buffer
      - .offset:         80
        .size:           8
        .value_kind:     by_value
      - .actual_access:  read_only
        .address_space:  global
        .offset:         88
        .size:           8
        .value_kind:     global_buffer
      - .actual_access:  read_only
        .address_space:  global
        .offset:         96
        .size:           8
        .value_kind:     global_buffer
      - .actual_access:  read_only
        .address_space:  global
        .offset:         104
        .size:           8
        .value_kind:     global_buffer
      - .actual_access:  read_only
        .address_space:  global
        .offset:         112
        .size:           8
        .value_kind:     global_buffer
      - .actual_access:  write_only
        .address_space:  global
        .offset:         120
        .size:           8
        .value_kind:     global_buffer
      - .actual_access:  write_only
        .address_space:  global
        .offset:         128
        .size:           8
        .value_kind:     global_buffer
      - .offset:         136
        .size:           4
        .value_kind:     by_value
      - .offset:         140
        .size:           4
        .value_kind:     by_value
      - .offset:         144
        .size:           4
        .value_kind:     by_value
      - .offset:         148
        .size:           4
        .value_kind:     by_value
      - .offset:         152
        .size:           1
        .value_kind:     by_value
      - .offset:         153
        .size:           1
        .value_kind:     by_value
      - .offset:         154
        .size:           1
        .value_kind:     by_value
    .group_segment_fixed_size: 0
    .kernarg_segment_align: 8
    .kernarg_segment_size: 156
    .language:       OpenCL C
    .language_version:
      - 2
      - 0
    .max_flat_workgroup_size: 1024
    .name:           _ZN9rocsparseL26csrgemm_fill_block_per_rowILj1024ELj32ELj2048ELj137ELj64ElldEEvT5_PKS1_S3_NS_24const_host_device_scalarIT6_EEPKT4_S3_PKS5_S9_S3_SB_S6_S9_S3_SB_S9_PS1_PS5_21rocsparse_index_base_SE_SE_SE_bbb
    .private_segment_fixed_size: 0
    .sgpr_count:     59
    .sgpr_spill_count: 0
    .symbol:         _ZN9rocsparseL26csrgemm_fill_block_per_rowILj1024ELj32ELj2048ELj137ELj64ElldEEvT5_PKS1_S3_NS_24const_host_device_scalarIT6_EEPKT4_S3_PKS5_S9_S3_SB_S6_S9_S3_SB_S9_PS1_PS5_21rocsparse_index_base_SE_SE_SE_bbb.kd
    .uniform_work_group_size: 1
    .uses_dynamic_stack: false
    .vgpr_count:     29
    .vgpr_spill_count: 0
    .wavefront_size: 64
  - .agpr_count:     0
    .args:
      - .offset:         0
        .size:           8
        .value_kind:     by_value
      - .actual_access:  read_only
        .address_space:  global
        .offset:         8
        .size:           8
        .value_kind:     global_buffer
      - .actual_access:  read_only
        .address_space:  global
        .offset:         16
        .size:           8
        .value_kind:     global_buffer
      - .offset:         24
        .size:           8
        .value_kind:     by_value
      - .actual_access:  read_only
        .address_space:  global
        .offset:         32
        .size:           8
        .value_kind:     global_buffer
      - .actual_access:  read_only
        .address_space:  global
        .offset:         40
        .size:           8
        .value_kind:     global_buffer
      - .actual_access:  read_only
        .address_space:  global
        .offset:         48
        .size:           8
        .value_kind:     global_buffer
      - .actual_access:  read_only
        .address_space:  global
        .offset:         56
        .size:           8
        .value_kind:     global_buffer
      - .actual_access:  read_only
        .address_space:  global
        .offset:         64
        .size:           8
        .value_kind:     global_buffer
      - .actual_access:  read_only
        .address_space:  global
        .offset:         72
        .size:           8
        .value_kind:     global_buffer
      - .offset:         80
        .size:           8
        .value_kind:     by_value
      - .actual_access:  read_only
        .address_space:  global
        .offset:         88
        .size:           8
        .value_kind:     global_buffer
      - .actual_access:  read_only
        .address_space:  global
        .offset:         96
        .size:           8
        .value_kind:     global_buffer
      - .actual_access:  read_only
        .address_space:  global
        .offset:         104
        .size:           8
        .value_kind:     global_buffer
      - .actual_access:  read_only
        .address_space:  global
        .offset:         112
        .size:           8
        .value_kind:     global_buffer
      - .actual_access:  write_only
        .address_space:  global
        .offset:         120
        .size:           8
        .value_kind:     global_buffer
      - .actual_access:  write_only
        .address_space:  global
        .offset:         128
        .size:           8
        .value_kind:     global_buffer
      - .offset:         136
        .size:           4
        .value_kind:     by_value
      - .offset:         140
        .size:           4
        .value_kind:     by_value
      - .offset:         144
        .size:           4
        .value_kind:     by_value
      - .offset:         148
        .size:           4
        .value_kind:     by_value
      - .offset:         152
        .size:           1
        .value_kind:     by_value
      - .offset:         153
        .size:           1
        .value_kind:     by_value
      - .offset:         154
        .size:           1
        .value_kind:     by_value
    .group_segment_fixed_size: 0
    .kernarg_segment_align: 8
    .kernarg_segment_size: 156
    .language:       OpenCL C
    .language_version:
      - 2
      - 0
    .max_flat_workgroup_size: 1024
    .name:           _ZN9rocsparseL26csrgemm_fill_block_per_rowILj1024ELj64ELj4096ELj137ELj32ElldEEvT5_PKS1_S3_NS_24const_host_device_scalarIT6_EEPKT4_S3_PKS5_S9_S3_SB_S6_S9_S3_SB_S9_PS1_PS5_21rocsparse_index_base_SE_SE_SE_bbb
    .private_segment_fixed_size: 0
    .sgpr_count:     100
    .sgpr_spill_count: 28
    .symbol:         _ZN9rocsparseL26csrgemm_fill_block_per_rowILj1024ELj64ELj4096ELj137ELj32ElldEEvT5_PKS1_S3_NS_24const_host_device_scalarIT6_EEPKT4_S3_PKS5_S9_S3_SB_S6_S9_S3_SB_S9_PS1_PS5_21rocsparse_index_base_SE_SE_SE_bbb.kd
    .uniform_work_group_size: 1
    .uses_dynamic_stack: false
    .vgpr_count:     30
    .vgpr_spill_count: 0
    .wavefront_size: 64
  - .agpr_count:     0
    .args:
      - .offset:         0
        .size:           8
        .value_kind:     by_value
      - .actual_access:  read_only
        .address_space:  global
        .offset:         8
        .size:           8
        .value_kind:     global_buffer
      - .actual_access:  read_only
        .address_space:  global
        .offset:         16
        .size:           8
        .value_kind:     global_buffer
      - .offset:         24
        .size:           8
        .value_kind:     by_value
      - .actual_access:  read_only
        .address_space:  global
        .offset:         32
        .size:           8
        .value_kind:     global_buffer
      - .actual_access:  read_only
        .address_space:  global
        .offset:         40
        .size:           8
        .value_kind:     global_buffer
      - .actual_access:  read_only
        .address_space:  global
        .offset:         48
        .size:           8
        .value_kind:     global_buffer
      - .actual_access:  read_only
        .address_space:  global
        .offset:         56
        .size:           8
        .value_kind:     global_buffer
      - .actual_access:  read_only
        .address_space:  global
        .offset:         64
        .size:           8
        .value_kind:     global_buffer
      - .actual_access:  read_only
        .address_space:  global
        .offset:         72
        .size:           8
        .value_kind:     global_buffer
      - .offset:         80
        .size:           8
        .value_kind:     by_value
      - .actual_access:  read_only
        .address_space:  global
        .offset:         88
        .size:           8
        .value_kind:     global_buffer
      - .actual_access:  read_only
        .address_space:  global
        .offset:         96
        .size:           8
        .value_kind:     global_buffer
      - .actual_access:  read_only
        .address_space:  global
        .offset:         104
        .size:           8
        .value_kind:     global_buffer
      - .actual_access:  read_only
        .address_space:  global
        .offset:         112
        .size:           8
        .value_kind:     global_buffer
      - .actual_access:  write_only
        .address_space:  global
        .offset:         120
        .size:           8
        .value_kind:     global_buffer
      - .actual_access:  write_only
        .address_space:  global
        .offset:         128
        .size:           8
        .value_kind:     global_buffer
      - .offset:         136
        .size:           4
        .value_kind:     by_value
      - .offset:         140
        .size:           4
        .value_kind:     by_value
      - .offset:         144
        .size:           4
        .value_kind:     by_value
      - .offset:         148
        .size:           4
        .value_kind:     by_value
      - .offset:         152
        .size:           1
        .value_kind:     by_value
      - .offset:         153
        .size:           1
        .value_kind:     by_value
      - .offset:         154
        .size:           1
        .value_kind:     by_value
    .group_segment_fixed_size: 0
    .kernarg_segment_align: 8
    .kernarg_segment_size: 156
    .language:       OpenCL C
    .language_version:
      - 2
      - 0
    .max_flat_workgroup_size: 1024
    .name:           _ZN9rocsparseL26csrgemm_fill_block_per_rowILj1024ELj64ELj4096ELj137ELj64ElldEEvT5_PKS1_S3_NS_24const_host_device_scalarIT6_EEPKT4_S3_PKS5_S9_S3_SB_S6_S9_S3_SB_S9_PS1_PS5_21rocsparse_index_base_SE_SE_SE_bbb
    .private_segment_fixed_size: 0
    .sgpr_count:     69
    .sgpr_spill_count: 0
    .symbol:         _ZN9rocsparseL26csrgemm_fill_block_per_rowILj1024ELj64ELj4096ELj137ELj64ElldEEvT5_PKS1_S3_NS_24const_host_device_scalarIT6_EEPKT4_S3_PKS5_S9_S3_SB_S6_S9_S3_SB_S9_PS1_PS5_21rocsparse_index_base_SE_SE_SE_bbb.kd
    .uniform_work_group_size: 1
    .uses_dynamic_stack: false
    .vgpr_count:     30
    .vgpr_spill_count: 0
    .wavefront_size: 64
  - .agpr_count:     0
    .args:
      - .offset:         0
        .size:           8
        .value_kind:     by_value
      - .actual_access:  read_only
        .address_space:  global
        .offset:         8
        .size:           8
        .value_kind:     global_buffer
      - .actual_access:  read_only
        .address_space:  global
        .offset:         16
        .size:           8
        .value_kind:     global_buffer
      - .offset:         24
        .size:           8
        .value_kind:     by_value
      - .actual_access:  read_only
        .address_space:  global
        .offset:         32
        .size:           8
        .value_kind:     global_buffer
      - .actual_access:  read_only
        .address_space:  global
        .offset:         40
        .size:           8
        .value_kind:     global_buffer
      - .actual_access:  read_only
        .address_space:  global
        .offset:         48
        .size:           8
        .value_kind:     global_buffer
      - .actual_access:  read_only
        .address_space:  global
        .offset:         56
        .size:           8
        .value_kind:     global_buffer
      - .actual_access:  read_only
        .address_space:  global
        .offset:         64
        .size:           8
        .value_kind:     global_buffer
      - .actual_access:  read_only
        .address_space:  global
        .offset:         72
        .size:           8
        .value_kind:     global_buffer
      - .offset:         80
        .size:           8
        .value_kind:     by_value
      - .actual_access:  read_only
        .address_space:  global
        .offset:         88
        .size:           8
        .value_kind:     global_buffer
      - .actual_access:  read_only
        .address_space:  global
        .offset:         96
        .size:           8
        .value_kind:     global_buffer
      - .actual_access:  read_only
        .address_space:  global
        .offset:         104
        .size:           8
        .value_kind:     global_buffer
      - .actual_access:  read_only
        .address_space:  global
        .offset:         112
        .size:           8
        .value_kind:     global_buffer
      - .actual_access:  write_only
        .address_space:  global
        .offset:         120
        .size:           8
        .value_kind:     global_buffer
      - .actual_access:  write_only
        .address_space:  global
        .offset:         128
        .size:           8
        .value_kind:     global_buffer
      - .offset:         136
        .size:           4
        .value_kind:     by_value
      - .offset:         140
        .size:           4
        .value_kind:     by_value
      - .offset:         144
        .size:           4
        .value_kind:     by_value
      - .offset:         148
        .size:           4
        .value_kind:     by_value
      - .offset:         152
        .size:           1
        .value_kind:     by_value
      - .offset:         153
        .size:           1
        .value_kind:     by_value
      - .offset:         154
        .size:           1
        .value_kind:     by_value
    .group_segment_fixed_size: 0
    .kernarg_segment_align: 8
    .kernarg_segment_size: 156
    .language:       OpenCL C
    .language_version:
      - 2
      - 0
    .max_flat_workgroup_size: 1024
    .name:           _ZN9rocsparseL26csrgemm_fill_block_per_rowILj1024ELj64ELj8192ELj137ELj32ElldEEvT5_PKS1_S3_NS_24const_host_device_scalarIT6_EEPKT4_S3_PKS5_S9_S3_SB_S6_S9_S3_SB_S9_PS1_PS5_21rocsparse_index_base_SE_SE_SE_bbb
    .private_segment_fixed_size: 0
    .sgpr_count:     100
    .sgpr_spill_count: 22
    .symbol:         _ZN9rocsparseL26csrgemm_fill_block_per_rowILj1024ELj64ELj8192ELj137ELj32ElldEEvT5_PKS1_S3_NS_24const_host_device_scalarIT6_EEPKT4_S3_PKS5_S9_S3_SB_S6_S9_S3_SB_S9_PS1_PS5_21rocsparse_index_base_SE_SE_SE_bbb.kd
    .uniform_work_group_size: 1
    .uses_dynamic_stack: false
    .vgpr_count:     29
    .vgpr_spill_count: 0
    .wavefront_size: 64
  - .agpr_count:     0
    .args:
      - .offset:         0
        .size:           8
        .value_kind:     by_value
      - .actual_access:  read_only
        .address_space:  global
        .offset:         8
        .size:           8
        .value_kind:     global_buffer
      - .actual_access:  read_only
        .address_space:  global
        .offset:         16
        .size:           8
        .value_kind:     global_buffer
      - .offset:         24
        .size:           8
        .value_kind:     by_value
      - .actual_access:  read_only
        .address_space:  global
        .offset:         32
        .size:           8
        .value_kind:     global_buffer
      - .actual_access:  read_only
        .address_space:  global
        .offset:         40
        .size:           8
        .value_kind:     global_buffer
      - .actual_access:  read_only
        .address_space:  global
        .offset:         48
        .size:           8
        .value_kind:     global_buffer
      - .actual_access:  read_only
        .address_space:  global
        .offset:         56
        .size:           8
        .value_kind:     global_buffer
      - .actual_access:  read_only
        .address_space:  global
        .offset:         64
        .size:           8
        .value_kind:     global_buffer
      - .actual_access:  read_only
        .address_space:  global
        .offset:         72
        .size:           8
        .value_kind:     global_buffer
      - .offset:         80
        .size:           8
        .value_kind:     by_value
      - .actual_access:  read_only
        .address_space:  global
        .offset:         88
        .size:           8
        .value_kind:     global_buffer
      - .actual_access:  read_only
        .address_space:  global
        .offset:         96
        .size:           8
        .value_kind:     global_buffer
      - .actual_access:  read_only
        .address_space:  global
        .offset:         104
        .size:           8
        .value_kind:     global_buffer
      - .actual_access:  read_only
        .address_space:  global
        .offset:         112
        .size:           8
        .value_kind:     global_buffer
      - .actual_access:  write_only
        .address_space:  global
        .offset:         120
        .size:           8
        .value_kind:     global_buffer
      - .actual_access:  write_only
        .address_space:  global
        .offset:         128
        .size:           8
        .value_kind:     global_buffer
      - .offset:         136
        .size:           4
        .value_kind:     by_value
      - .offset:         140
        .size:           4
        .value_kind:     by_value
      - .offset:         144
        .size:           4
        .value_kind:     by_value
      - .offset:         148
        .size:           4
        .value_kind:     by_value
      - .offset:         152
        .size:           1
        .value_kind:     by_value
      - .offset:         153
        .size:           1
        .value_kind:     by_value
      - .offset:         154
        .size:           1
        .value_kind:     by_value
    .group_segment_fixed_size: 0
    .kernarg_segment_align: 8
    .kernarg_segment_size: 156
    .language:       OpenCL C
    .language_version:
      - 2
      - 0
    .max_flat_workgroup_size: 1024
    .name:           _ZN9rocsparseL26csrgemm_fill_block_per_rowILj1024ELj64ELj8192ELj137ELj64ElldEEvT5_PKS1_S3_NS_24const_host_device_scalarIT6_EEPKT4_S3_PKS5_S9_S3_SB_S6_S9_S3_SB_S9_PS1_PS5_21rocsparse_index_base_SE_SE_SE_bbb
    .private_segment_fixed_size: 0
    .sgpr_count:     69
    .sgpr_spill_count: 0
    .symbol:         _ZN9rocsparseL26csrgemm_fill_block_per_rowILj1024ELj64ELj8192ELj137ELj64ElldEEvT5_PKS1_S3_NS_24const_host_device_scalarIT6_EEPKT4_S3_PKS5_S9_S3_SB_S6_S9_S3_SB_S9_PS1_PS5_21rocsparse_index_base_SE_SE_SE_bbb.kd
    .uniform_work_group_size: 1
    .uses_dynamic_stack: false
    .vgpr_count:     29
    .vgpr_spill_count: 0
    .wavefront_size: 64
  - .agpr_count:     0
    .args:
      - .offset:         0
        .size:           8
        .value_kind:     by_value
      - .actual_access:  read_only
        .address_space:  global
        .offset:         8
        .size:           8
        .value_kind:     global_buffer
      - .actual_access:  read_only
        .address_space:  global
        .offset:         16
        .size:           8
        .value_kind:     global_buffer
      - .offset:         24
        .size:           8
        .value_kind:     by_value
      - .actual_access:  read_only
        .address_space:  global
        .offset:         32
        .size:           8
        .value_kind:     global_buffer
      - .actual_access:  read_only
        .address_space:  global
        .offset:         40
        .size:           8
        .value_kind:     global_buffer
      - .actual_access:  read_only
        .address_space:  global
        .offset:         48
        .size:           8
        .value_kind:     global_buffer
      - .actual_access:  read_only
        .address_space:  global
        .offset:         56
        .size:           8
        .value_kind:     global_buffer
      - .actual_access:  read_only
        .address_space:  global
        .offset:         64
        .size:           8
        .value_kind:     global_buffer
      - .actual_access:  read_only
        .address_space:  global
        .offset:         72
        .size:           8
        .value_kind:     global_buffer
      - .offset:         80
        .size:           8
        .value_kind:     by_value
      - .actual_access:  read_only
        .address_space:  global
        .offset:         88
        .size:           8
        .value_kind:     global_buffer
      - .actual_access:  read_only
        .address_space:  global
        .offset:         96
        .size:           8
        .value_kind:     global_buffer
      - .actual_access:  read_only
        .address_space:  global
        .offset:         104
        .size:           8
        .value_kind:     global_buffer
      - .actual_access:  read_only
        .address_space:  global
        .offset:         112
        .size:           8
        .value_kind:     global_buffer
      - .actual_access:  write_only
        .address_space:  global
        .offset:         120
        .size:           8
        .value_kind:     global_buffer
      - .actual_access:  write_only
        .address_space:  global
        .offset:         128
        .size:           8
        .value_kind:     global_buffer
      - .offset:         136
        .size:           4
        .value_kind:     by_value
      - .offset:         140
        .size:           4
        .value_kind:     by_value
      - .offset:         144
        .size:           4
        .value_kind:     by_value
      - .offset:         148
        .size:           4
        .value_kind:     by_value
      - .offset:         152
        .size:           1
        .value_kind:     by_value
      - .offset:         153
        .size:           1
        .value_kind:     by_value
      - .offset:         154
        .size:           1
        .value_kind:     by_value
    .group_segment_fixed_size: 0
    .kernarg_segment_align: 8
    .kernarg_segment_size: 156
    .language:       OpenCL C
    .language_version:
      - 2
      - 0
    .max_flat_workgroup_size: 1024
    .name:           _ZN9rocsparseL26csrgemm_fill_block_per_rowILj1024ELj64ELj16384ELj137ELj32ElldEEvT5_PKS1_S3_NS_24const_host_device_scalarIT6_EEPKT4_S3_PKS5_S9_S3_SB_S6_S9_S3_SB_S9_PS1_PS5_21rocsparse_index_base_SE_SE_SE_bbb
    .private_segment_fixed_size: 0
    .sgpr_count:     100
    .sgpr_spill_count: 28
    .symbol:         _ZN9rocsparseL26csrgemm_fill_block_per_rowILj1024ELj64ELj16384ELj137ELj32ElldEEvT5_PKS1_S3_NS_24const_host_device_scalarIT6_EEPKT4_S3_PKS5_S9_S3_SB_S6_S9_S3_SB_S9_PS1_PS5_21rocsparse_index_base_SE_SE_SE_bbb.kd
    .uniform_work_group_size: 1
    .uses_dynamic_stack: false
    .vgpr_count:     30
    .vgpr_spill_count: 0
    .wavefront_size: 64
  - .agpr_count:     0
    .args:
      - .offset:         0
        .size:           8
        .value_kind:     by_value
      - .actual_access:  read_only
        .address_space:  global
        .offset:         8
        .size:           8
        .value_kind:     global_buffer
      - .actual_access:  read_only
        .address_space:  global
        .offset:         16
        .size:           8
        .value_kind:     global_buffer
      - .offset:         24
        .size:           8
        .value_kind:     by_value
      - .actual_access:  read_only
        .address_space:  global
        .offset:         32
        .size:           8
        .value_kind:     global_buffer
      - .actual_access:  read_only
        .address_space:  global
        .offset:         40
        .size:           8
        .value_kind:     global_buffer
      - .actual_access:  read_only
        .address_space:  global
        .offset:         48
        .size:           8
        .value_kind:     global_buffer
      - .actual_access:  read_only
        .address_space:  global
        .offset:         56
        .size:           8
        .value_kind:     global_buffer
      - .actual_access:  read_only
        .address_space:  global
        .offset:         64
        .size:           8
        .value_kind:     global_buffer
      - .actual_access:  read_only
        .address_space:  global
        .offset:         72
        .size:           8
        .value_kind:     global_buffer
      - .offset:         80
        .size:           8
        .value_kind:     by_value
      - .actual_access:  read_only
        .address_space:  global
        .offset:         88
        .size:           8
        .value_kind:     global_buffer
      - .actual_access:  read_only
        .address_space:  global
        .offset:         96
        .size:           8
        .value_kind:     global_buffer
      - .actual_access:  read_only
        .address_space:  global
        .offset:         104
        .size:           8
        .value_kind:     global_buffer
      - .actual_access:  read_only
        .address_space:  global
        .offset:         112
        .size:           8
        .value_kind:     global_buffer
      - .actual_access:  write_only
        .address_space:  global
        .offset:         120
        .size:           8
        .value_kind:     global_buffer
      - .actual_access:  write_only
        .address_space:  global
        .offset:         128
        .size:           8
        .value_kind:     global_buffer
      - .offset:         136
        .size:           4
        .value_kind:     by_value
      - .offset:         140
        .size:           4
        .value_kind:     by_value
      - .offset:         144
        .size:           4
        .value_kind:     by_value
      - .offset:         148
        .size:           4
        .value_kind:     by_value
      - .offset:         152
        .size:           1
        .value_kind:     by_value
      - .offset:         153
        .size:           1
        .value_kind:     by_value
      - .offset:         154
        .size:           1
        .value_kind:     by_value
    .group_segment_fixed_size: 0
    .kernarg_segment_align: 8
    .kernarg_segment_size: 156
    .language:       OpenCL C
    .language_version:
      - 2
      - 0
    .max_flat_workgroup_size: 1024
    .name:           _ZN9rocsparseL26csrgemm_fill_block_per_rowILj1024ELj64ELj16384ELj137ELj64ElldEEvT5_PKS1_S3_NS_24const_host_device_scalarIT6_EEPKT4_S3_PKS5_S9_S3_SB_S6_S9_S3_SB_S9_PS1_PS5_21rocsparse_index_base_SE_SE_SE_bbb
    .private_segment_fixed_size: 0
    .sgpr_count:     69
    .sgpr_spill_count: 0
    .symbol:         _ZN9rocsparseL26csrgemm_fill_block_per_rowILj1024ELj64ELj16384ELj137ELj64ElldEEvT5_PKS1_S3_NS_24const_host_device_scalarIT6_EEPKT4_S3_PKS5_S9_S3_SB_S6_S9_S3_SB_S9_PS1_PS5_21rocsparse_index_base_SE_SE_SE_bbb.kd
    .uniform_work_group_size: 1
    .uses_dynamic_stack: false
    .vgpr_count:     30
    .vgpr_spill_count: 0
    .wavefront_size: 64
  - .agpr_count:     0
    .args:
      - .offset:         0
        .size:           8
        .value_kind:     by_value
      - .actual_access:  read_only
        .address_space:  global
        .offset:         8
        .size:           8
        .value_kind:     global_buffer
      - .actual_access:  read_only
        .address_space:  global
        .offset:         16
        .size:           8
        .value_kind:     global_buffer
      - .offset:         24
        .size:           8
        .value_kind:     by_value
      - .actual_access:  read_only
        .address_space:  global
        .offset:         32
        .size:           8
        .value_kind:     global_buffer
      - .actual_access:  read_only
        .address_space:  global
        .offset:         40
        .size:           8
        .value_kind:     global_buffer
      - .actual_access:  read_only
        .address_space:  global
        .offset:         48
        .size:           8
        .value_kind:     global_buffer
      - .actual_access:  read_only
        .address_space:  global
        .offset:         56
        .size:           8
        .value_kind:     global_buffer
      - .actual_access:  read_only
        .address_space:  global
        .offset:         64
        .size:           8
        .value_kind:     global_buffer
      - .actual_access:  read_only
        .address_space:  global
        .offset:         72
        .size:           8
        .value_kind:     global_buffer
      - .offset:         80
        .size:           8
        .value_kind:     by_value
      - .actual_access:  read_only
        .address_space:  global
        .offset:         88
        .size:           8
        .value_kind:     global_buffer
      - .actual_access:  read_only
        .address_space:  global
        .offset:         96
        .size:           8
        .value_kind:     global_buffer
      - .actual_access:  read_only
        .address_space:  global
        .offset:         104
        .size:           8
        .value_kind:     global_buffer
      - .actual_access:  read_only
        .address_space:  global
        .offset:         112
        .size:           8
        .value_kind:     global_buffer
      - .actual_access:  write_only
        .address_space:  global
        .offset:         120
        .size:           8
        .value_kind:     global_buffer
      - .actual_access:  write_only
        .address_space:  global
        .offset:         128
        .size:           8
        .value_kind:     global_buffer
      - .offset:         136
        .size:           4
        .value_kind:     by_value
      - .offset:         140
        .size:           4
        .value_kind:     by_value
      - .offset:         144
        .size:           4
        .value_kind:     by_value
      - .offset:         148
        .size:           4
        .value_kind:     by_value
      - .offset:         152
        .size:           1
        .value_kind:     by_value
      - .offset:         153
        .size:           1
        .value_kind:     by_value
      - .offset:         154
        .size:           1
        .value_kind:     by_value
    .group_segment_fixed_size: 0
    .kernarg_segment_align: 8
    .kernarg_segment_size: 156
    .language:       OpenCL C
    .language_version:
      - 2
      - 0
    .max_flat_workgroup_size: 1024
    .name:           _ZN9rocsparseL26csrgemm_fill_block_per_rowILj1024ELj64ELj32768ELj137ELj32ElldEEvT5_PKS1_S3_NS_24const_host_device_scalarIT6_EEPKT4_S3_PKS5_S9_S3_SB_S6_S9_S3_SB_S9_PS1_PS5_21rocsparse_index_base_SE_SE_SE_bbb
    .private_segment_fixed_size: 0
    .sgpr_count:     100
    .sgpr_spill_count: 28
    .symbol:         _ZN9rocsparseL26csrgemm_fill_block_per_rowILj1024ELj64ELj32768ELj137ELj32ElldEEvT5_PKS1_S3_NS_24const_host_device_scalarIT6_EEPKT4_S3_PKS5_S9_S3_SB_S6_S9_S3_SB_S9_PS1_PS5_21rocsparse_index_base_SE_SE_SE_bbb.kd
    .uniform_work_group_size: 1
    .uses_dynamic_stack: false
    .vgpr_count:     30
    .vgpr_spill_count: 0
    .wavefront_size: 64
  - .agpr_count:     0
    .args:
      - .offset:         0
        .size:           8
        .value_kind:     by_value
      - .actual_access:  read_only
        .address_space:  global
        .offset:         8
        .size:           8
        .value_kind:     global_buffer
      - .actual_access:  read_only
        .address_space:  global
        .offset:         16
        .size:           8
        .value_kind:     global_buffer
      - .offset:         24
        .size:           8
        .value_kind:     by_value
      - .actual_access:  read_only
        .address_space:  global
        .offset:         32
        .size:           8
        .value_kind:     global_buffer
      - .actual_access:  read_only
        .address_space:  global
        .offset:         40
        .size:           8
        .value_kind:     global_buffer
      - .actual_access:  read_only
        .address_space:  global
        .offset:         48
        .size:           8
        .value_kind:     global_buffer
      - .actual_access:  read_only
        .address_space:  global
        .offset:         56
        .size:           8
        .value_kind:     global_buffer
      - .actual_access:  read_only
        .address_space:  global
        .offset:         64
        .size:           8
        .value_kind:     global_buffer
      - .actual_access:  read_only
        .address_space:  global
        .offset:         72
        .size:           8
        .value_kind:     global_buffer
      - .offset:         80
        .size:           8
        .value_kind:     by_value
      - .actual_access:  read_only
        .address_space:  global
        .offset:         88
        .size:           8
        .value_kind:     global_buffer
      - .actual_access:  read_only
        .address_space:  global
        .offset:         96
        .size:           8
        .value_kind:     global_buffer
      - .actual_access:  read_only
        .address_space:  global
        .offset:         104
        .size:           8
        .value_kind:     global_buffer
      - .actual_access:  read_only
        .address_space:  global
        .offset:         112
        .size:           8
        .value_kind:     global_buffer
      - .actual_access:  write_only
        .address_space:  global
        .offset:         120
        .size:           8
        .value_kind:     global_buffer
      - .actual_access:  write_only
        .address_space:  global
        .offset:         128
        .size:           8
        .value_kind:     global_buffer
      - .offset:         136
        .size:           4
        .value_kind:     by_value
      - .offset:         140
        .size:           4
        .value_kind:     by_value
      - .offset:         144
        .size:           4
        .value_kind:     by_value
      - .offset:         148
        .size:           4
        .value_kind:     by_value
      - .offset:         152
        .size:           1
        .value_kind:     by_value
      - .offset:         153
        .size:           1
        .value_kind:     by_value
      - .offset:         154
        .size:           1
        .value_kind:     by_value
    .group_segment_fixed_size: 0
    .kernarg_segment_align: 8
    .kernarg_segment_size: 156
    .language:       OpenCL C
    .language_version:
      - 2
      - 0
    .max_flat_workgroup_size: 1024
    .name:           _ZN9rocsparseL26csrgemm_fill_block_per_rowILj1024ELj64ELj32768ELj137ELj64ElldEEvT5_PKS1_S3_NS_24const_host_device_scalarIT6_EEPKT4_S3_PKS5_S9_S3_SB_S6_S9_S3_SB_S9_PS1_PS5_21rocsparse_index_base_SE_SE_SE_bbb
    .private_segment_fixed_size: 0
    .sgpr_count:     69
    .sgpr_spill_count: 0
    .symbol:         _ZN9rocsparseL26csrgemm_fill_block_per_rowILj1024ELj64ELj32768ELj137ELj64ElldEEvT5_PKS1_S3_NS_24const_host_device_scalarIT6_EEPKT4_S3_PKS5_S9_S3_SB_S6_S9_S3_SB_S9_PS1_PS5_21rocsparse_index_base_SE_SE_SE_bbb.kd
    .uniform_work_group_size: 1
    .uses_dynamic_stack: false
    .vgpr_count:     30
    .vgpr_spill_count: 0
    .wavefront_size: 64
  - .agpr_count:     0
    .args:
      - .offset:         0
        .size:           8
        .value_kind:     by_value
      - .actual_access:  read_only
        .address_space:  global
        .offset:         8
        .size:           8
        .value_kind:     global_buffer
      - .actual_access:  read_only
        .address_space:  global
        .offset:         16
        .size:           8
        .value_kind:     global_buffer
      - .offset:         24
        .size:           8
        .value_kind:     by_value
      - .actual_access:  read_only
        .address_space:  global
        .offset:         32
        .size:           8
        .value_kind:     global_buffer
      - .actual_access:  read_only
        .address_space:  global
        .offset:         40
        .size:           8
        .value_kind:     global_buffer
      - .actual_access:  read_only
        .address_space:  global
        .offset:         48
        .size:           8
        .value_kind:     global_buffer
      - .actual_access:  read_only
        .address_space:  global
        .offset:         56
        .size:           8
        .value_kind:     global_buffer
      - .actual_access:  read_only
        .address_space:  global
        .offset:         64
        .size:           8
        .value_kind:     global_buffer
      - .actual_access:  read_only
        .address_space:  global
        .offset:         72
        .size:           8
        .value_kind:     global_buffer
      - .offset:         80
        .size:           8
        .value_kind:     by_value
      - .actual_access:  read_only
        .address_space:  global
        .offset:         88
        .size:           8
        .value_kind:     global_buffer
      - .actual_access:  read_only
        .address_space:  global
        .offset:         96
        .size:           8
        .value_kind:     global_buffer
      - .actual_access:  read_only
        .address_space:  global
        .offset:         104
        .size:           8
        .value_kind:     global_buffer
      - .actual_access:  read_only
        .address_space:  global
        .offset:         112
        .size:           8
        .value_kind:     global_buffer
      - .actual_access:  write_only
        .address_space:  global
        .offset:         120
        .size:           8
        .value_kind:     global_buffer
      - .actual_access:  write_only
        .address_space:  global
        .offset:         128
        .size:           8
        .value_kind:     global_buffer
      - .address_space:  global
        .offset:         136
        .size:           8
        .value_kind:     global_buffer
      - .offset:         144
        .size:           4
        .value_kind:     by_value
      - .offset:         148
        .size:           4
        .value_kind:     by_value
      - .offset:         152
        .size:           4
        .value_kind:     by_value
      - .offset:         156
        .size:           4
        .value_kind:     by_value
      - .offset:         160
        .size:           1
        .value_kind:     by_value
      - .offset:         161
        .size:           1
        .value_kind:     by_value
      - .offset:         162
        .size:           1
        .value_kind:     by_value
    .group_segment_fixed_size: 18440
    .kernarg_segment_align: 8
    .kernarg_segment_size: 164
    .language:       OpenCL C
    .language_version:
      - 2
      - 0
    .max_flat_workgroup_size: 512
    .name:           _ZN9rocsparseL36csrgemm_fill_block_per_row_multipassILj512ELj16ELj2048ELj32ElldEEvT4_PKS1_S3_NS_24const_host_device_scalarIT5_EEPKT3_S3_PKS5_S9_S3_SB_S6_S9_S3_SB_S9_PS1_PS5_PS7_21rocsparse_index_base_SF_SF_SF_bbb
    .private_segment_fixed_size: 0
    .sgpr_count:     100
    .sgpr_spill_count: 8
    .symbol:         _ZN9rocsparseL36csrgemm_fill_block_per_row_multipassILj512ELj16ELj2048ELj32ElldEEvT4_PKS1_S3_NS_24const_host_device_scalarIT5_EEPKT3_S3_PKS5_S9_S3_SB_S6_S9_S3_SB_S9_PS1_PS5_PS7_21rocsparse_index_base_SF_SF_SF_bbb.kd
    .uniform_work_group_size: 1
    .uses_dynamic_stack: false
    .vgpr_count:     49
    .vgpr_spill_count: 0
    .wavefront_size: 64
  - .agpr_count:     0
    .args:
      - .offset:         0
        .size:           8
        .value_kind:     by_value
      - .actual_access:  read_only
        .address_space:  global
        .offset:         8
        .size:           8
        .value_kind:     global_buffer
      - .actual_access:  read_only
        .address_space:  global
        .offset:         16
        .size:           8
        .value_kind:     global_buffer
      - .offset:         24
        .size:           8
        .value_kind:     by_value
      - .actual_access:  read_only
        .address_space:  global
        .offset:         32
        .size:           8
        .value_kind:     global_buffer
      - .actual_access:  read_only
        .address_space:  global
        .offset:         40
        .size:           8
        .value_kind:     global_buffer
      - .actual_access:  read_only
        .address_space:  global
        .offset:         48
        .size:           8
        .value_kind:     global_buffer
      - .actual_access:  read_only
        .address_space:  global
        .offset:         56
        .size:           8
        .value_kind:     global_buffer
      - .actual_access:  read_only
        .address_space:  global
        .offset:         64
        .size:           8
        .value_kind:     global_buffer
      - .actual_access:  read_only
        .address_space:  global
        .offset:         72
        .size:           8
        .value_kind:     global_buffer
      - .offset:         80
        .size:           8
        .value_kind:     by_value
      - .actual_access:  read_only
        .address_space:  global
        .offset:         88
        .size:           8
        .value_kind:     global_buffer
      - .actual_access:  read_only
        .address_space:  global
        .offset:         96
        .size:           8
        .value_kind:     global_buffer
      - .actual_access:  read_only
        .address_space:  global
        .offset:         104
        .size:           8
        .value_kind:     global_buffer
      - .actual_access:  read_only
        .address_space:  global
        .offset:         112
        .size:           8
        .value_kind:     global_buffer
      - .actual_access:  write_only
        .address_space:  global
        .offset:         120
        .size:           8
        .value_kind:     global_buffer
      - .actual_access:  write_only
        .address_space:  global
        .offset:         128
        .size:           8
        .value_kind:     global_buffer
      - .address_space:  global
        .offset:         136
        .size:           8
        .value_kind:     global_buffer
      - .offset:         144
        .size:           4
        .value_kind:     by_value
      - .offset:         148
        .size:           4
        .value_kind:     by_value
      - .offset:         152
        .size:           4
        .value_kind:     by_value
      - .offset:         156
        .size:           4
        .value_kind:     by_value
      - .offset:         160
        .size:           1
        .value_kind:     by_value
      - .offset:         161
        .size:           1
        .value_kind:     by_value
      - .offset:         162
        .size:           1
        .value_kind:     by_value
    .group_segment_fixed_size: 18440
    .kernarg_segment_align: 8
    .kernarg_segment_size: 164
    .language:       OpenCL C
    .language_version:
      - 2
      - 0
    .max_flat_workgroup_size: 512
    .name:           _ZN9rocsparseL36csrgemm_fill_block_per_row_multipassILj512ELj16ELj2048ELj64ElldEEvT4_PKS1_S3_NS_24const_host_device_scalarIT5_EEPKT3_S3_PKS5_S9_S3_SB_S6_S9_S3_SB_S9_PS1_PS5_PS7_21rocsparse_index_base_SF_SF_SF_bbb
    .private_segment_fixed_size: 0
    .sgpr_count:     88
    .sgpr_spill_count: 0
    .symbol:         _ZN9rocsparseL36csrgemm_fill_block_per_row_multipassILj512ELj16ELj2048ELj64ElldEEvT4_PKS1_S3_NS_24const_host_device_scalarIT5_EEPKT3_S3_PKS5_S9_S3_SB_S6_S9_S3_SB_S9_PS1_PS5_PS7_21rocsparse_index_base_SF_SF_SF_bbb.kd
    .uniform_work_group_size: 1
    .uses_dynamic_stack: false
    .vgpr_count:     48
    .vgpr_spill_count: 0
    .wavefront_size: 64
  - .agpr_count:     0
    .args:
      - .offset:         0
        .size:           8
        .value_kind:     by_value
      - .actual_access:  read_only
        .address_space:  global
        .offset:         8
        .size:           8
        .value_kind:     global_buffer
      - .actual_access:  write_only
        .address_space:  global
        .offset:         16
        .size:           8
        .value_kind:     global_buffer
      - .actual_access:  write_only
        .address_space:  global
        .offset:         24
        .size:           8
        .value_kind:     global_buffer
      - .offset:         32
        .size:           4
        .value_kind:     by_value
      - .offset:         40
        .size:           4
        .value_kind:     hidden_block_count_x
      - .offset:         44
        .size:           4
        .value_kind:     hidden_block_count_y
      - .offset:         48
        .size:           4
        .value_kind:     hidden_block_count_z
      - .offset:         52
        .size:           2
        .value_kind:     hidden_group_size_x
      - .offset:         54
        .size:           2
        .value_kind:     hidden_group_size_y
      - .offset:         56
        .size:           2
        .value_kind:     hidden_group_size_z
      - .offset:         58
        .size:           2
        .value_kind:     hidden_remainder_x
      - .offset:         60
        .size:           2
        .value_kind:     hidden_remainder_y
      - .offset:         62
        .size:           2
        .value_kind:     hidden_remainder_z
      - .offset:         80
        .size:           8
        .value_kind:     hidden_global_offset_x
      - .offset:         88
        .size:           8
        .value_kind:     hidden_global_offset_y
      - .offset:         96
        .size:           8
        .value_kind:     hidden_global_offset_z
      - .offset:         104
        .size:           2
        .value_kind:     hidden_grid_dims
    .group_segment_fixed_size: 22528
    .kernarg_segment_align: 8
    .kernarg_segment_size: 296
    .language:       OpenCL C
    .language_version:
      - 2
      - 0
    .max_flat_workgroup_size: 256
    .name:           _ZN9rocsparseL26csrgemm_group_reduce_part2ILj256ELj11E21rocsparse_complex_numIfEllEEvT3_PKT2_PS3_Pij
    .private_segment_fixed_size: 0
    .sgpr_count:     68
    .sgpr_spill_count: 0
    .symbol:         _ZN9rocsparseL26csrgemm_group_reduce_part2ILj256ELj11E21rocsparse_complex_numIfEllEEvT3_PKT2_PS3_Pij.kd
    .uniform_work_group_size: 1
    .uses_dynamic_stack: false
    .vgpr_count:     34
    .vgpr_spill_count: 0
    .wavefront_size: 64
  - .agpr_count:     0
    .args:
      - .offset:         0
        .size:           8
        .value_kind:     by_value
      - .offset:         8
        .size:           8
        .value_kind:     by_value
      - .actual_access:  read_only
        .address_space:  global
        .offset:         16
        .size:           8
        .value_kind:     global_buffer
      - .actual_access:  read_only
        .address_space:  global
        .offset:         24
        .size:           8
        .value_kind:     global_buffer
      - .offset:         32
        .size:           8
        .value_kind:     by_value
      - .actual_access:  read_only
        .address_space:  global
        .offset:         40
        .size:           8
        .value_kind:     global_buffer
      - .actual_access:  read_only
        .address_space:  global
        .offset:         48
        .size:           8
        .value_kind:     global_buffer
      - .actual_access:  read_only
        .address_space:  global
        .offset:         56
        .size:           8
        .value_kind:     global_buffer
      - .actual_access:  read_only
        .address_space:  global
        .offset:         64
        .size:           8
        .value_kind:     global_buffer
      - .actual_access:  read_only
        .address_space:  global
        .offset:         72
        .size:           8
        .value_kind:     global_buffer
      - .actual_access:  read_only
        .address_space:  global
        .offset:         80
        .size:           8
        .value_kind:     global_buffer
      - .offset:         88
        .size:           8
        .value_kind:     by_value
      - .actual_access:  read_only
        .address_space:  global
        .offset:         96
        .size:           8
        .value_kind:     global_buffer
      - .actual_access:  read_only
        .address_space:  global
        .offset:         104
        .size:           8
        .value_kind:     global_buffer
      - .actual_access:  read_only
        .address_space:  global
        .offset:         112
        .size:           8
        .value_kind:     global_buffer
      - .actual_access:  read_only
        .address_space:  global
        .offset:         120
        .size:           8
        .value_kind:     global_buffer
      - .actual_access:  write_only
        .address_space:  global
        .offset:         128
        .size:           8
        .value_kind:     global_buffer
      - .actual_access:  write_only
        .address_space:  global
        .offset:         136
        .size:           8
        .value_kind:     global_buffer
      - .offset:         144
        .size:           4
        .value_kind:     by_value
      - .offset:         148
        .size:           4
        .value_kind:     by_value
      - .offset:         152
        .size:           4
        .value_kind:     by_value
      - .offset:         156
        .size:           4
        .value_kind:     by_value
      - .offset:         160
        .size:           1
        .value_kind:     by_value
      - .offset:         161
        .size:           1
        .value_kind:     by_value
      - .offset:         162
        .size:           1
        .value_kind:     by_value
    .group_segment_fixed_size: 8192
    .kernarg_segment_align: 8
    .kernarg_segment_size: 164
    .language:       OpenCL C
    .language_version:
      - 2
      - 0
    .max_flat_workgroup_size: 256
    .name:           _ZN9rocsparseL23csrgemm_fill_wf_per_rowILj256ELj8ELj16ELj137Ell21rocsparse_complex_numIfEEEvT4_S3_PKS3_S5_NS_24const_host_device_scalarIT5_EEPKT3_S5_PKS7_SB_S5_SD_S8_SB_S5_SD_SB_PS3_PS7_21rocsparse_index_base_SG_SG_SG_bbb
    .private_segment_fixed_size: 0
    .sgpr_count:     60
    .sgpr_spill_count: 0
    .symbol:         _ZN9rocsparseL23csrgemm_fill_wf_per_rowILj256ELj8ELj16ELj137Ell21rocsparse_complex_numIfEEEvT4_S3_PKS3_S5_NS_24const_host_device_scalarIT5_EEPKT3_S5_PKS7_SB_S5_SD_S8_SB_S5_SD_SB_PS3_PS7_21rocsparse_index_base_SG_SG_SG_bbb.kd
    .uniform_work_group_size: 1
    .uses_dynamic_stack: false
    .vgpr_count:     30
    .vgpr_spill_count: 0
    .wavefront_size: 64
  - .agpr_count:     0
    .args:
      - .offset:         0
        .size:           8
        .value_kind:     by_value
      - .offset:         8
        .size:           8
        .value_kind:     by_value
      - .actual_access:  read_only
        .address_space:  global
        .offset:         16
        .size:           8
        .value_kind:     global_buffer
      - .actual_access:  read_only
        .address_space:  global
        .offset:         24
        .size:           8
        .value_kind:     global_buffer
      - .offset:         32
        .size:           8
        .value_kind:     by_value
      - .actual_access:  read_only
        .address_space:  global
        .offset:         40
        .size:           8
        .value_kind:     global_buffer
      - .actual_access:  read_only
        .address_space:  global
        .offset:         48
        .size:           8
        .value_kind:     global_buffer
      - .actual_access:  read_only
        .address_space:  global
        .offset:         56
        .size:           8
        .value_kind:     global_buffer
      - .actual_access:  read_only
        .address_space:  global
        .offset:         64
        .size:           8
        .value_kind:     global_buffer
      - .actual_access:  read_only
        .address_space:  global
        .offset:         72
        .size:           8
        .value_kind:     global_buffer
      - .actual_access:  read_only
        .address_space:  global
        .offset:         80
        .size:           8
        .value_kind:     global_buffer
      - .offset:         88
        .size:           8
        .value_kind:     by_value
      - .actual_access:  read_only
        .address_space:  global
        .offset:         96
        .size:           8
        .value_kind:     global_buffer
      - .actual_access:  read_only
        .address_space:  global
        .offset:         104
        .size:           8
        .value_kind:     global_buffer
      - .actual_access:  read_only
        .address_space:  global
        .offset:         112
        .size:           8
        .value_kind:     global_buffer
      - .actual_access:  read_only
        .address_space:  global
        .offset:         120
        .size:           8
        .value_kind:     global_buffer
      - .actual_access:  write_only
        .address_space:  global
        .offset:         128
        .size:           8
        .value_kind:     global_buffer
      - .actual_access:  write_only
        .address_space:  global
        .offset:         136
        .size:           8
        .value_kind:     global_buffer
      - .offset:         144
        .size:           4
        .value_kind:     by_value
      - .offset:         148
        .size:           4
        .value_kind:     by_value
      - .offset:         152
        .size:           4
        .value_kind:     by_value
      - .offset:         156
        .size:           4
        .value_kind:     by_value
      - .offset:         160
        .size:           1
        .value_kind:     by_value
      - .offset:         161
        .size:           1
        .value_kind:     by_value
      - .offset:         162
        .size:           1
        .value_kind:     by_value
    .group_segment_fixed_size: 8192
    .kernarg_segment_align: 8
    .kernarg_segment_size: 164
    .language:       OpenCL C
    .language_version:
      - 2
      - 0
    .max_flat_workgroup_size: 256
    .name:           _ZN9rocsparseL23csrgemm_fill_wf_per_rowILj256ELj16ELj32ELj137Ell21rocsparse_complex_numIfEEEvT4_S3_PKS3_S5_NS_24const_host_device_scalarIT5_EEPKT3_S5_PKS7_SB_S5_SD_S8_SB_S5_SD_SB_PS3_PS7_21rocsparse_index_base_SG_SG_SG_bbb
    .private_segment_fixed_size: 0
    .sgpr_count:     60
    .sgpr_spill_count: 0
    .symbol:         _ZN9rocsparseL23csrgemm_fill_wf_per_rowILj256ELj16ELj32ELj137Ell21rocsparse_complex_numIfEEEvT4_S3_PKS3_S5_NS_24const_host_device_scalarIT5_EEPKT3_S5_PKS7_SB_S5_SD_S8_SB_S5_SD_SB_PS3_PS7_21rocsparse_index_base_SG_SG_SG_bbb.kd
    .uniform_work_group_size: 1
    .uses_dynamic_stack: false
    .vgpr_count:     30
    .vgpr_spill_count: 0
    .wavefront_size: 64
  - .agpr_count:     0
    .args:
      - .offset:         0
        .size:           8
        .value_kind:     by_value
      - .actual_access:  read_only
        .address_space:  global
        .offset:         8
        .size:           8
        .value_kind:     global_buffer
      - .actual_access:  read_only
        .address_space:  global
        .offset:         16
        .size:           8
        .value_kind:     global_buffer
      - .offset:         24
        .size:           8
        .value_kind:     by_value
      - .actual_access:  read_only
        .address_space:  global
        .offset:         32
        .size:           8
        .value_kind:     global_buffer
      - .actual_access:  read_only
        .address_space:  global
        .offset:         40
        .size:           8
        .value_kind:     global_buffer
      - .actual_access:  read_only
        .address_space:  global
        .offset:         48
        .size:           8
        .value_kind:     global_buffer
      - .actual_access:  read_only
        .address_space:  global
        .offset:         56
        .size:           8
        .value_kind:     global_buffer
      - .actual_access:  read_only
        .address_space:  global
        .offset:         64
        .size:           8
        .value_kind:     global_buffer
      - .actual_access:  read_only
        .address_space:  global
        .offset:         72
        .size:           8
        .value_kind:     global_buffer
      - .offset:         80
        .size:           8
        .value_kind:     by_value
      - .actual_access:  read_only
        .address_space:  global
        .offset:         88
        .size:           8
        .value_kind:     global_buffer
      - .actual_access:  read_only
        .address_space:  global
        .offset:         96
        .size:           8
        .value_kind:     global_buffer
      - .actual_access:  read_only
        .address_space:  global
        .offset:         104
        .size:           8
        .value_kind:     global_buffer
      - .actual_access:  read_only
        .address_space:  global
        .offset:         112
        .size:           8
        .value_kind:     global_buffer
      - .actual_access:  write_only
        .address_space:  global
        .offset:         120
        .size:           8
        .value_kind:     global_buffer
      - .actual_access:  write_only
        .address_space:  global
        .offset:         128
        .size:           8
        .value_kind:     global_buffer
      - .offset:         136
        .size:           4
        .value_kind:     by_value
      - .offset:         140
        .size:           4
        .value_kind:     by_value
      - .offset:         144
        .size:           4
        .value_kind:     by_value
      - .offset:         148
        .size:           4
        .value_kind:     by_value
      - .offset:         152
        .size:           1
        .value_kind:     by_value
      - .offset:         153
        .size:           1
        .value_kind:     by_value
      - .offset:         154
        .size:           1
        .value_kind:     by_value
    .group_segment_fixed_size: 0
    .kernarg_segment_align: 8
    .kernarg_segment_size: 156
    .language:       OpenCL C
    .language_version:
      - 2
      - 0
    .max_flat_workgroup_size: 128
    .name:           _ZN9rocsparseL26csrgemm_fill_block_per_rowILj128ELj16ELj256ELj137ELj32Ell21rocsparse_complex_numIfEEEvT5_PKS3_S5_NS_24const_host_device_scalarIT6_EEPKT4_S5_PKS7_SB_S5_SD_S8_SB_S5_SD_SB_PS3_PS7_21rocsparse_index_base_SG_SG_SG_bbb
    .private_segment_fixed_size: 0
    .sgpr_count:     65
    .sgpr_spill_count: 0
    .symbol:         _ZN9rocsparseL26csrgemm_fill_block_per_rowILj128ELj16ELj256ELj137ELj32Ell21rocsparse_complex_numIfEEEvT5_PKS3_S5_NS_24const_host_device_scalarIT6_EEPKT4_S5_PKS7_SB_S5_SD_S8_SB_S5_SD_SB_PS3_PS7_21rocsparse_index_base_SG_SG_SG_bbb.kd
    .uniform_work_group_size: 1
    .uses_dynamic_stack: false
    .vgpr_count:     26
    .vgpr_spill_count: 0
    .wavefront_size: 64
  - .agpr_count:     0
    .args:
      - .offset:         0
        .size:           8
        .value_kind:     by_value
      - .actual_access:  read_only
        .address_space:  global
        .offset:         8
        .size:           8
        .value_kind:     global_buffer
      - .actual_access:  read_only
        .address_space:  global
        .offset:         16
        .size:           8
        .value_kind:     global_buffer
      - .offset:         24
        .size:           8
        .value_kind:     by_value
      - .actual_access:  read_only
        .address_space:  global
        .offset:         32
        .size:           8
        .value_kind:     global_buffer
      - .actual_access:  read_only
        .address_space:  global
        .offset:         40
        .size:           8
        .value_kind:     global_buffer
      - .actual_access:  read_only
        .address_space:  global
        .offset:         48
        .size:           8
        .value_kind:     global_buffer
      - .actual_access:  read_only
        .address_space:  global
        .offset:         56
        .size:           8
        .value_kind:     global_buffer
      - .actual_access:  read_only
        .address_space:  global
        .offset:         64
        .size:           8
        .value_kind:     global_buffer
      - .actual_access:  read_only
        .address_space:  global
        .offset:         72
        .size:           8
        .value_kind:     global_buffer
      - .offset:         80
        .size:           8
        .value_kind:     by_value
      - .actual_access:  read_only
        .address_space:  global
        .offset:         88
        .size:           8
        .value_kind:     global_buffer
      - .actual_access:  read_only
        .address_space:  global
        .offset:         96
        .size:           8
        .value_kind:     global_buffer
      - .actual_access:  read_only
        .address_space:  global
        .offset:         104
        .size:           8
        .value_kind:     global_buffer
      - .actual_access:  read_only
        .address_space:  global
        .offset:         112
        .size:           8
        .value_kind:     global_buffer
      - .actual_access:  write_only
        .address_space:  global
        .offset:         120
        .size:           8
        .value_kind:     global_buffer
      - .actual_access:  write_only
        .address_space:  global
        .offset:         128
        .size:           8
        .value_kind:     global_buffer
      - .offset:         136
        .size:           4
        .value_kind:     by_value
      - .offset:         140
        .size:           4
        .value_kind:     by_value
      - .offset:         144
        .size:           4
        .value_kind:     by_value
      - .offset:         148
        .size:           4
        .value_kind:     by_value
      - .offset:         152
        .size:           1
        .value_kind:     by_value
      - .offset:         153
        .size:           1
        .value_kind:     by_value
      - .offset:         154
        .size:           1
        .value_kind:     by_value
    .group_segment_fixed_size: 0
    .kernarg_segment_align: 8
    .kernarg_segment_size: 156
    .language:       OpenCL C
    .language_version:
      - 2
      - 0
    .max_flat_workgroup_size: 128
    .name:           _ZN9rocsparseL26csrgemm_fill_block_per_rowILj128ELj16ELj256ELj137ELj64Ell21rocsparse_complex_numIfEEEvT5_PKS3_S5_NS_24const_host_device_scalarIT6_EEPKT4_S5_PKS7_SB_S5_SD_S8_SB_S5_SD_SB_PS3_PS7_21rocsparse_index_base_SG_SG_SG_bbb
    .private_segment_fixed_size: 0
    .sgpr_count:     65
    .sgpr_spill_count: 0
    .symbol:         _ZN9rocsparseL26csrgemm_fill_block_per_rowILj128ELj16ELj256ELj137ELj64Ell21rocsparse_complex_numIfEEEvT5_PKS3_S5_NS_24const_host_device_scalarIT6_EEPKT4_S5_PKS7_SB_S5_SD_S8_SB_S5_SD_SB_PS3_PS7_21rocsparse_index_base_SG_SG_SG_bbb.kd
    .uniform_work_group_size: 1
    .uses_dynamic_stack: false
    .vgpr_count:     26
    .vgpr_spill_count: 0
    .wavefront_size: 64
  - .agpr_count:     0
    .args:
      - .offset:         0
        .size:           8
        .value_kind:     by_value
      - .actual_access:  read_only
        .address_space:  global
        .offset:         8
        .size:           8
        .value_kind:     global_buffer
      - .actual_access:  read_only
        .address_space:  global
        .offset:         16
        .size:           8
        .value_kind:     global_buffer
      - .offset:         24
        .size:           8
        .value_kind:     by_value
      - .actual_access:  read_only
        .address_space:  global
        .offset:         32
        .size:           8
        .value_kind:     global_buffer
      - .actual_access:  read_only
        .address_space:  global
        .offset:         40
        .size:           8
        .value_kind:     global_buffer
      - .actual_access:  read_only
        .address_space:  global
        .offset:         48
        .size:           8
        .value_kind:     global_buffer
      - .actual_access:  read_only
        .address_space:  global
        .offset:         56
        .size:           8
        .value_kind:     global_buffer
      - .actual_access:  read_only
        .address_space:  global
        .offset:         64
        .size:           8
        .value_kind:     global_buffer
      - .actual_access:  read_only
        .address_space:  global
        .offset:         72
        .size:           8
        .value_kind:     global_buffer
      - .offset:         80
        .size:           8
        .value_kind:     by_value
      - .actual_access:  read_only
        .address_space:  global
        .offset:         88
        .size:           8
        .value_kind:     global_buffer
      - .actual_access:  read_only
        .address_space:  global
        .offset:         96
        .size:           8
        .value_kind:     global_buffer
      - .actual_access:  read_only
        .address_space:  global
        .offset:         104
        .size:           8
        .value_kind:     global_buffer
      - .actual_access:  read_only
        .address_space:  global
        .offset:         112
        .size:           8
        .value_kind:     global_buffer
      - .actual_access:  write_only
        .address_space:  global
        .offset:         120
        .size:           8
        .value_kind:     global_buffer
      - .actual_access:  write_only
        .address_space:  global
        .offset:         128
        .size:           8
        .value_kind:     global_buffer
      - .offset:         136
        .size:           4
        .value_kind:     by_value
      - .offset:         140
        .size:           4
        .value_kind:     by_value
      - .offset:         144
        .size:           4
        .value_kind:     by_value
      - .offset:         148
        .size:           4
        .value_kind:     by_value
      - .offset:         152
        .size:           1
        .value_kind:     by_value
      - .offset:         153
        .size:           1
        .value_kind:     by_value
      - .offset:         154
        .size:           1
        .value_kind:     by_value
    .group_segment_fixed_size: 0
    .kernarg_segment_align: 8
    .kernarg_segment_size: 156
    .language:       OpenCL C
    .language_version:
      - 2
      - 0
    .max_flat_workgroup_size: 256
    .name:           _ZN9rocsparseL26csrgemm_fill_block_per_rowILj256ELj32ELj512ELj137ELj32Ell21rocsparse_complex_numIfEEEvT5_PKS3_S5_NS_24const_host_device_scalarIT6_EEPKT4_S5_PKS7_SB_S5_SD_S8_SB_S5_SD_SB_PS3_PS7_21rocsparse_index_base_SG_SG_SG_bbb
    .private_segment_fixed_size: 0
    .sgpr_count:     65
    .sgpr_spill_count: 0
    .symbol:         _ZN9rocsparseL26csrgemm_fill_block_per_rowILj256ELj32ELj512ELj137ELj32Ell21rocsparse_complex_numIfEEEvT5_PKS3_S5_NS_24const_host_device_scalarIT6_EEPKT4_S5_PKS7_SB_S5_SD_S8_SB_S5_SD_SB_PS3_PS7_21rocsparse_index_base_SG_SG_SG_bbb.kd
    .uniform_work_group_size: 1
    .uses_dynamic_stack: false
    .vgpr_count:     26
    .vgpr_spill_count: 0
    .wavefront_size: 64
  - .agpr_count:     0
    .args:
      - .offset:         0
        .size:           8
        .value_kind:     by_value
      - .actual_access:  read_only
        .address_space:  global
        .offset:         8
        .size:           8
        .value_kind:     global_buffer
      - .actual_access:  read_only
        .address_space:  global
        .offset:         16
        .size:           8
        .value_kind:     global_buffer
      - .offset:         24
        .size:           8
        .value_kind:     by_value
      - .actual_access:  read_only
        .address_space:  global
        .offset:         32
        .size:           8
        .value_kind:     global_buffer
      - .actual_access:  read_only
        .address_space:  global
        .offset:         40
        .size:           8
        .value_kind:     global_buffer
      - .actual_access:  read_only
        .address_space:  global
        .offset:         48
        .size:           8
        .value_kind:     global_buffer
      - .actual_access:  read_only
        .address_space:  global
        .offset:         56
        .size:           8
        .value_kind:     global_buffer
      - .actual_access:  read_only
        .address_space:  global
        .offset:         64
        .size:           8
        .value_kind:     global_buffer
      - .actual_access:  read_only
        .address_space:  global
        .offset:         72
        .size:           8
        .value_kind:     global_buffer
      - .offset:         80
        .size:           8
        .value_kind:     by_value
      - .actual_access:  read_only
        .address_space:  global
        .offset:         88
        .size:           8
        .value_kind:     global_buffer
      - .actual_access:  read_only
        .address_space:  global
        .offset:         96
        .size:           8
        .value_kind:     global_buffer
      - .actual_access:  read_only
        .address_space:  global
        .offset:         104
        .size:           8
        .value_kind:     global_buffer
      - .actual_access:  read_only
        .address_space:  global
        .offset:         112
        .size:           8
        .value_kind:     global_buffer
      - .actual_access:  write_only
        .address_space:  global
        .offset:         120
        .size:           8
        .value_kind:     global_buffer
      - .actual_access:  write_only
        .address_space:  global
        .offset:         128
        .size:           8
        .value_kind:     global_buffer
      - .offset:         136
        .size:           4
        .value_kind:     by_value
      - .offset:         140
        .size:           4
        .value_kind:     by_value
      - .offset:         144
        .size:           4
        .value_kind:     by_value
      - .offset:         148
        .size:           4
        .value_kind:     by_value
      - .offset:         152
        .size:           1
        .value_kind:     by_value
      - .offset:         153
        .size:           1
        .value_kind:     by_value
      - .offset:         154
        .size:           1
        .value_kind:     by_value
    .group_segment_fixed_size: 0
    .kernarg_segment_align: 8
    .kernarg_segment_size: 156
    .language:       OpenCL C
    .language_version:
      - 2
      - 0
    .max_flat_workgroup_size: 256
    .name:           _ZN9rocsparseL26csrgemm_fill_block_per_rowILj256ELj32ELj512ELj137ELj64Ell21rocsparse_complex_numIfEEEvT5_PKS3_S5_NS_24const_host_device_scalarIT6_EEPKT4_S5_PKS7_SB_S5_SD_S8_SB_S5_SD_SB_PS3_PS7_21rocsparse_index_base_SG_SG_SG_bbb
    .private_segment_fixed_size: 0
    .sgpr_count:     65
    .sgpr_spill_count: 0
    .symbol:         _ZN9rocsparseL26csrgemm_fill_block_per_rowILj256ELj32ELj512ELj137ELj64Ell21rocsparse_complex_numIfEEEvT5_PKS3_S5_NS_24const_host_device_scalarIT6_EEPKT4_S5_PKS7_SB_S5_SD_S8_SB_S5_SD_SB_PS3_PS7_21rocsparse_index_base_SG_SG_SG_bbb.kd
    .uniform_work_group_size: 1
    .uses_dynamic_stack: false
    .vgpr_count:     26
    .vgpr_spill_count: 0
    .wavefront_size: 64
  - .agpr_count:     0
    .args:
      - .offset:         0
        .size:           8
        .value_kind:     by_value
      - .actual_access:  read_only
        .address_space:  global
        .offset:         8
        .size:           8
        .value_kind:     global_buffer
      - .actual_access:  read_only
        .address_space:  global
        .offset:         16
        .size:           8
        .value_kind:     global_buffer
      - .offset:         24
        .size:           8
        .value_kind:     by_value
      - .actual_access:  read_only
        .address_space:  global
        .offset:         32
        .size:           8
        .value_kind:     global_buffer
      - .actual_access:  read_only
        .address_space:  global
        .offset:         40
        .size:           8
        .value_kind:     global_buffer
      - .actual_access:  read_only
        .address_space:  global
        .offset:         48
        .size:           8
        .value_kind:     global_buffer
      - .actual_access:  read_only
        .address_space:  global
        .offset:         56
        .size:           8
        .value_kind:     global_buffer
      - .actual_access:  read_only
        .address_space:  global
        .offset:         64
        .size:           8
        .value_kind:     global_buffer
      - .actual_access:  read_only
        .address_space:  global
        .offset:         72
        .size:           8
        .value_kind:     global_buffer
      - .offset:         80
        .size:           8
        .value_kind:     by_value
      - .actual_access:  read_only
        .address_space:  global
        .offset:         88
        .size:           8
        .value_kind:     global_buffer
      - .actual_access:  read_only
        .address_space:  global
        .offset:         96
        .size:           8
        .value_kind:     global_buffer
      - .actual_access:  read_only
        .address_space:  global
        .offset:         104
        .size:           8
        .value_kind:     global_buffer
      - .actual_access:  read_only
        .address_space:  global
        .offset:         112
        .size:           8
        .value_kind:     global_buffer
      - .actual_access:  write_only
        .address_space:  global
        .offset:         120
        .size:           8
        .value_kind:     global_buffer
      - .actual_access:  write_only
        .address_space:  global
        .offset:         128
        .size:           8
        .value_kind:     global_buffer
      - .offset:         136
        .size:           4
        .value_kind:     by_value
      - .offset:         140
        .size:           4
        .value_kind:     by_value
      - .offset:         144
        .size:           4
        .value_kind:     by_value
      - .offset:         148
        .size:           4
        .value_kind:     by_value
      - .offset:         152
        .size:           1
        .value_kind:     by_value
      - .offset:         153
        .size:           1
        .value_kind:     by_value
      - .offset:         154
        .size:           1
        .value_kind:     by_value
    .group_segment_fixed_size: 0
    .kernarg_segment_align: 8
    .kernarg_segment_size: 156
    .language:       OpenCL C
    .language_version:
      - 2
      - 0
    .max_flat_workgroup_size: 512
    .name:           _ZN9rocsparseL26csrgemm_fill_block_per_rowILj512ELj32ELj1024ELj137ELj32Ell21rocsparse_complex_numIfEEEvT5_PKS3_S5_NS_24const_host_device_scalarIT6_EEPKT4_S5_PKS7_SB_S5_SD_S8_SB_S5_SD_SB_PS3_PS7_21rocsparse_index_base_SG_SG_SG_bbb
    .private_segment_fixed_size: 0
    .sgpr_count:     63
    .sgpr_spill_count: 0
    .symbol:         _ZN9rocsparseL26csrgemm_fill_block_per_rowILj512ELj32ELj1024ELj137ELj32Ell21rocsparse_complex_numIfEEEvT5_PKS3_S5_NS_24const_host_device_scalarIT6_EEPKT4_S5_PKS7_SB_S5_SD_S8_SB_S5_SD_SB_PS3_PS7_21rocsparse_index_base_SG_SG_SG_bbb.kd
    .uniform_work_group_size: 1
    .uses_dynamic_stack: false
    .vgpr_count:     28
    .vgpr_spill_count: 0
    .wavefront_size: 64
  - .agpr_count:     0
    .args:
      - .offset:         0
        .size:           8
        .value_kind:     by_value
      - .actual_access:  read_only
        .address_space:  global
        .offset:         8
        .size:           8
        .value_kind:     global_buffer
      - .actual_access:  read_only
        .address_space:  global
        .offset:         16
        .size:           8
        .value_kind:     global_buffer
      - .offset:         24
        .size:           8
        .value_kind:     by_value
      - .actual_access:  read_only
        .address_space:  global
        .offset:         32
        .size:           8
        .value_kind:     global_buffer
      - .actual_access:  read_only
        .address_space:  global
        .offset:         40
        .size:           8
        .value_kind:     global_buffer
      - .actual_access:  read_only
        .address_space:  global
        .offset:         48
        .size:           8
        .value_kind:     global_buffer
      - .actual_access:  read_only
        .address_space:  global
        .offset:         56
        .size:           8
        .value_kind:     global_buffer
      - .actual_access:  read_only
        .address_space:  global
        .offset:         64
        .size:           8
        .value_kind:     global_buffer
      - .actual_access:  read_only
        .address_space:  global
        .offset:         72
        .size:           8
        .value_kind:     global_buffer
      - .offset:         80
        .size:           8
        .value_kind:     by_value
      - .actual_access:  read_only
        .address_space:  global
        .offset:         88
        .size:           8
        .value_kind:     global_buffer
      - .actual_access:  read_only
        .address_space:  global
        .offset:         96
        .size:           8
        .value_kind:     global_buffer
      - .actual_access:  read_only
        .address_space:  global
        .offset:         104
        .size:           8
        .value_kind:     global_buffer
      - .actual_access:  read_only
        .address_space:  global
        .offset:         112
        .size:           8
        .value_kind:     global_buffer
      - .actual_access:  write_only
        .address_space:  global
        .offset:         120
        .size:           8
        .value_kind:     global_buffer
      - .actual_access:  write_only
        .address_space:  global
        .offset:         128
        .size:           8
        .value_kind:     global_buffer
      - .offset:         136
        .size:           4
        .value_kind:     by_value
      - .offset:         140
        .size:           4
        .value_kind:     by_value
      - .offset:         144
        .size:           4
        .value_kind:     by_value
      - .offset:         148
        .size:           4
        .value_kind:     by_value
      - .offset:         152
        .size:           1
        .value_kind:     by_value
      - .offset:         153
        .size:           1
        .value_kind:     by_value
      - .offset:         154
        .size:           1
        .value_kind:     by_value
    .group_segment_fixed_size: 0
    .kernarg_segment_align: 8
    .kernarg_segment_size: 156
    .language:       OpenCL C
    .language_version:
      - 2
      - 0
    .max_flat_workgroup_size: 512
    .name:           _ZN9rocsparseL26csrgemm_fill_block_per_rowILj512ELj32ELj1024ELj137ELj64Ell21rocsparse_complex_numIfEEEvT5_PKS3_S5_NS_24const_host_device_scalarIT6_EEPKT4_S5_PKS7_SB_S5_SD_S8_SB_S5_SD_SB_PS3_PS7_21rocsparse_index_base_SG_SG_SG_bbb
    .private_segment_fixed_size: 0
    .sgpr_count:     63
    .sgpr_spill_count: 0
    .symbol:         _ZN9rocsparseL26csrgemm_fill_block_per_rowILj512ELj32ELj1024ELj137ELj64Ell21rocsparse_complex_numIfEEEvT5_PKS3_S5_NS_24const_host_device_scalarIT6_EEPKT4_S5_PKS7_SB_S5_SD_S8_SB_S5_SD_SB_PS3_PS7_21rocsparse_index_base_SG_SG_SG_bbb.kd
    .uniform_work_group_size: 1
    .uses_dynamic_stack: false
    .vgpr_count:     26
    .vgpr_spill_count: 0
    .wavefront_size: 64
  - .agpr_count:     0
    .args:
      - .offset:         0
        .size:           8
        .value_kind:     by_value
      - .actual_access:  read_only
        .address_space:  global
        .offset:         8
        .size:           8
        .value_kind:     global_buffer
      - .actual_access:  read_only
        .address_space:  global
        .offset:         16
        .size:           8
        .value_kind:     global_buffer
      - .offset:         24
        .size:           8
        .value_kind:     by_value
      - .actual_access:  read_only
        .address_space:  global
        .offset:         32
        .size:           8
        .value_kind:     global_buffer
      - .actual_access:  read_only
        .address_space:  global
        .offset:         40
        .size:           8
        .value_kind:     global_buffer
      - .actual_access:  read_only
        .address_space:  global
        .offset:         48
        .size:           8
        .value_kind:     global_buffer
      - .actual_access:  read_only
        .address_space:  global
        .offset:         56
        .size:           8
        .value_kind:     global_buffer
      - .actual_access:  read_only
        .address_space:  global
        .offset:         64
        .size:           8
        .value_kind:     global_buffer
      - .actual_access:  read_only
        .address_space:  global
        .offset:         72
        .size:           8
        .value_kind:     global_buffer
      - .offset:         80
        .size:           8
        .value_kind:     by_value
      - .actual_access:  read_only
        .address_space:  global
        .offset:         88
        .size:           8
        .value_kind:     global_buffer
      - .actual_access:  read_only
        .address_space:  global
        .offset:         96
        .size:           8
        .value_kind:     global_buffer
      - .actual_access:  read_only
        .address_space:  global
        .offset:         104
        .size:           8
        .value_kind:     global_buffer
      - .actual_access:  read_only
        .address_space:  global
        .offset:         112
        .size:           8
        .value_kind:     global_buffer
      - .actual_access:  write_only
        .address_space:  global
        .offset:         120
        .size:           8
        .value_kind:     global_buffer
      - .actual_access:  write_only
        .address_space:  global
        .offset:         128
        .size:           8
        .value_kind:     global_buffer
      - .offset:         136
        .size:           4
        .value_kind:     by_value
      - .offset:         140
        .size:           4
        .value_kind:     by_value
      - .offset:         144
        .size:           4
        .value_kind:     by_value
      - .offset:         148
        .size:           4
        .value_kind:     by_value
      - .offset:         152
        .size:           1
        .value_kind:     by_value
      - .offset:         153
        .size:           1
        .value_kind:     by_value
      - .offset:         154
        .size:           1
        .value_kind:     by_value
    .group_segment_fixed_size: 0
    .kernarg_segment_align: 8
    .kernarg_segment_size: 156
    .language:       OpenCL C
    .language_version:
      - 2
      - 0
    .max_flat_workgroup_size: 1024
    .name:           _ZN9rocsparseL26csrgemm_fill_block_per_rowILj1024ELj32ELj2048ELj137ELj32Ell21rocsparse_complex_numIfEEEvT5_PKS3_S5_NS_24const_host_device_scalarIT6_EEPKT4_S5_PKS7_SB_S5_SD_S8_SB_S5_SD_SB_PS3_PS7_21rocsparse_index_base_SG_SG_SG_bbb
    .private_segment_fixed_size: 0
    .sgpr_count:     86
    .sgpr_spill_count: 0
    .symbol:         _ZN9rocsparseL26csrgemm_fill_block_per_rowILj1024ELj32ELj2048ELj137ELj32Ell21rocsparse_complex_numIfEEEvT5_PKS3_S5_NS_24const_host_device_scalarIT6_EEPKT4_S5_PKS7_SB_S5_SD_S8_SB_S5_SD_SB_PS3_PS7_21rocsparse_index_base_SG_SG_SG_bbb.kd
    .uniform_work_group_size: 1
    .uses_dynamic_stack: false
    .vgpr_count:     28
    .vgpr_spill_count: 0
    .wavefront_size: 64
  - .agpr_count:     0
    .args:
      - .offset:         0
        .size:           8
        .value_kind:     by_value
      - .actual_access:  read_only
        .address_space:  global
        .offset:         8
        .size:           8
        .value_kind:     global_buffer
      - .actual_access:  read_only
        .address_space:  global
        .offset:         16
        .size:           8
        .value_kind:     global_buffer
      - .offset:         24
        .size:           8
        .value_kind:     by_value
      - .actual_access:  read_only
        .address_space:  global
        .offset:         32
        .size:           8
        .value_kind:     global_buffer
      - .actual_access:  read_only
        .address_space:  global
        .offset:         40
        .size:           8
        .value_kind:     global_buffer
      - .actual_access:  read_only
        .address_space:  global
        .offset:         48
        .size:           8
        .value_kind:     global_buffer
      - .actual_access:  read_only
        .address_space:  global
        .offset:         56
        .size:           8
        .value_kind:     global_buffer
      - .actual_access:  read_only
        .address_space:  global
        .offset:         64
        .size:           8
        .value_kind:     global_buffer
      - .actual_access:  read_only
        .address_space:  global
        .offset:         72
        .size:           8
        .value_kind:     global_buffer
      - .offset:         80
        .size:           8
        .value_kind:     by_value
      - .actual_access:  read_only
        .address_space:  global
        .offset:         88
        .size:           8
        .value_kind:     global_buffer
      - .actual_access:  read_only
        .address_space:  global
        .offset:         96
        .size:           8
        .value_kind:     global_buffer
      - .actual_access:  read_only
        .address_space:  global
        .offset:         104
        .size:           8
        .value_kind:     global_buffer
      - .actual_access:  read_only
        .address_space:  global
        .offset:         112
        .size:           8
        .value_kind:     global_buffer
      - .actual_access:  write_only
        .address_space:  global
        .offset:         120
        .size:           8
        .value_kind:     global_buffer
      - .actual_access:  write_only
        .address_space:  global
        .offset:         128
        .size:           8
        .value_kind:     global_buffer
      - .offset:         136
        .size:           4
        .value_kind:     by_value
      - .offset:         140
        .size:           4
        .value_kind:     by_value
      - .offset:         144
        .size:           4
        .value_kind:     by_value
      - .offset:         148
        .size:           4
        .value_kind:     by_value
      - .offset:         152
        .size:           1
        .value_kind:     by_value
      - .offset:         153
        .size:           1
        .value_kind:     by_value
      - .offset:         154
        .size:           1
        .value_kind:     by_value
    .group_segment_fixed_size: 0
    .kernarg_segment_align: 8
    .kernarg_segment_size: 156
    .language:       OpenCL C
    .language_version:
      - 2
      - 0
    .max_flat_workgroup_size: 1024
    .name:           _ZN9rocsparseL26csrgemm_fill_block_per_rowILj1024ELj32ELj2048ELj137ELj64Ell21rocsparse_complex_numIfEEEvT5_PKS3_S5_NS_24const_host_device_scalarIT6_EEPKT4_S5_PKS7_SB_S5_SD_S8_SB_S5_SD_SB_PS3_PS7_21rocsparse_index_base_SG_SG_SG_bbb
    .private_segment_fixed_size: 0
    .sgpr_count:     63
    .sgpr_spill_count: 0
    .symbol:         _ZN9rocsparseL26csrgemm_fill_block_per_rowILj1024ELj32ELj2048ELj137ELj64Ell21rocsparse_complex_numIfEEEvT5_PKS3_S5_NS_24const_host_device_scalarIT6_EEPKT4_S5_PKS7_SB_S5_SD_S8_SB_S5_SD_SB_PS3_PS7_21rocsparse_index_base_SG_SG_SG_bbb.kd
    .uniform_work_group_size: 1
    .uses_dynamic_stack: false
    .vgpr_count:     26
    .vgpr_spill_count: 0
    .wavefront_size: 64
  - .agpr_count:     0
    .args:
      - .offset:         0
        .size:           8
        .value_kind:     by_value
      - .actual_access:  read_only
        .address_space:  global
        .offset:         8
        .size:           8
        .value_kind:     global_buffer
      - .actual_access:  read_only
        .address_space:  global
        .offset:         16
        .size:           8
        .value_kind:     global_buffer
      - .offset:         24
        .size:           8
        .value_kind:     by_value
      - .actual_access:  read_only
        .address_space:  global
        .offset:         32
        .size:           8
        .value_kind:     global_buffer
      - .actual_access:  read_only
        .address_space:  global
        .offset:         40
        .size:           8
        .value_kind:     global_buffer
      - .actual_access:  read_only
        .address_space:  global
        .offset:         48
        .size:           8
        .value_kind:     global_buffer
      - .actual_access:  read_only
        .address_space:  global
        .offset:         56
        .size:           8
        .value_kind:     global_buffer
      - .actual_access:  read_only
        .address_space:  global
        .offset:         64
        .size:           8
        .value_kind:     global_buffer
      - .actual_access:  read_only
        .address_space:  global
        .offset:         72
        .size:           8
        .value_kind:     global_buffer
      - .offset:         80
        .size:           8
        .value_kind:     by_value
      - .actual_access:  read_only
        .address_space:  global
        .offset:         88
        .size:           8
        .value_kind:     global_buffer
      - .actual_access:  read_only
        .address_space:  global
        .offset:         96
        .size:           8
        .value_kind:     global_buffer
      - .actual_access:  read_only
        .address_space:  global
        .offset:         104
        .size:           8
        .value_kind:     global_buffer
      - .actual_access:  read_only
        .address_space:  global
        .offset:         112
        .size:           8
        .value_kind:     global_buffer
      - .actual_access:  write_only
        .address_space:  global
        .offset:         120
        .size:           8
        .value_kind:     global_buffer
      - .actual_access:  write_only
        .address_space:  global
        .offset:         128
        .size:           8
        .value_kind:     global_buffer
      - .offset:         136
        .size:           4
        .value_kind:     by_value
      - .offset:         140
        .size:           4
        .value_kind:     by_value
      - .offset:         144
        .size:           4
        .value_kind:     by_value
      - .offset:         148
        .size:           4
        .value_kind:     by_value
      - .offset:         152
        .size:           1
        .value_kind:     by_value
      - .offset:         153
        .size:           1
        .value_kind:     by_value
      - .offset:         154
        .size:           1
        .value_kind:     by_value
    .group_segment_fixed_size: 0
    .kernarg_segment_align: 8
    .kernarg_segment_size: 156
    .language:       OpenCL C
    .language_version:
      - 2
      - 0
    .max_flat_workgroup_size: 1024
    .name:           _ZN9rocsparseL26csrgemm_fill_block_per_rowILj1024ELj64ELj4096ELj137ELj32Ell21rocsparse_complex_numIfEEEvT5_PKS3_S5_NS_24const_host_device_scalarIT6_EEPKT4_S5_PKS7_SB_S5_SD_S8_SB_S5_SD_SB_PS3_PS7_21rocsparse_index_base_SG_SG_SG_bbb
    .private_segment_fixed_size: 0
    .sgpr_count:     100
    .sgpr_spill_count: 26
    .symbol:         _ZN9rocsparseL26csrgemm_fill_block_per_rowILj1024ELj64ELj4096ELj137ELj32Ell21rocsparse_complex_numIfEEEvT5_PKS3_S5_NS_24const_host_device_scalarIT6_EEPKT4_S5_PKS7_SB_S5_SD_S8_SB_S5_SD_SB_PS3_PS7_21rocsparse_index_base_SG_SG_SG_bbb.kd
    .uniform_work_group_size: 1
    .uses_dynamic_stack: false
    .vgpr_count:     27
    .vgpr_spill_count: 0
    .wavefront_size: 64
  - .agpr_count:     0
    .args:
      - .offset:         0
        .size:           8
        .value_kind:     by_value
      - .actual_access:  read_only
        .address_space:  global
        .offset:         8
        .size:           8
        .value_kind:     global_buffer
      - .actual_access:  read_only
        .address_space:  global
        .offset:         16
        .size:           8
        .value_kind:     global_buffer
      - .offset:         24
        .size:           8
        .value_kind:     by_value
      - .actual_access:  read_only
        .address_space:  global
        .offset:         32
        .size:           8
        .value_kind:     global_buffer
      - .actual_access:  read_only
        .address_space:  global
        .offset:         40
        .size:           8
        .value_kind:     global_buffer
      - .actual_access:  read_only
        .address_space:  global
        .offset:         48
        .size:           8
        .value_kind:     global_buffer
      - .actual_access:  read_only
        .address_space:  global
        .offset:         56
        .size:           8
        .value_kind:     global_buffer
      - .actual_access:  read_only
        .address_space:  global
        .offset:         64
        .size:           8
        .value_kind:     global_buffer
      - .actual_access:  read_only
        .address_space:  global
        .offset:         72
        .size:           8
        .value_kind:     global_buffer
      - .offset:         80
        .size:           8
        .value_kind:     by_value
      - .actual_access:  read_only
        .address_space:  global
        .offset:         88
        .size:           8
        .value_kind:     global_buffer
      - .actual_access:  read_only
        .address_space:  global
        .offset:         96
        .size:           8
        .value_kind:     global_buffer
      - .actual_access:  read_only
        .address_space:  global
        .offset:         104
        .size:           8
        .value_kind:     global_buffer
      - .actual_access:  read_only
        .address_space:  global
        .offset:         112
        .size:           8
        .value_kind:     global_buffer
      - .actual_access:  write_only
        .address_space:  global
        .offset:         120
        .size:           8
        .value_kind:     global_buffer
      - .actual_access:  write_only
        .address_space:  global
        .offset:         128
        .size:           8
        .value_kind:     global_buffer
      - .offset:         136
        .size:           4
        .value_kind:     by_value
      - .offset:         140
        .size:           4
        .value_kind:     by_value
      - .offset:         144
        .size:           4
        .value_kind:     by_value
      - .offset:         148
        .size:           4
        .value_kind:     by_value
      - .offset:         152
        .size:           1
        .value_kind:     by_value
      - .offset:         153
        .size:           1
        .value_kind:     by_value
      - .offset:         154
        .size:           1
        .value_kind:     by_value
    .group_segment_fixed_size: 0
    .kernarg_segment_align: 8
    .kernarg_segment_size: 156
    .language:       OpenCL C
    .language_version:
      - 2
      - 0
    .max_flat_workgroup_size: 1024
    .name:           _ZN9rocsparseL26csrgemm_fill_block_per_rowILj1024ELj64ELj4096ELj137ELj64Ell21rocsparse_complex_numIfEEEvT5_PKS3_S5_NS_24const_host_device_scalarIT6_EEPKT4_S5_PKS7_SB_S5_SD_S8_SB_S5_SD_SB_PS3_PS7_21rocsparse_index_base_SG_SG_SG_bbb
    .private_segment_fixed_size: 0
    .sgpr_count:     69
    .sgpr_spill_count: 0
    .symbol:         _ZN9rocsparseL26csrgemm_fill_block_per_rowILj1024ELj64ELj4096ELj137ELj64Ell21rocsparse_complex_numIfEEEvT5_PKS3_S5_NS_24const_host_device_scalarIT6_EEPKT4_S5_PKS7_SB_S5_SD_S8_SB_S5_SD_SB_PS3_PS7_21rocsparse_index_base_SG_SG_SG_bbb.kd
    .uniform_work_group_size: 1
    .uses_dynamic_stack: false
    .vgpr_count:     28
    .vgpr_spill_count: 0
    .wavefront_size: 64
  - .agpr_count:     0
    .args:
      - .offset:         0
        .size:           8
        .value_kind:     by_value
      - .actual_access:  read_only
        .address_space:  global
        .offset:         8
        .size:           8
        .value_kind:     global_buffer
      - .actual_access:  read_only
        .address_space:  global
        .offset:         16
        .size:           8
        .value_kind:     global_buffer
      - .offset:         24
        .size:           8
        .value_kind:     by_value
      - .actual_access:  read_only
        .address_space:  global
        .offset:         32
        .size:           8
        .value_kind:     global_buffer
      - .actual_access:  read_only
        .address_space:  global
        .offset:         40
        .size:           8
        .value_kind:     global_buffer
      - .actual_access:  read_only
        .address_space:  global
        .offset:         48
        .size:           8
        .value_kind:     global_buffer
      - .actual_access:  read_only
        .address_space:  global
        .offset:         56
        .size:           8
        .value_kind:     global_buffer
      - .actual_access:  read_only
        .address_space:  global
        .offset:         64
        .size:           8
        .value_kind:     global_buffer
      - .actual_access:  read_only
        .address_space:  global
        .offset:         72
        .size:           8
        .value_kind:     global_buffer
      - .offset:         80
        .size:           8
        .value_kind:     by_value
      - .actual_access:  read_only
        .address_space:  global
        .offset:         88
        .size:           8
        .value_kind:     global_buffer
      - .actual_access:  read_only
        .address_space:  global
        .offset:         96
        .size:           8
        .value_kind:     global_buffer
      - .actual_access:  read_only
        .address_space:  global
        .offset:         104
        .size:           8
        .value_kind:     global_buffer
      - .actual_access:  read_only
        .address_space:  global
        .offset:         112
        .size:           8
        .value_kind:     global_buffer
      - .actual_access:  write_only
        .address_space:  global
        .offset:         120
        .size:           8
        .value_kind:     global_buffer
      - .actual_access:  write_only
        .address_space:  global
        .offset:         128
        .size:           8
        .value_kind:     global_buffer
      - .offset:         136
        .size:           4
        .value_kind:     by_value
      - .offset:         140
        .size:           4
        .value_kind:     by_value
      - .offset:         144
        .size:           4
        .value_kind:     by_value
      - .offset:         148
        .size:           4
        .value_kind:     by_value
      - .offset:         152
        .size:           1
        .value_kind:     by_value
      - .offset:         153
        .size:           1
        .value_kind:     by_value
      - .offset:         154
        .size:           1
        .value_kind:     by_value
    .group_segment_fixed_size: 0
    .kernarg_segment_align: 8
    .kernarg_segment_size: 156
    .language:       OpenCL C
    .language_version:
      - 2
      - 0
    .max_flat_workgroup_size: 1024
    .name:           _ZN9rocsparseL26csrgemm_fill_block_per_rowILj1024ELj64ELj8192ELj137ELj32Ell21rocsparse_complex_numIfEEEvT5_PKS3_S5_NS_24const_host_device_scalarIT6_EEPKT4_S5_PKS7_SB_S5_SD_S8_SB_S5_SD_SB_PS3_PS7_21rocsparse_index_base_SG_SG_SG_bbb
    .private_segment_fixed_size: 0
    .sgpr_count:     100
    .sgpr_spill_count: 26
    .symbol:         _ZN9rocsparseL26csrgemm_fill_block_per_rowILj1024ELj64ELj8192ELj137ELj32Ell21rocsparse_complex_numIfEEEvT5_PKS3_S5_NS_24const_host_device_scalarIT6_EEPKT4_S5_PKS7_SB_S5_SD_S8_SB_S5_SD_SB_PS3_PS7_21rocsparse_index_base_SG_SG_SG_bbb.kd
    .uniform_work_group_size: 1
    .uses_dynamic_stack: false
    .vgpr_count:     27
    .vgpr_spill_count: 0
    .wavefront_size: 64
  - .agpr_count:     0
    .args:
      - .offset:         0
        .size:           8
        .value_kind:     by_value
      - .actual_access:  read_only
        .address_space:  global
        .offset:         8
        .size:           8
        .value_kind:     global_buffer
      - .actual_access:  read_only
        .address_space:  global
        .offset:         16
        .size:           8
        .value_kind:     global_buffer
      - .offset:         24
        .size:           8
        .value_kind:     by_value
      - .actual_access:  read_only
        .address_space:  global
        .offset:         32
        .size:           8
        .value_kind:     global_buffer
      - .actual_access:  read_only
        .address_space:  global
        .offset:         40
        .size:           8
        .value_kind:     global_buffer
      - .actual_access:  read_only
        .address_space:  global
        .offset:         48
        .size:           8
        .value_kind:     global_buffer
      - .actual_access:  read_only
        .address_space:  global
        .offset:         56
        .size:           8
        .value_kind:     global_buffer
      - .actual_access:  read_only
        .address_space:  global
        .offset:         64
        .size:           8
        .value_kind:     global_buffer
      - .actual_access:  read_only
        .address_space:  global
        .offset:         72
        .size:           8
        .value_kind:     global_buffer
      - .offset:         80
        .size:           8
        .value_kind:     by_value
      - .actual_access:  read_only
        .address_space:  global
        .offset:         88
        .size:           8
        .value_kind:     global_buffer
      - .actual_access:  read_only
        .address_space:  global
        .offset:         96
        .size:           8
        .value_kind:     global_buffer
      - .actual_access:  read_only
        .address_space:  global
        .offset:         104
        .size:           8
        .value_kind:     global_buffer
      - .actual_access:  read_only
        .address_space:  global
        .offset:         112
        .size:           8
        .value_kind:     global_buffer
      - .actual_access:  write_only
        .address_space:  global
        .offset:         120
        .size:           8
        .value_kind:     global_buffer
      - .actual_access:  write_only
        .address_space:  global
        .offset:         128
        .size:           8
        .value_kind:     global_buffer
      - .offset:         136
        .size:           4
        .value_kind:     by_value
      - .offset:         140
        .size:           4
        .value_kind:     by_value
      - .offset:         144
        .size:           4
        .value_kind:     by_value
      - .offset:         148
        .size:           4
        .value_kind:     by_value
      - .offset:         152
        .size:           1
        .value_kind:     by_value
      - .offset:         153
        .size:           1
        .value_kind:     by_value
      - .offset:         154
        .size:           1
        .value_kind:     by_value
    .group_segment_fixed_size: 0
    .kernarg_segment_align: 8
    .kernarg_segment_size: 156
    .language:       OpenCL C
    .language_version:
      - 2
      - 0
    .max_flat_workgroup_size: 1024
    .name:           _ZN9rocsparseL26csrgemm_fill_block_per_rowILj1024ELj64ELj8192ELj137ELj64Ell21rocsparse_complex_numIfEEEvT5_PKS3_S5_NS_24const_host_device_scalarIT6_EEPKT4_S5_PKS7_SB_S5_SD_S8_SB_S5_SD_SB_PS3_PS7_21rocsparse_index_base_SG_SG_SG_bbb
    .private_segment_fixed_size: 0
    .sgpr_count:     69
    .sgpr_spill_count: 0
    .symbol:         _ZN9rocsparseL26csrgemm_fill_block_per_rowILj1024ELj64ELj8192ELj137ELj64Ell21rocsparse_complex_numIfEEEvT5_PKS3_S5_NS_24const_host_device_scalarIT6_EEPKT4_S5_PKS7_SB_S5_SD_S8_SB_S5_SD_SB_PS3_PS7_21rocsparse_index_base_SG_SG_SG_bbb.kd
    .uniform_work_group_size: 1
    .uses_dynamic_stack: false
    .vgpr_count:     26
    .vgpr_spill_count: 0
    .wavefront_size: 64
  - .agpr_count:     0
    .args:
      - .offset:         0
        .size:           8
        .value_kind:     by_value
      - .actual_access:  read_only
        .address_space:  global
        .offset:         8
        .size:           8
        .value_kind:     global_buffer
      - .actual_access:  read_only
        .address_space:  global
        .offset:         16
        .size:           8
        .value_kind:     global_buffer
      - .offset:         24
        .size:           8
        .value_kind:     by_value
      - .actual_access:  read_only
        .address_space:  global
        .offset:         32
        .size:           8
        .value_kind:     global_buffer
      - .actual_access:  read_only
        .address_space:  global
        .offset:         40
        .size:           8
        .value_kind:     global_buffer
      - .actual_access:  read_only
        .address_space:  global
        .offset:         48
        .size:           8
        .value_kind:     global_buffer
      - .actual_access:  read_only
        .address_space:  global
        .offset:         56
        .size:           8
        .value_kind:     global_buffer
      - .actual_access:  read_only
        .address_space:  global
        .offset:         64
        .size:           8
        .value_kind:     global_buffer
      - .actual_access:  read_only
        .address_space:  global
        .offset:         72
        .size:           8
        .value_kind:     global_buffer
      - .offset:         80
        .size:           8
        .value_kind:     by_value
      - .actual_access:  read_only
        .address_space:  global
        .offset:         88
        .size:           8
        .value_kind:     global_buffer
      - .actual_access:  read_only
        .address_space:  global
        .offset:         96
        .size:           8
        .value_kind:     global_buffer
      - .actual_access:  read_only
        .address_space:  global
        .offset:         104
        .size:           8
        .value_kind:     global_buffer
      - .actual_access:  read_only
        .address_space:  global
        .offset:         112
        .size:           8
        .value_kind:     global_buffer
      - .actual_access:  write_only
        .address_space:  global
        .offset:         120
        .size:           8
        .value_kind:     global_buffer
      - .actual_access:  write_only
        .address_space:  global
        .offset:         128
        .size:           8
        .value_kind:     global_buffer
      - .offset:         136
        .size:           4
        .value_kind:     by_value
      - .offset:         140
        .size:           4
        .value_kind:     by_value
      - .offset:         144
        .size:           4
        .value_kind:     by_value
      - .offset:         148
        .size:           4
        .value_kind:     by_value
      - .offset:         152
        .size:           1
        .value_kind:     by_value
      - .offset:         153
        .size:           1
        .value_kind:     by_value
      - .offset:         154
        .size:           1
        .value_kind:     by_value
    .group_segment_fixed_size: 0
    .kernarg_segment_align: 8
    .kernarg_segment_size: 156
    .language:       OpenCL C
    .language_version:
      - 2
      - 0
    .max_flat_workgroup_size: 1024
    .name:           _ZN9rocsparseL26csrgemm_fill_block_per_rowILj1024ELj64ELj16384ELj137ELj32Ell21rocsparse_complex_numIfEEEvT5_PKS3_S5_NS_24const_host_device_scalarIT6_EEPKT4_S5_PKS7_SB_S5_SD_S8_SB_S5_SD_SB_PS3_PS7_21rocsparse_index_base_SG_SG_SG_bbb
    .private_segment_fixed_size: 0
    .sgpr_count:     100
    .sgpr_spill_count: 26
    .symbol:         _ZN9rocsparseL26csrgemm_fill_block_per_rowILj1024ELj64ELj16384ELj137ELj32Ell21rocsparse_complex_numIfEEEvT5_PKS3_S5_NS_24const_host_device_scalarIT6_EEPKT4_S5_PKS7_SB_S5_SD_S8_SB_S5_SD_SB_PS3_PS7_21rocsparse_index_base_SG_SG_SG_bbb.kd
    .uniform_work_group_size: 1
    .uses_dynamic_stack: false
    .vgpr_count:     27
    .vgpr_spill_count: 0
    .wavefront_size: 64
  - .agpr_count:     0
    .args:
      - .offset:         0
        .size:           8
        .value_kind:     by_value
      - .actual_access:  read_only
        .address_space:  global
        .offset:         8
        .size:           8
        .value_kind:     global_buffer
      - .actual_access:  read_only
        .address_space:  global
        .offset:         16
        .size:           8
        .value_kind:     global_buffer
      - .offset:         24
        .size:           8
        .value_kind:     by_value
      - .actual_access:  read_only
        .address_space:  global
        .offset:         32
        .size:           8
        .value_kind:     global_buffer
      - .actual_access:  read_only
        .address_space:  global
        .offset:         40
        .size:           8
        .value_kind:     global_buffer
      - .actual_access:  read_only
        .address_space:  global
        .offset:         48
        .size:           8
        .value_kind:     global_buffer
      - .actual_access:  read_only
        .address_space:  global
        .offset:         56
        .size:           8
        .value_kind:     global_buffer
      - .actual_access:  read_only
        .address_space:  global
        .offset:         64
        .size:           8
        .value_kind:     global_buffer
      - .actual_access:  read_only
        .address_space:  global
        .offset:         72
        .size:           8
        .value_kind:     global_buffer
      - .offset:         80
        .size:           8
        .value_kind:     by_value
      - .actual_access:  read_only
        .address_space:  global
        .offset:         88
        .size:           8
        .value_kind:     global_buffer
      - .actual_access:  read_only
        .address_space:  global
        .offset:         96
        .size:           8
        .value_kind:     global_buffer
      - .actual_access:  read_only
        .address_space:  global
        .offset:         104
        .size:           8
        .value_kind:     global_buffer
      - .actual_access:  read_only
        .address_space:  global
        .offset:         112
        .size:           8
        .value_kind:     global_buffer
      - .actual_access:  write_only
        .address_space:  global
        .offset:         120
        .size:           8
        .value_kind:     global_buffer
      - .actual_access:  write_only
        .address_space:  global
        .offset:         128
        .size:           8
        .value_kind:     global_buffer
      - .offset:         136
        .size:           4
        .value_kind:     by_value
      - .offset:         140
        .size:           4
        .value_kind:     by_value
      - .offset:         144
        .size:           4
        .value_kind:     by_value
      - .offset:         148
        .size:           4
        .value_kind:     by_value
      - .offset:         152
        .size:           1
        .value_kind:     by_value
      - .offset:         153
        .size:           1
        .value_kind:     by_value
      - .offset:         154
        .size:           1
        .value_kind:     by_value
    .group_segment_fixed_size: 0
    .kernarg_segment_align: 8
    .kernarg_segment_size: 156
    .language:       OpenCL C
    .language_version:
      - 2
      - 0
    .max_flat_workgroup_size: 1024
    .name:           _ZN9rocsparseL26csrgemm_fill_block_per_rowILj1024ELj64ELj16384ELj137ELj64Ell21rocsparse_complex_numIfEEEvT5_PKS3_S5_NS_24const_host_device_scalarIT6_EEPKT4_S5_PKS7_SB_S5_SD_S8_SB_S5_SD_SB_PS3_PS7_21rocsparse_index_base_SG_SG_SG_bbb
    .private_segment_fixed_size: 0
    .sgpr_count:     69
    .sgpr_spill_count: 0
    .symbol:         _ZN9rocsparseL26csrgemm_fill_block_per_rowILj1024ELj64ELj16384ELj137ELj64Ell21rocsparse_complex_numIfEEEvT5_PKS3_S5_NS_24const_host_device_scalarIT6_EEPKT4_S5_PKS7_SB_S5_SD_S8_SB_S5_SD_SB_PS3_PS7_21rocsparse_index_base_SG_SG_SG_bbb.kd
    .uniform_work_group_size: 1
    .uses_dynamic_stack: false
    .vgpr_count:     28
    .vgpr_spill_count: 0
    .wavefront_size: 64
  - .agpr_count:     0
    .args:
      - .offset:         0
        .size:           8
        .value_kind:     by_value
      - .actual_access:  read_only
        .address_space:  global
        .offset:         8
        .size:           8
        .value_kind:     global_buffer
      - .actual_access:  read_only
        .address_space:  global
        .offset:         16
        .size:           8
        .value_kind:     global_buffer
      - .offset:         24
        .size:           8
        .value_kind:     by_value
      - .actual_access:  read_only
        .address_space:  global
        .offset:         32
        .size:           8
        .value_kind:     global_buffer
      - .actual_access:  read_only
        .address_space:  global
        .offset:         40
        .size:           8
        .value_kind:     global_buffer
      - .actual_access:  read_only
        .address_space:  global
        .offset:         48
        .size:           8
        .value_kind:     global_buffer
      - .actual_access:  read_only
        .address_space:  global
        .offset:         56
        .size:           8
        .value_kind:     global_buffer
      - .actual_access:  read_only
        .address_space:  global
        .offset:         64
        .size:           8
        .value_kind:     global_buffer
      - .actual_access:  read_only
        .address_space:  global
        .offset:         72
        .size:           8
        .value_kind:     global_buffer
      - .offset:         80
        .size:           8
        .value_kind:     by_value
      - .actual_access:  read_only
        .address_space:  global
        .offset:         88
        .size:           8
        .value_kind:     global_buffer
      - .actual_access:  read_only
        .address_space:  global
        .offset:         96
        .size:           8
        .value_kind:     global_buffer
      - .actual_access:  read_only
        .address_space:  global
        .offset:         104
        .size:           8
        .value_kind:     global_buffer
      - .actual_access:  read_only
        .address_space:  global
        .offset:         112
        .size:           8
        .value_kind:     global_buffer
      - .actual_access:  write_only
        .address_space:  global
        .offset:         120
        .size:           8
        .value_kind:     global_buffer
      - .actual_access:  write_only
        .address_space:  global
        .offset:         128
        .size:           8
        .value_kind:     global_buffer
      - .offset:         136
        .size:           4
        .value_kind:     by_value
      - .offset:         140
        .size:           4
        .value_kind:     by_value
      - .offset:         144
        .size:           4
        .value_kind:     by_value
      - .offset:         148
        .size:           4
        .value_kind:     by_value
      - .offset:         152
        .size:           1
        .value_kind:     by_value
      - .offset:         153
        .size:           1
        .value_kind:     by_value
      - .offset:         154
        .size:           1
        .value_kind:     by_value
    .group_segment_fixed_size: 0
    .kernarg_segment_align: 8
    .kernarg_segment_size: 156
    .language:       OpenCL C
    .language_version:
      - 2
      - 0
    .max_flat_workgroup_size: 1024
    .name:           _ZN9rocsparseL26csrgemm_fill_block_per_rowILj1024ELj64ELj32768ELj137ELj32Ell21rocsparse_complex_numIfEEEvT5_PKS3_S5_NS_24const_host_device_scalarIT6_EEPKT4_S5_PKS7_SB_S5_SD_S8_SB_S5_SD_SB_PS3_PS7_21rocsparse_index_base_SG_SG_SG_bbb
    .private_segment_fixed_size: 0
    .sgpr_count:     100
    .sgpr_spill_count: 26
    .symbol:         _ZN9rocsparseL26csrgemm_fill_block_per_rowILj1024ELj64ELj32768ELj137ELj32Ell21rocsparse_complex_numIfEEEvT5_PKS3_S5_NS_24const_host_device_scalarIT6_EEPKT4_S5_PKS7_SB_S5_SD_S8_SB_S5_SD_SB_PS3_PS7_21rocsparse_index_base_SG_SG_SG_bbb.kd
    .uniform_work_group_size: 1
    .uses_dynamic_stack: false
    .vgpr_count:     27
    .vgpr_spill_count: 0
    .wavefront_size: 64
  - .agpr_count:     0
    .args:
      - .offset:         0
        .size:           8
        .value_kind:     by_value
      - .actual_access:  read_only
        .address_space:  global
        .offset:         8
        .size:           8
        .value_kind:     global_buffer
      - .actual_access:  read_only
        .address_space:  global
        .offset:         16
        .size:           8
        .value_kind:     global_buffer
      - .offset:         24
        .size:           8
        .value_kind:     by_value
      - .actual_access:  read_only
        .address_space:  global
        .offset:         32
        .size:           8
        .value_kind:     global_buffer
      - .actual_access:  read_only
        .address_space:  global
        .offset:         40
        .size:           8
        .value_kind:     global_buffer
      - .actual_access:  read_only
        .address_space:  global
        .offset:         48
        .size:           8
        .value_kind:     global_buffer
      - .actual_access:  read_only
        .address_space:  global
        .offset:         56
        .size:           8
        .value_kind:     global_buffer
      - .actual_access:  read_only
        .address_space:  global
        .offset:         64
        .size:           8
        .value_kind:     global_buffer
      - .actual_access:  read_only
        .address_space:  global
        .offset:         72
        .size:           8
        .value_kind:     global_buffer
      - .offset:         80
        .size:           8
        .value_kind:     by_value
      - .actual_access:  read_only
        .address_space:  global
        .offset:         88
        .size:           8
        .value_kind:     global_buffer
      - .actual_access:  read_only
        .address_space:  global
        .offset:         96
        .size:           8
        .value_kind:     global_buffer
      - .actual_access:  read_only
        .address_space:  global
        .offset:         104
        .size:           8
        .value_kind:     global_buffer
      - .actual_access:  read_only
        .address_space:  global
        .offset:         112
        .size:           8
        .value_kind:     global_buffer
      - .actual_access:  write_only
        .address_space:  global
        .offset:         120
        .size:           8
        .value_kind:     global_buffer
      - .actual_access:  write_only
        .address_space:  global
        .offset:         128
        .size:           8
        .value_kind:     global_buffer
      - .offset:         136
        .size:           4
        .value_kind:     by_value
      - .offset:         140
        .size:           4
        .value_kind:     by_value
      - .offset:         144
        .size:           4
        .value_kind:     by_value
      - .offset:         148
        .size:           4
        .value_kind:     by_value
      - .offset:         152
        .size:           1
        .value_kind:     by_value
      - .offset:         153
        .size:           1
        .value_kind:     by_value
      - .offset:         154
        .size:           1
        .value_kind:     by_value
    .group_segment_fixed_size: 0
    .kernarg_segment_align: 8
    .kernarg_segment_size: 156
    .language:       OpenCL C
    .language_version:
      - 2
      - 0
    .max_flat_workgroup_size: 1024
    .name:           _ZN9rocsparseL26csrgemm_fill_block_per_rowILj1024ELj64ELj32768ELj137ELj64Ell21rocsparse_complex_numIfEEEvT5_PKS3_S5_NS_24const_host_device_scalarIT6_EEPKT4_S5_PKS7_SB_S5_SD_S8_SB_S5_SD_SB_PS3_PS7_21rocsparse_index_base_SG_SG_SG_bbb
    .private_segment_fixed_size: 0
    .sgpr_count:     69
    .sgpr_spill_count: 0
    .symbol:         _ZN9rocsparseL26csrgemm_fill_block_per_rowILj1024ELj64ELj32768ELj137ELj64Ell21rocsparse_complex_numIfEEEvT5_PKS3_S5_NS_24const_host_device_scalarIT6_EEPKT4_S5_PKS7_SB_S5_SD_S8_SB_S5_SD_SB_PS3_PS7_21rocsparse_index_base_SG_SG_SG_bbb.kd
    .uniform_work_group_size: 1
    .uses_dynamic_stack: false
    .vgpr_count:     28
    .vgpr_spill_count: 0
    .wavefront_size: 64
  - .agpr_count:     0
    .args:
      - .offset:         0
        .size:           8
        .value_kind:     by_value
      - .actual_access:  read_only
        .address_space:  global
        .offset:         8
        .size:           8
        .value_kind:     global_buffer
      - .actual_access:  read_only
        .address_space:  global
        .offset:         16
        .size:           8
        .value_kind:     global_buffer
      - .offset:         24
        .size:           8
        .value_kind:     by_value
      - .actual_access:  read_only
        .address_space:  global
        .offset:         32
        .size:           8
        .value_kind:     global_buffer
      - .actual_access:  read_only
        .address_space:  global
        .offset:         40
        .size:           8
        .value_kind:     global_buffer
      - .actual_access:  read_only
        .address_space:  global
        .offset:         48
        .size:           8
        .value_kind:     global_buffer
      - .actual_access:  read_only
        .address_space:  global
        .offset:         56
        .size:           8
        .value_kind:     global_buffer
      - .actual_access:  read_only
        .address_space:  global
        .offset:         64
        .size:           8
        .value_kind:     global_buffer
      - .actual_access:  read_only
        .address_space:  global
        .offset:         72
        .size:           8
        .value_kind:     global_buffer
      - .offset:         80
        .size:           8
        .value_kind:     by_value
      - .actual_access:  read_only
        .address_space:  global
        .offset:         88
        .size:           8
        .value_kind:     global_buffer
      - .actual_access:  read_only
        .address_space:  global
        .offset:         96
        .size:           8
        .value_kind:     global_buffer
      - .actual_access:  read_only
        .address_space:  global
        .offset:         104
        .size:           8
        .value_kind:     global_buffer
      - .actual_access:  read_only
        .address_space:  global
        .offset:         112
        .size:           8
        .value_kind:     global_buffer
      - .actual_access:  write_only
        .address_space:  global
        .offset:         120
        .size:           8
        .value_kind:     global_buffer
      - .actual_access:  write_only
        .address_space:  global
        .offset:         128
        .size:           8
        .value_kind:     global_buffer
      - .address_space:  global
        .offset:         136
        .size:           8
        .value_kind:     global_buffer
      - .offset:         144
        .size:           4
        .value_kind:     by_value
      - .offset:         148
        .size:           4
        .value_kind:     by_value
      - .offset:         152
        .size:           4
        .value_kind:     by_value
      - .offset:         156
        .size:           4
        .value_kind:     by_value
      - .offset:         160
        .size:           1
        .value_kind:     by_value
      - .offset:         161
        .size:           1
        .value_kind:     by_value
      - .offset:         162
        .size:           1
        .value_kind:     by_value
    .group_segment_fixed_size: 18440
    .kernarg_segment_align: 8
    .kernarg_segment_size: 164
    .language:       OpenCL C
    .language_version:
      - 2
      - 0
    .max_flat_workgroup_size: 512
    .name:           _ZN9rocsparseL36csrgemm_fill_block_per_row_multipassILj512ELj16ELj2048ELj32Ell21rocsparse_complex_numIfEEEvT4_PKS3_S5_NS_24const_host_device_scalarIT5_EEPKT3_S5_PKS7_SB_S5_SD_S8_SB_S5_SD_SB_PS3_PS7_PS9_21rocsparse_index_base_SH_SH_SH_bbb
    .private_segment_fixed_size: 0
    .sgpr_count:     100
    .sgpr_spill_count: 16
    .symbol:         _ZN9rocsparseL36csrgemm_fill_block_per_row_multipassILj512ELj16ELj2048ELj32Ell21rocsparse_complex_numIfEEEvT4_PKS3_S5_NS_24const_host_device_scalarIT5_EEPKT3_S5_PKS7_SB_S5_SD_S8_SB_S5_SD_SB_PS3_PS7_PS9_21rocsparse_index_base_SH_SH_SH_bbb.kd
    .uniform_work_group_size: 1
    .uses_dynamic_stack: false
    .vgpr_count:     44
    .vgpr_spill_count: 0
    .wavefront_size: 64
  - .agpr_count:     0
    .args:
      - .offset:         0
        .size:           8
        .value_kind:     by_value
      - .actual_access:  read_only
        .address_space:  global
        .offset:         8
        .size:           8
        .value_kind:     global_buffer
      - .actual_access:  read_only
        .address_space:  global
        .offset:         16
        .size:           8
        .value_kind:     global_buffer
      - .offset:         24
        .size:           8
        .value_kind:     by_value
      - .actual_access:  read_only
        .address_space:  global
        .offset:         32
        .size:           8
        .value_kind:     global_buffer
      - .actual_access:  read_only
        .address_space:  global
        .offset:         40
        .size:           8
        .value_kind:     global_buffer
      - .actual_access:  read_only
        .address_space:  global
        .offset:         48
        .size:           8
        .value_kind:     global_buffer
      - .actual_access:  read_only
        .address_space:  global
        .offset:         56
        .size:           8
        .value_kind:     global_buffer
      - .actual_access:  read_only
        .address_space:  global
        .offset:         64
        .size:           8
        .value_kind:     global_buffer
      - .actual_access:  read_only
        .address_space:  global
        .offset:         72
        .size:           8
        .value_kind:     global_buffer
      - .offset:         80
        .size:           8
        .value_kind:     by_value
      - .actual_access:  read_only
        .address_space:  global
        .offset:         88
        .size:           8
        .value_kind:     global_buffer
      - .actual_access:  read_only
        .address_space:  global
        .offset:         96
        .size:           8
        .value_kind:     global_buffer
      - .actual_access:  read_only
        .address_space:  global
        .offset:         104
        .size:           8
        .value_kind:     global_buffer
      - .actual_access:  read_only
        .address_space:  global
        .offset:         112
        .size:           8
        .value_kind:     global_buffer
      - .actual_access:  write_only
        .address_space:  global
        .offset:         120
        .size:           8
        .value_kind:     global_buffer
      - .actual_access:  write_only
        .address_space:  global
        .offset:         128
        .size:           8
        .value_kind:     global_buffer
      - .address_space:  global
        .offset:         136
        .size:           8
        .value_kind:     global_buffer
      - .offset:         144
        .size:           4
        .value_kind:     by_value
      - .offset:         148
        .size:           4
        .value_kind:     by_value
      - .offset:         152
        .size:           4
        .value_kind:     by_value
      - .offset:         156
        .size:           4
        .value_kind:     by_value
      - .offset:         160
        .size:           1
        .value_kind:     by_value
      - .offset:         161
        .size:           1
        .value_kind:     by_value
      - .offset:         162
        .size:           1
        .value_kind:     by_value
    .group_segment_fixed_size: 18440
    .kernarg_segment_align: 8
    .kernarg_segment_size: 164
    .language:       OpenCL C
    .language_version:
      - 2
      - 0
    .max_flat_workgroup_size: 512
    .name:           _ZN9rocsparseL36csrgemm_fill_block_per_row_multipassILj512ELj16ELj2048ELj64Ell21rocsparse_complex_numIfEEEvT4_PKS3_S5_NS_24const_host_device_scalarIT5_EEPKT3_S5_PKS7_SB_S5_SD_S8_SB_S5_SD_SB_PS3_PS7_PS9_21rocsparse_index_base_SH_SH_SH_bbb
    .private_segment_fixed_size: 0
    .sgpr_count:     92
    .sgpr_spill_count: 0
    .symbol:         _ZN9rocsparseL36csrgemm_fill_block_per_row_multipassILj512ELj16ELj2048ELj64Ell21rocsparse_complex_numIfEEEvT4_PKS3_S5_NS_24const_host_device_scalarIT5_EEPKT3_S5_PKS7_SB_S5_SD_S8_SB_S5_SD_SB_PS3_PS7_PS9_21rocsparse_index_base_SH_SH_SH_bbb.kd
    .uniform_work_group_size: 1
    .uses_dynamic_stack: false
    .vgpr_count:     43
    .vgpr_spill_count: 0
    .wavefront_size: 64
  - .agpr_count:     0
    .args:
      - .offset:         0
        .size:           8
        .value_kind:     by_value
      - .actual_access:  read_only
        .address_space:  global
        .offset:         8
        .size:           8
        .value_kind:     global_buffer
      - .actual_access:  write_only
        .address_space:  global
        .offset:         16
        .size:           8
        .value_kind:     global_buffer
      - .actual_access:  write_only
        .address_space:  global
        .offset:         24
        .size:           8
        .value_kind:     global_buffer
      - .offset:         32
        .size:           4
        .value_kind:     by_value
      - .offset:         40
        .size:           4
        .value_kind:     hidden_block_count_x
      - .offset:         44
        .size:           4
        .value_kind:     hidden_block_count_y
      - .offset:         48
        .size:           4
        .value_kind:     hidden_block_count_z
      - .offset:         52
        .size:           2
        .value_kind:     hidden_group_size_x
      - .offset:         54
        .size:           2
        .value_kind:     hidden_group_size_y
      - .offset:         56
        .size:           2
        .value_kind:     hidden_group_size_z
      - .offset:         58
        .size:           2
        .value_kind:     hidden_remainder_x
      - .offset:         60
        .size:           2
        .value_kind:     hidden_remainder_y
      - .offset:         62
        .size:           2
        .value_kind:     hidden_remainder_z
      - .offset:         80
        .size:           8
        .value_kind:     hidden_global_offset_x
      - .offset:         88
        .size:           8
        .value_kind:     hidden_global_offset_y
      - .offset:         96
        .size:           8
        .value_kind:     hidden_global_offset_z
      - .offset:         104
        .size:           2
        .value_kind:     hidden_grid_dims
    .group_segment_fixed_size: 22528
    .kernarg_segment_align: 8
    .kernarg_segment_size: 296
    .language:       OpenCL C
    .language_version:
      - 2
      - 0
    .max_flat_workgroup_size: 256
    .name:           _ZN9rocsparseL26csrgemm_group_reduce_part2ILj256ELj11E21rocsparse_complex_numIdEllEEvT3_PKT2_PS3_Pij
    .private_segment_fixed_size: 0
    .sgpr_count:     68
    .sgpr_spill_count: 0
    .symbol:         _ZN9rocsparseL26csrgemm_group_reduce_part2ILj256ELj11E21rocsparse_complex_numIdEllEEvT3_PKT2_PS3_Pij.kd
    .uniform_work_group_size: 1
    .uses_dynamic_stack: false
    .vgpr_count:     34
    .vgpr_spill_count: 0
    .wavefront_size: 64
  - .agpr_count:     0
    .args:
      - .offset:         0
        .size:           8
        .value_kind:     by_value
      - .offset:         8
        .size:           8
        .value_kind:     by_value
      - .actual_access:  read_only
        .address_space:  global
        .offset:         16
        .size:           8
        .value_kind:     global_buffer
      - .actual_access:  read_only
        .address_space:  global
        .offset:         24
        .size:           8
        .value_kind:     global_buffer
      - .offset:         32
        .size:           16
        .value_kind:     by_value
      - .actual_access:  read_only
        .address_space:  global
        .offset:         48
        .size:           8
        .value_kind:     global_buffer
      - .actual_access:  read_only
        .address_space:  global
        .offset:         56
        .size:           8
        .value_kind:     global_buffer
      - .actual_access:  read_only
        .address_space:  global
        .offset:         64
        .size:           8
        .value_kind:     global_buffer
      - .actual_access:  read_only
        .address_space:  global
        .offset:         72
        .size:           8
        .value_kind:     global_buffer
      - .actual_access:  read_only
        .address_space:  global
        .offset:         80
        .size:           8
        .value_kind:     global_buffer
      - .actual_access:  read_only
        .address_space:  global
        .offset:         88
        .size:           8
        .value_kind:     global_buffer
      - .offset:         96
        .size:           16
        .value_kind:     by_value
      - .actual_access:  read_only
        .address_space:  global
        .offset:         112
        .size:           8
        .value_kind:     global_buffer
      - .actual_access:  read_only
        .address_space:  global
        .offset:         120
        .size:           8
        .value_kind:     global_buffer
      - .actual_access:  read_only
        .address_space:  global
        .offset:         128
        .size:           8
        .value_kind:     global_buffer
      - .actual_access:  read_only
        .address_space:  global
        .offset:         136
        .size:           8
        .value_kind:     global_buffer
      - .actual_access:  write_only
        .address_space:  global
        .offset:         144
        .size:           8
        .value_kind:     global_buffer
      - .actual_access:  write_only
        .address_space:  global
        .offset:         152
        .size:           8
        .value_kind:     global_buffer
      - .offset:         160
        .size:           4
        .value_kind:     by_value
      - .offset:         164
        .size:           4
        .value_kind:     by_value
      - .offset:         168
        .size:           4
        .value_kind:     by_value
      - .offset:         172
        .size:           4
        .value_kind:     by_value
      - .offset:         176
        .size:           1
        .value_kind:     by_value
      - .offset:         177
        .size:           1
        .value_kind:     by_value
      - .offset:         178
        .size:           1
        .value_kind:     by_value
    .group_segment_fixed_size: 12288
    .kernarg_segment_align: 8
    .kernarg_segment_size: 180
    .language:       OpenCL C
    .language_version:
      - 2
      - 0
    .max_flat_workgroup_size: 256
    .name:           _ZN9rocsparseL23csrgemm_fill_wf_per_rowILj256ELj8ELj16ELj137Ell21rocsparse_complex_numIdEEEvT4_S3_PKS3_S5_NS_24const_host_device_scalarIT5_EEPKT3_S5_PKS7_SB_S5_SD_S8_SB_S5_SD_SB_PS3_PS7_21rocsparse_index_base_SG_SG_SG_bbb
    .private_segment_fixed_size: 24
    .sgpr_count:     66
    .sgpr_spill_count: 0
    .symbol:         _ZN9rocsparseL23csrgemm_fill_wf_per_rowILj256ELj8ELj16ELj137Ell21rocsparse_complex_numIdEEEvT4_S3_PKS3_S5_NS_24const_host_device_scalarIT5_EEPKT3_S5_PKS7_SB_S5_SD_S8_SB_S5_SD_SB_PS3_PS7_21rocsparse_index_base_SG_SG_SG_bbb.kd
    .uniform_work_group_size: 1
    .uses_dynamic_stack: false
    .vgpr_count:     44
    .vgpr_spill_count: 0
    .wavefront_size: 64
  - .agpr_count:     0
    .args:
      - .offset:         0
        .size:           8
        .value_kind:     by_value
      - .offset:         8
        .size:           8
        .value_kind:     by_value
      - .actual_access:  read_only
        .address_space:  global
        .offset:         16
        .size:           8
        .value_kind:     global_buffer
      - .actual_access:  read_only
        .address_space:  global
        .offset:         24
        .size:           8
        .value_kind:     global_buffer
      - .offset:         32
        .size:           16
        .value_kind:     by_value
      - .actual_access:  read_only
        .address_space:  global
        .offset:         48
        .size:           8
        .value_kind:     global_buffer
      - .actual_access:  read_only
        .address_space:  global
        .offset:         56
        .size:           8
        .value_kind:     global_buffer
      - .actual_access:  read_only
        .address_space:  global
        .offset:         64
        .size:           8
        .value_kind:     global_buffer
      - .actual_access:  read_only
        .address_space:  global
        .offset:         72
        .size:           8
        .value_kind:     global_buffer
      - .actual_access:  read_only
        .address_space:  global
        .offset:         80
        .size:           8
        .value_kind:     global_buffer
      - .actual_access:  read_only
        .address_space:  global
        .offset:         88
        .size:           8
        .value_kind:     global_buffer
      - .offset:         96
        .size:           16
        .value_kind:     by_value
      - .actual_access:  read_only
        .address_space:  global
        .offset:         112
        .size:           8
        .value_kind:     global_buffer
      - .actual_access:  read_only
        .address_space:  global
        .offset:         120
        .size:           8
        .value_kind:     global_buffer
      - .actual_access:  read_only
        .address_space:  global
        .offset:         128
        .size:           8
        .value_kind:     global_buffer
      - .actual_access:  read_only
        .address_space:  global
        .offset:         136
        .size:           8
        .value_kind:     global_buffer
      - .actual_access:  write_only
        .address_space:  global
        .offset:         144
        .size:           8
        .value_kind:     global_buffer
      - .actual_access:  write_only
        .address_space:  global
        .offset:         152
        .size:           8
        .value_kind:     global_buffer
      - .offset:         160
        .size:           4
        .value_kind:     by_value
      - .offset:         164
        .size:           4
        .value_kind:     by_value
      - .offset:         168
        .size:           4
        .value_kind:     by_value
      - .offset:         172
        .size:           4
        .value_kind:     by_value
      - .offset:         176
        .size:           1
        .value_kind:     by_value
      - .offset:         177
        .size:           1
        .value_kind:     by_value
      - .offset:         178
        .size:           1
        .value_kind:     by_value
    .group_segment_fixed_size: 12288
    .kernarg_segment_align: 8
    .kernarg_segment_size: 180
    .language:       OpenCL C
    .language_version:
      - 2
      - 0
    .max_flat_workgroup_size: 256
    .name:           _ZN9rocsparseL23csrgemm_fill_wf_per_rowILj256ELj16ELj32ELj137Ell21rocsparse_complex_numIdEEEvT4_S3_PKS3_S5_NS_24const_host_device_scalarIT5_EEPKT3_S5_PKS7_SB_S5_SD_S8_SB_S5_SD_SB_PS3_PS7_21rocsparse_index_base_SG_SG_SG_bbb
    .private_segment_fixed_size: 24
    .sgpr_count:     66
    .sgpr_spill_count: 0
    .symbol:         _ZN9rocsparseL23csrgemm_fill_wf_per_rowILj256ELj16ELj32ELj137Ell21rocsparse_complex_numIdEEEvT4_S3_PKS3_S5_NS_24const_host_device_scalarIT5_EEPKT3_S5_PKS7_SB_S5_SD_S8_SB_S5_SD_SB_PS3_PS7_21rocsparse_index_base_SG_SG_SG_bbb.kd
    .uniform_work_group_size: 1
    .uses_dynamic_stack: false
    .vgpr_count:     44
    .vgpr_spill_count: 0
    .wavefront_size: 64
  - .agpr_count:     0
    .args:
      - .offset:         0
        .size:           8
        .value_kind:     by_value
      - .actual_access:  read_only
        .address_space:  global
        .offset:         8
        .size:           8
        .value_kind:     global_buffer
      - .actual_access:  read_only
        .address_space:  global
        .offset:         16
        .size:           8
        .value_kind:     global_buffer
      - .offset:         24
        .size:           16
        .value_kind:     by_value
      - .actual_access:  read_only
        .address_space:  global
        .offset:         40
        .size:           8
        .value_kind:     global_buffer
      - .actual_access:  read_only
        .address_space:  global
        .offset:         48
        .size:           8
        .value_kind:     global_buffer
      - .actual_access:  read_only
        .address_space:  global
        .offset:         56
        .size:           8
        .value_kind:     global_buffer
      - .actual_access:  read_only
        .address_space:  global
        .offset:         64
        .size:           8
        .value_kind:     global_buffer
      - .actual_access:  read_only
        .address_space:  global
        .offset:         72
        .size:           8
        .value_kind:     global_buffer
      - .actual_access:  read_only
        .address_space:  global
        .offset:         80
        .size:           8
        .value_kind:     global_buffer
      - .offset:         88
        .size:           16
        .value_kind:     by_value
      - .actual_access:  read_only
        .address_space:  global
        .offset:         104
        .size:           8
        .value_kind:     global_buffer
      - .actual_access:  read_only
        .address_space:  global
        .offset:         112
        .size:           8
        .value_kind:     global_buffer
      - .actual_access:  read_only
        .address_space:  global
        .offset:         120
        .size:           8
        .value_kind:     global_buffer
      - .actual_access:  read_only
        .address_space:  global
        .offset:         128
        .size:           8
        .value_kind:     global_buffer
      - .actual_access:  write_only
        .address_space:  global
        .offset:         136
        .size:           8
        .value_kind:     global_buffer
      - .actual_access:  write_only
        .address_space:  global
        .offset:         144
        .size:           8
        .value_kind:     global_buffer
      - .offset:         152
        .size:           4
        .value_kind:     by_value
      - .offset:         156
        .size:           4
        .value_kind:     by_value
      - .offset:         160
        .size:           4
        .value_kind:     by_value
      - .offset:         164
        .size:           4
        .value_kind:     by_value
      - .offset:         168
        .size:           1
        .value_kind:     by_value
      - .offset:         169
        .size:           1
        .value_kind:     by_value
      - .offset:         170
        .size:           1
        .value_kind:     by_value
    .group_segment_fixed_size: 0
    .kernarg_segment_align: 8
    .kernarg_segment_size: 172
    .language:       OpenCL C
    .language_version:
      - 2
      - 0
    .max_flat_workgroup_size: 128
    .name:           _ZN9rocsparseL26csrgemm_fill_block_per_rowILj128ELj16ELj256ELj137ELj32Ell21rocsparse_complex_numIdEEEvT5_PKS3_S5_NS_24const_host_device_scalarIT6_EEPKT4_S5_PKS7_SB_S5_SD_S8_SB_S5_SD_SB_PS3_PS7_21rocsparse_index_base_SG_SG_SG_bbb
    .private_segment_fixed_size: 40
    .sgpr_count:     67
    .sgpr_spill_count: 0
    .symbol:         _ZN9rocsparseL26csrgemm_fill_block_per_rowILj128ELj16ELj256ELj137ELj32Ell21rocsparse_complex_numIdEEEvT5_PKS3_S5_NS_24const_host_device_scalarIT6_EEPKT4_S5_PKS7_SB_S5_SD_S8_SB_S5_SD_SB_PS3_PS7_21rocsparse_index_base_SG_SG_SG_bbb.kd
    .uniform_work_group_size: 1
    .uses_dynamic_stack: false
    .vgpr_count:     40
    .vgpr_spill_count: 0
    .wavefront_size: 64
  - .agpr_count:     0
    .args:
      - .offset:         0
        .size:           8
        .value_kind:     by_value
      - .actual_access:  read_only
        .address_space:  global
        .offset:         8
        .size:           8
        .value_kind:     global_buffer
      - .actual_access:  read_only
        .address_space:  global
        .offset:         16
        .size:           8
        .value_kind:     global_buffer
      - .offset:         24
        .size:           16
        .value_kind:     by_value
      - .actual_access:  read_only
        .address_space:  global
        .offset:         40
        .size:           8
        .value_kind:     global_buffer
      - .actual_access:  read_only
        .address_space:  global
        .offset:         48
        .size:           8
        .value_kind:     global_buffer
      - .actual_access:  read_only
        .address_space:  global
        .offset:         56
        .size:           8
        .value_kind:     global_buffer
      - .actual_access:  read_only
        .address_space:  global
        .offset:         64
        .size:           8
        .value_kind:     global_buffer
      - .actual_access:  read_only
        .address_space:  global
        .offset:         72
        .size:           8
        .value_kind:     global_buffer
      - .actual_access:  read_only
        .address_space:  global
        .offset:         80
        .size:           8
        .value_kind:     global_buffer
      - .offset:         88
        .size:           16
        .value_kind:     by_value
      - .actual_access:  read_only
        .address_space:  global
        .offset:         104
        .size:           8
        .value_kind:     global_buffer
      - .actual_access:  read_only
        .address_space:  global
        .offset:         112
        .size:           8
        .value_kind:     global_buffer
      - .actual_access:  read_only
        .address_space:  global
        .offset:         120
        .size:           8
        .value_kind:     global_buffer
      - .actual_access:  read_only
        .address_space:  global
        .offset:         128
        .size:           8
        .value_kind:     global_buffer
      - .actual_access:  write_only
        .address_space:  global
        .offset:         136
        .size:           8
        .value_kind:     global_buffer
      - .actual_access:  write_only
        .address_space:  global
        .offset:         144
        .size:           8
        .value_kind:     global_buffer
      - .offset:         152
        .size:           4
        .value_kind:     by_value
      - .offset:         156
        .size:           4
        .value_kind:     by_value
      - .offset:         160
        .size:           4
        .value_kind:     by_value
      - .offset:         164
        .size:           4
        .value_kind:     by_value
      - .offset:         168
        .size:           1
        .value_kind:     by_value
      - .offset:         169
        .size:           1
        .value_kind:     by_value
      - .offset:         170
        .size:           1
        .value_kind:     by_value
    .group_segment_fixed_size: 0
    .kernarg_segment_align: 8
    .kernarg_segment_size: 172
    .language:       OpenCL C
    .language_version:
      - 2
      - 0
    .max_flat_workgroup_size: 128
    .name:           _ZN9rocsparseL26csrgemm_fill_block_per_rowILj128ELj16ELj256ELj137ELj64Ell21rocsparse_complex_numIdEEEvT5_PKS3_S5_NS_24const_host_device_scalarIT6_EEPKT4_S5_PKS7_SB_S5_SD_S8_SB_S5_SD_SB_PS3_PS7_21rocsparse_index_base_SG_SG_SG_bbb
    .private_segment_fixed_size: 40
    .sgpr_count:     67
    .sgpr_spill_count: 0
    .symbol:         _ZN9rocsparseL26csrgemm_fill_block_per_rowILj128ELj16ELj256ELj137ELj64Ell21rocsparse_complex_numIdEEEvT5_PKS3_S5_NS_24const_host_device_scalarIT6_EEPKT4_S5_PKS7_SB_S5_SD_S8_SB_S5_SD_SB_PS3_PS7_21rocsparse_index_base_SG_SG_SG_bbb.kd
    .uniform_work_group_size: 1
    .uses_dynamic_stack: false
    .vgpr_count:     40
    .vgpr_spill_count: 0
    .wavefront_size: 64
  - .agpr_count:     0
    .args:
      - .offset:         0
        .size:           8
        .value_kind:     by_value
      - .actual_access:  read_only
        .address_space:  global
        .offset:         8
        .size:           8
        .value_kind:     global_buffer
      - .actual_access:  read_only
        .address_space:  global
        .offset:         16
        .size:           8
        .value_kind:     global_buffer
      - .offset:         24
        .size:           16
        .value_kind:     by_value
      - .actual_access:  read_only
        .address_space:  global
        .offset:         40
        .size:           8
        .value_kind:     global_buffer
      - .actual_access:  read_only
        .address_space:  global
        .offset:         48
        .size:           8
        .value_kind:     global_buffer
      - .actual_access:  read_only
        .address_space:  global
        .offset:         56
        .size:           8
        .value_kind:     global_buffer
      - .actual_access:  read_only
        .address_space:  global
        .offset:         64
        .size:           8
        .value_kind:     global_buffer
      - .actual_access:  read_only
        .address_space:  global
        .offset:         72
        .size:           8
        .value_kind:     global_buffer
      - .actual_access:  read_only
        .address_space:  global
        .offset:         80
        .size:           8
        .value_kind:     global_buffer
      - .offset:         88
        .size:           16
        .value_kind:     by_value
      - .actual_access:  read_only
        .address_space:  global
        .offset:         104
        .size:           8
        .value_kind:     global_buffer
      - .actual_access:  read_only
        .address_space:  global
        .offset:         112
        .size:           8
        .value_kind:     global_buffer
      - .actual_access:  read_only
        .address_space:  global
        .offset:         120
        .size:           8
        .value_kind:     global_buffer
      - .actual_access:  read_only
        .address_space:  global
        .offset:         128
        .size:           8
        .value_kind:     global_buffer
      - .actual_access:  write_only
        .address_space:  global
        .offset:         136
        .size:           8
        .value_kind:     global_buffer
      - .actual_access:  write_only
        .address_space:  global
        .offset:         144
        .size:           8
        .value_kind:     global_buffer
      - .offset:         152
        .size:           4
        .value_kind:     by_value
      - .offset:         156
        .size:           4
        .value_kind:     by_value
      - .offset:         160
        .size:           4
        .value_kind:     by_value
      - .offset:         164
        .size:           4
        .value_kind:     by_value
      - .offset:         168
        .size:           1
        .value_kind:     by_value
      - .offset:         169
        .size:           1
        .value_kind:     by_value
      - .offset:         170
        .size:           1
        .value_kind:     by_value
    .group_segment_fixed_size: 0
    .kernarg_segment_align: 8
    .kernarg_segment_size: 172
    .language:       OpenCL C
    .language_version:
      - 2
      - 0
    .max_flat_workgroup_size: 256
    .name:           _ZN9rocsparseL26csrgemm_fill_block_per_rowILj256ELj32ELj512ELj137ELj32Ell21rocsparse_complex_numIdEEEvT5_PKS3_S5_NS_24const_host_device_scalarIT6_EEPKT4_S5_PKS7_SB_S5_SD_S8_SB_S5_SD_SB_PS3_PS7_21rocsparse_index_base_SG_SG_SG_bbb
    .private_segment_fixed_size: 40
    .sgpr_count:     67
    .sgpr_spill_count: 0
    .symbol:         _ZN9rocsparseL26csrgemm_fill_block_per_rowILj256ELj32ELj512ELj137ELj32Ell21rocsparse_complex_numIdEEEvT5_PKS3_S5_NS_24const_host_device_scalarIT6_EEPKT4_S5_PKS7_SB_S5_SD_S8_SB_S5_SD_SB_PS3_PS7_21rocsparse_index_base_SG_SG_SG_bbb.kd
    .uniform_work_group_size: 1
    .uses_dynamic_stack: false
    .vgpr_count:     42
    .vgpr_spill_count: 0
    .wavefront_size: 64
  - .agpr_count:     0
    .args:
      - .offset:         0
        .size:           8
        .value_kind:     by_value
      - .actual_access:  read_only
        .address_space:  global
        .offset:         8
        .size:           8
        .value_kind:     global_buffer
      - .actual_access:  read_only
        .address_space:  global
        .offset:         16
        .size:           8
        .value_kind:     global_buffer
      - .offset:         24
        .size:           16
        .value_kind:     by_value
      - .actual_access:  read_only
        .address_space:  global
        .offset:         40
        .size:           8
        .value_kind:     global_buffer
      - .actual_access:  read_only
        .address_space:  global
        .offset:         48
        .size:           8
        .value_kind:     global_buffer
      - .actual_access:  read_only
        .address_space:  global
        .offset:         56
        .size:           8
        .value_kind:     global_buffer
      - .actual_access:  read_only
        .address_space:  global
        .offset:         64
        .size:           8
        .value_kind:     global_buffer
      - .actual_access:  read_only
        .address_space:  global
        .offset:         72
        .size:           8
        .value_kind:     global_buffer
      - .actual_access:  read_only
        .address_space:  global
        .offset:         80
        .size:           8
        .value_kind:     global_buffer
      - .offset:         88
        .size:           16
        .value_kind:     by_value
      - .actual_access:  read_only
        .address_space:  global
        .offset:         104
        .size:           8
        .value_kind:     global_buffer
      - .actual_access:  read_only
        .address_space:  global
        .offset:         112
        .size:           8
        .value_kind:     global_buffer
      - .actual_access:  read_only
        .address_space:  global
        .offset:         120
        .size:           8
        .value_kind:     global_buffer
      - .actual_access:  read_only
        .address_space:  global
        .offset:         128
        .size:           8
        .value_kind:     global_buffer
      - .actual_access:  write_only
        .address_space:  global
        .offset:         136
        .size:           8
        .value_kind:     global_buffer
      - .actual_access:  write_only
        .address_space:  global
        .offset:         144
        .size:           8
        .value_kind:     global_buffer
      - .offset:         152
        .size:           4
        .value_kind:     by_value
      - .offset:         156
        .size:           4
        .value_kind:     by_value
      - .offset:         160
        .size:           4
        .value_kind:     by_value
      - .offset:         164
        .size:           4
        .value_kind:     by_value
      - .offset:         168
        .size:           1
        .value_kind:     by_value
      - .offset:         169
        .size:           1
        .value_kind:     by_value
      - .offset:         170
        .size:           1
        .value_kind:     by_value
    .group_segment_fixed_size: 0
    .kernarg_segment_align: 8
    .kernarg_segment_size: 172
    .language:       OpenCL C
    .language_version:
      - 2
      - 0
    .max_flat_workgroup_size: 256
    .name:           _ZN9rocsparseL26csrgemm_fill_block_per_rowILj256ELj32ELj512ELj137ELj64Ell21rocsparse_complex_numIdEEEvT5_PKS3_S5_NS_24const_host_device_scalarIT6_EEPKT4_S5_PKS7_SB_S5_SD_S8_SB_S5_SD_SB_PS3_PS7_21rocsparse_index_base_SG_SG_SG_bbb
    .private_segment_fixed_size: 40
    .sgpr_count:     67
    .sgpr_spill_count: 0
    .symbol:         _ZN9rocsparseL26csrgemm_fill_block_per_rowILj256ELj32ELj512ELj137ELj64Ell21rocsparse_complex_numIdEEEvT5_PKS3_S5_NS_24const_host_device_scalarIT6_EEPKT4_S5_PKS7_SB_S5_SD_S8_SB_S5_SD_SB_PS3_PS7_21rocsparse_index_base_SG_SG_SG_bbb.kd
    .uniform_work_group_size: 1
    .uses_dynamic_stack: false
    .vgpr_count:     40
    .vgpr_spill_count: 0
    .wavefront_size: 64
  - .agpr_count:     0
    .args:
      - .offset:         0
        .size:           8
        .value_kind:     by_value
      - .actual_access:  read_only
        .address_space:  global
        .offset:         8
        .size:           8
        .value_kind:     global_buffer
      - .actual_access:  read_only
        .address_space:  global
        .offset:         16
        .size:           8
        .value_kind:     global_buffer
      - .offset:         24
        .size:           16
        .value_kind:     by_value
      - .actual_access:  read_only
        .address_space:  global
        .offset:         40
        .size:           8
        .value_kind:     global_buffer
      - .actual_access:  read_only
        .address_space:  global
        .offset:         48
        .size:           8
        .value_kind:     global_buffer
      - .actual_access:  read_only
        .address_space:  global
        .offset:         56
        .size:           8
        .value_kind:     global_buffer
      - .actual_access:  read_only
        .address_space:  global
        .offset:         64
        .size:           8
        .value_kind:     global_buffer
      - .actual_access:  read_only
        .address_space:  global
        .offset:         72
        .size:           8
        .value_kind:     global_buffer
      - .actual_access:  read_only
        .address_space:  global
        .offset:         80
        .size:           8
        .value_kind:     global_buffer
      - .offset:         88
        .size:           16
        .value_kind:     by_value
      - .actual_access:  read_only
        .address_space:  global
        .offset:         104
        .size:           8
        .value_kind:     global_buffer
      - .actual_access:  read_only
        .address_space:  global
        .offset:         112
        .size:           8
        .value_kind:     global_buffer
      - .actual_access:  read_only
        .address_space:  global
        .offset:         120
        .size:           8
        .value_kind:     global_buffer
      - .actual_access:  read_only
        .address_space:  global
        .offset:         128
        .size:           8
        .value_kind:     global_buffer
      - .actual_access:  write_only
        .address_space:  global
        .offset:         136
        .size:           8
        .value_kind:     global_buffer
      - .actual_access:  write_only
        .address_space:  global
        .offset:         144
        .size:           8
        .value_kind:     global_buffer
      - .offset:         152
        .size:           4
        .value_kind:     by_value
      - .offset:         156
        .size:           4
        .value_kind:     by_value
      - .offset:         160
        .size:           4
        .value_kind:     by_value
      - .offset:         164
        .size:           4
        .value_kind:     by_value
      - .offset:         168
        .size:           1
        .value_kind:     by_value
      - .offset:         169
        .size:           1
        .value_kind:     by_value
      - .offset:         170
        .size:           1
        .value_kind:     by_value
    .group_segment_fixed_size: 0
    .kernarg_segment_align: 8
    .kernarg_segment_size: 172
    .language:       OpenCL C
    .language_version:
      - 2
      - 0
    .max_flat_workgroup_size: 512
    .name:           _ZN9rocsparseL26csrgemm_fill_block_per_rowILj512ELj32ELj1024ELj137ELj32Ell21rocsparse_complex_numIdEEEvT5_PKS3_S5_NS_24const_host_device_scalarIT6_EEPKT4_S5_PKS7_SB_S5_SD_S8_SB_S5_SD_SB_PS3_PS7_21rocsparse_index_base_SG_SG_SG_bbb
    .private_segment_fixed_size: 40
    .sgpr_count:     66
    .sgpr_spill_count: 0
    .symbol:         _ZN9rocsparseL26csrgemm_fill_block_per_rowILj512ELj32ELj1024ELj137ELj32Ell21rocsparse_complex_numIdEEEvT5_PKS3_S5_NS_24const_host_device_scalarIT6_EEPKT4_S5_PKS7_SB_S5_SD_S8_SB_S5_SD_SB_PS3_PS7_21rocsparse_index_base_SG_SG_SG_bbb.kd
    .uniform_work_group_size: 1
    .uses_dynamic_stack: false
    .vgpr_count:     42
    .vgpr_spill_count: 0
    .wavefront_size: 64
  - .agpr_count:     0
    .args:
      - .offset:         0
        .size:           8
        .value_kind:     by_value
      - .actual_access:  read_only
        .address_space:  global
        .offset:         8
        .size:           8
        .value_kind:     global_buffer
      - .actual_access:  read_only
        .address_space:  global
        .offset:         16
        .size:           8
        .value_kind:     global_buffer
      - .offset:         24
        .size:           16
        .value_kind:     by_value
      - .actual_access:  read_only
        .address_space:  global
        .offset:         40
        .size:           8
        .value_kind:     global_buffer
      - .actual_access:  read_only
        .address_space:  global
        .offset:         48
        .size:           8
        .value_kind:     global_buffer
      - .actual_access:  read_only
        .address_space:  global
        .offset:         56
        .size:           8
        .value_kind:     global_buffer
      - .actual_access:  read_only
        .address_space:  global
        .offset:         64
        .size:           8
        .value_kind:     global_buffer
      - .actual_access:  read_only
        .address_space:  global
        .offset:         72
        .size:           8
        .value_kind:     global_buffer
      - .actual_access:  read_only
        .address_space:  global
        .offset:         80
        .size:           8
        .value_kind:     global_buffer
      - .offset:         88
        .size:           16
        .value_kind:     by_value
      - .actual_access:  read_only
        .address_space:  global
        .offset:         104
        .size:           8
        .value_kind:     global_buffer
      - .actual_access:  read_only
        .address_space:  global
        .offset:         112
        .size:           8
        .value_kind:     global_buffer
      - .actual_access:  read_only
        .address_space:  global
        .offset:         120
        .size:           8
        .value_kind:     global_buffer
      - .actual_access:  read_only
        .address_space:  global
        .offset:         128
        .size:           8
        .value_kind:     global_buffer
      - .actual_access:  write_only
        .address_space:  global
        .offset:         136
        .size:           8
        .value_kind:     global_buffer
      - .actual_access:  write_only
        .address_space:  global
        .offset:         144
        .size:           8
        .value_kind:     global_buffer
      - .offset:         152
        .size:           4
        .value_kind:     by_value
      - .offset:         156
        .size:           4
        .value_kind:     by_value
      - .offset:         160
        .size:           4
        .value_kind:     by_value
      - .offset:         164
        .size:           4
        .value_kind:     by_value
      - .offset:         168
        .size:           1
        .value_kind:     by_value
      - .offset:         169
        .size:           1
        .value_kind:     by_value
      - .offset:         170
        .size:           1
        .value_kind:     by_value
    .group_segment_fixed_size: 0
    .kernarg_segment_align: 8
    .kernarg_segment_size: 172
    .language:       OpenCL C
    .language_version:
      - 2
      - 0
    .max_flat_workgroup_size: 512
    .name:           _ZN9rocsparseL26csrgemm_fill_block_per_rowILj512ELj32ELj1024ELj137ELj64Ell21rocsparse_complex_numIdEEEvT5_PKS3_S5_NS_24const_host_device_scalarIT6_EEPKT4_S5_PKS7_SB_S5_SD_S8_SB_S5_SD_SB_PS3_PS7_21rocsparse_index_base_SG_SG_SG_bbb
    .private_segment_fixed_size: 40
    .sgpr_count:     66
    .sgpr_spill_count: 0
    .symbol:         _ZN9rocsparseL26csrgemm_fill_block_per_rowILj512ELj32ELj1024ELj137ELj64Ell21rocsparse_complex_numIdEEEvT5_PKS3_S5_NS_24const_host_device_scalarIT6_EEPKT4_S5_PKS7_SB_S5_SD_S8_SB_S5_SD_SB_PS3_PS7_21rocsparse_index_base_SG_SG_SG_bbb.kd
    .uniform_work_group_size: 1
    .uses_dynamic_stack: false
    .vgpr_count:     42
    .vgpr_spill_count: 0
    .wavefront_size: 64
  - .agpr_count:     0
    .args:
      - .offset:         0
        .size:           8
        .value_kind:     by_value
      - .actual_access:  read_only
        .address_space:  global
        .offset:         8
        .size:           8
        .value_kind:     global_buffer
      - .actual_access:  read_only
        .address_space:  global
        .offset:         16
        .size:           8
        .value_kind:     global_buffer
      - .offset:         24
        .size:           16
        .value_kind:     by_value
      - .actual_access:  read_only
        .address_space:  global
        .offset:         40
        .size:           8
        .value_kind:     global_buffer
      - .actual_access:  read_only
        .address_space:  global
        .offset:         48
        .size:           8
        .value_kind:     global_buffer
      - .actual_access:  read_only
        .address_space:  global
        .offset:         56
        .size:           8
        .value_kind:     global_buffer
      - .actual_access:  read_only
        .address_space:  global
        .offset:         64
        .size:           8
        .value_kind:     global_buffer
      - .actual_access:  read_only
        .address_space:  global
        .offset:         72
        .size:           8
        .value_kind:     global_buffer
      - .actual_access:  read_only
        .address_space:  global
        .offset:         80
        .size:           8
        .value_kind:     global_buffer
      - .offset:         88
        .size:           16
        .value_kind:     by_value
      - .actual_access:  read_only
        .address_space:  global
        .offset:         104
        .size:           8
        .value_kind:     global_buffer
      - .actual_access:  read_only
        .address_space:  global
        .offset:         112
        .size:           8
        .value_kind:     global_buffer
      - .actual_access:  read_only
        .address_space:  global
        .offset:         120
        .size:           8
        .value_kind:     global_buffer
      - .actual_access:  read_only
        .address_space:  global
        .offset:         128
        .size:           8
        .value_kind:     global_buffer
      - .actual_access:  write_only
        .address_space:  global
        .offset:         136
        .size:           8
        .value_kind:     global_buffer
      - .actual_access:  write_only
        .address_space:  global
        .offset:         144
        .size:           8
        .value_kind:     global_buffer
      - .offset:         152
        .size:           4
        .value_kind:     by_value
      - .offset:         156
        .size:           4
        .value_kind:     by_value
      - .offset:         160
        .size:           4
        .value_kind:     by_value
      - .offset:         164
        .size:           4
        .value_kind:     by_value
      - .offset:         168
        .size:           1
        .value_kind:     by_value
      - .offset:         169
        .size:           1
        .value_kind:     by_value
      - .offset:         170
        .size:           1
        .value_kind:     by_value
    .group_segment_fixed_size: 0
    .kernarg_segment_align: 8
    .kernarg_segment_size: 172
    .language:       OpenCL C
    .language_version:
      - 2
      - 0
    .max_flat_workgroup_size: 1024
    .name:           _ZN9rocsparseL26csrgemm_fill_block_per_rowILj1024ELj32ELj2048ELj137ELj32Ell21rocsparse_complex_numIdEEEvT5_PKS3_S5_NS_24const_host_device_scalarIT6_EEPKT4_S5_PKS7_SB_S5_SD_S8_SB_S5_SD_SB_PS3_PS7_21rocsparse_index_base_SG_SG_SG_bbb
    .private_segment_fixed_size: 40
    .sgpr_count:     92
    .sgpr_spill_count: 0
    .symbol:         _ZN9rocsparseL26csrgemm_fill_block_per_rowILj1024ELj32ELj2048ELj137ELj32Ell21rocsparse_complex_numIdEEEvT5_PKS3_S5_NS_24const_host_device_scalarIT6_EEPKT4_S5_PKS7_SB_S5_SD_S8_SB_S5_SD_SB_PS3_PS7_21rocsparse_index_base_SG_SG_SG_bbb.kd
    .uniform_work_group_size: 1
    .uses_dynamic_stack: false
    .vgpr_count:     42
    .vgpr_spill_count: 0
    .wavefront_size: 64
  - .agpr_count:     0
    .args:
      - .offset:         0
        .size:           8
        .value_kind:     by_value
      - .actual_access:  read_only
        .address_space:  global
        .offset:         8
        .size:           8
        .value_kind:     global_buffer
      - .actual_access:  read_only
        .address_space:  global
        .offset:         16
        .size:           8
        .value_kind:     global_buffer
      - .offset:         24
        .size:           16
        .value_kind:     by_value
      - .actual_access:  read_only
        .address_space:  global
        .offset:         40
        .size:           8
        .value_kind:     global_buffer
      - .actual_access:  read_only
        .address_space:  global
        .offset:         48
        .size:           8
        .value_kind:     global_buffer
      - .actual_access:  read_only
        .address_space:  global
        .offset:         56
        .size:           8
        .value_kind:     global_buffer
      - .actual_access:  read_only
        .address_space:  global
        .offset:         64
        .size:           8
        .value_kind:     global_buffer
      - .actual_access:  read_only
        .address_space:  global
        .offset:         72
        .size:           8
        .value_kind:     global_buffer
      - .actual_access:  read_only
        .address_space:  global
        .offset:         80
        .size:           8
        .value_kind:     global_buffer
      - .offset:         88
        .size:           16
        .value_kind:     by_value
      - .actual_access:  read_only
        .address_space:  global
        .offset:         104
        .size:           8
        .value_kind:     global_buffer
      - .actual_access:  read_only
        .address_space:  global
        .offset:         112
        .size:           8
        .value_kind:     global_buffer
      - .actual_access:  read_only
        .address_space:  global
        .offset:         120
        .size:           8
        .value_kind:     global_buffer
      - .actual_access:  read_only
        .address_space:  global
        .offset:         128
        .size:           8
        .value_kind:     global_buffer
      - .actual_access:  write_only
        .address_space:  global
        .offset:         136
        .size:           8
        .value_kind:     global_buffer
      - .actual_access:  write_only
        .address_space:  global
        .offset:         144
        .size:           8
        .value_kind:     global_buffer
      - .offset:         152
        .size:           4
        .value_kind:     by_value
      - .offset:         156
        .size:           4
        .value_kind:     by_value
      - .offset:         160
        .size:           4
        .value_kind:     by_value
      - .offset:         164
        .size:           4
        .value_kind:     by_value
      - .offset:         168
        .size:           1
        .value_kind:     by_value
      - .offset:         169
        .size:           1
        .value_kind:     by_value
      - .offset:         170
        .size:           1
        .value_kind:     by_value
    .group_segment_fixed_size: 0
    .kernarg_segment_align: 8
    .kernarg_segment_size: 172
    .language:       OpenCL C
    .language_version:
      - 2
      - 0
    .max_flat_workgroup_size: 1024
    .name:           _ZN9rocsparseL26csrgemm_fill_block_per_rowILj1024ELj32ELj2048ELj137ELj64Ell21rocsparse_complex_numIdEEEvT5_PKS3_S5_NS_24const_host_device_scalarIT6_EEPKT4_S5_PKS7_SB_S5_SD_S8_SB_S5_SD_SB_PS3_PS7_21rocsparse_index_base_SG_SG_SG_bbb
    .private_segment_fixed_size: 40
    .sgpr_count:     66
    .sgpr_spill_count: 0
    .symbol:         _ZN9rocsparseL26csrgemm_fill_block_per_rowILj1024ELj32ELj2048ELj137ELj64Ell21rocsparse_complex_numIdEEEvT5_PKS3_S5_NS_24const_host_device_scalarIT6_EEPKT4_S5_PKS7_SB_S5_SD_S8_SB_S5_SD_SB_PS3_PS7_21rocsparse_index_base_SG_SG_SG_bbb.kd
    .uniform_work_group_size: 1
    .uses_dynamic_stack: false
    .vgpr_count:     42
    .vgpr_spill_count: 0
    .wavefront_size: 64
  - .agpr_count:     0
    .args:
      - .offset:         0
        .size:           8
        .value_kind:     by_value
      - .actual_access:  read_only
        .address_space:  global
        .offset:         8
        .size:           8
        .value_kind:     global_buffer
      - .actual_access:  read_only
        .address_space:  global
        .offset:         16
        .size:           8
        .value_kind:     global_buffer
      - .offset:         24
        .size:           16
        .value_kind:     by_value
      - .actual_access:  read_only
        .address_space:  global
        .offset:         40
        .size:           8
        .value_kind:     global_buffer
      - .actual_access:  read_only
        .address_space:  global
        .offset:         48
        .size:           8
        .value_kind:     global_buffer
      - .actual_access:  read_only
        .address_space:  global
        .offset:         56
        .size:           8
        .value_kind:     global_buffer
      - .actual_access:  read_only
        .address_space:  global
        .offset:         64
        .size:           8
        .value_kind:     global_buffer
      - .actual_access:  read_only
        .address_space:  global
        .offset:         72
        .size:           8
        .value_kind:     global_buffer
      - .actual_access:  read_only
        .address_space:  global
        .offset:         80
        .size:           8
        .value_kind:     global_buffer
      - .offset:         88
        .size:           16
        .value_kind:     by_value
      - .actual_access:  read_only
        .address_space:  global
        .offset:         104
        .size:           8
        .value_kind:     global_buffer
      - .actual_access:  read_only
        .address_space:  global
        .offset:         112
        .size:           8
        .value_kind:     global_buffer
      - .actual_access:  read_only
        .address_space:  global
        .offset:         120
        .size:           8
        .value_kind:     global_buffer
      - .actual_access:  read_only
        .address_space:  global
        .offset:         128
        .size:           8
        .value_kind:     global_buffer
      - .actual_access:  write_only
        .address_space:  global
        .offset:         136
        .size:           8
        .value_kind:     global_buffer
      - .actual_access:  write_only
        .address_space:  global
        .offset:         144
        .size:           8
        .value_kind:     global_buffer
      - .offset:         152
        .size:           4
        .value_kind:     by_value
      - .offset:         156
        .size:           4
        .value_kind:     by_value
      - .offset:         160
        .size:           4
        .value_kind:     by_value
      - .offset:         164
        .size:           4
        .value_kind:     by_value
      - .offset:         168
        .size:           1
        .value_kind:     by_value
      - .offset:         169
        .size:           1
        .value_kind:     by_value
      - .offset:         170
        .size:           1
        .value_kind:     by_value
    .group_segment_fixed_size: 0
    .kernarg_segment_align: 8
    .kernarg_segment_size: 172
    .language:       OpenCL C
    .language_version:
      - 2
      - 0
    .max_flat_workgroup_size: 1024
    .name:           _ZN9rocsparseL26csrgemm_fill_block_per_rowILj1024ELj64ELj4096ELj137ELj32Ell21rocsparse_complex_numIdEEEvT5_PKS3_S5_NS_24const_host_device_scalarIT6_EEPKT4_S5_PKS7_SB_S5_SD_S8_SB_S5_SD_SB_PS3_PS7_21rocsparse_index_base_SG_SG_SG_bbb
    .private_segment_fixed_size: 40
    .sgpr_count:     106
    .sgpr_spill_count: 28
    .symbol:         _ZN9rocsparseL26csrgemm_fill_block_per_rowILj1024ELj64ELj4096ELj137ELj32Ell21rocsparse_complex_numIdEEEvT5_PKS3_S5_NS_24const_host_device_scalarIT6_EEPKT4_S5_PKS7_SB_S5_SD_S8_SB_S5_SD_SB_PS3_PS7_21rocsparse_index_base_SG_SG_SG_bbb.kd
    .uniform_work_group_size: 1
    .uses_dynamic_stack: false
    .vgpr_count:     43
    .vgpr_spill_count: 0
    .wavefront_size: 64
  - .agpr_count:     0
    .args:
      - .offset:         0
        .size:           8
        .value_kind:     by_value
      - .actual_access:  read_only
        .address_space:  global
        .offset:         8
        .size:           8
        .value_kind:     global_buffer
      - .actual_access:  read_only
        .address_space:  global
        .offset:         16
        .size:           8
        .value_kind:     global_buffer
      - .offset:         24
        .size:           16
        .value_kind:     by_value
      - .actual_access:  read_only
        .address_space:  global
        .offset:         40
        .size:           8
        .value_kind:     global_buffer
      - .actual_access:  read_only
        .address_space:  global
        .offset:         48
        .size:           8
        .value_kind:     global_buffer
      - .actual_access:  read_only
        .address_space:  global
        .offset:         56
        .size:           8
        .value_kind:     global_buffer
      - .actual_access:  read_only
        .address_space:  global
        .offset:         64
        .size:           8
        .value_kind:     global_buffer
      - .actual_access:  read_only
        .address_space:  global
        .offset:         72
        .size:           8
        .value_kind:     global_buffer
      - .actual_access:  read_only
        .address_space:  global
        .offset:         80
        .size:           8
        .value_kind:     global_buffer
      - .offset:         88
        .size:           16
        .value_kind:     by_value
      - .actual_access:  read_only
        .address_space:  global
        .offset:         104
        .size:           8
        .value_kind:     global_buffer
      - .actual_access:  read_only
        .address_space:  global
        .offset:         112
        .size:           8
        .value_kind:     global_buffer
      - .actual_access:  read_only
        .address_space:  global
        .offset:         120
        .size:           8
        .value_kind:     global_buffer
      - .actual_access:  read_only
        .address_space:  global
        .offset:         128
        .size:           8
        .value_kind:     global_buffer
      - .actual_access:  write_only
        .address_space:  global
        .offset:         136
        .size:           8
        .value_kind:     global_buffer
      - .actual_access:  write_only
        .address_space:  global
        .offset:         144
        .size:           8
        .value_kind:     global_buffer
      - .offset:         152
        .size:           4
        .value_kind:     by_value
      - .offset:         156
        .size:           4
        .value_kind:     by_value
      - .offset:         160
        .size:           4
        .value_kind:     by_value
      - .offset:         164
        .size:           4
        .value_kind:     by_value
      - .offset:         168
        .size:           1
        .value_kind:     by_value
      - .offset:         169
        .size:           1
        .value_kind:     by_value
      - .offset:         170
        .size:           1
        .value_kind:     by_value
    .group_segment_fixed_size: 0
    .kernarg_segment_align: 8
    .kernarg_segment_size: 172
    .language:       OpenCL C
    .language_version:
      - 2
      - 0
    .max_flat_workgroup_size: 1024
    .name:           _ZN9rocsparseL26csrgemm_fill_block_per_rowILj1024ELj64ELj4096ELj137ELj64Ell21rocsparse_complex_numIdEEEvT5_PKS3_S5_NS_24const_host_device_scalarIT6_EEPKT4_S5_PKS7_SB_S5_SD_S8_SB_S5_SD_SB_PS3_PS7_21rocsparse_index_base_SG_SG_SG_bbb
    .private_segment_fixed_size: 40
    .sgpr_count:     75
    .sgpr_spill_count: 0
    .symbol:         _ZN9rocsparseL26csrgemm_fill_block_per_rowILj1024ELj64ELj4096ELj137ELj64Ell21rocsparse_complex_numIdEEEvT5_PKS3_S5_NS_24const_host_device_scalarIT6_EEPKT4_S5_PKS7_SB_S5_SD_S8_SB_S5_SD_SB_PS3_PS7_21rocsparse_index_base_SG_SG_SG_bbb.kd
    .uniform_work_group_size: 1
    .uses_dynamic_stack: false
    .vgpr_count:     42
    .vgpr_spill_count: 0
    .wavefront_size: 64
  - .agpr_count:     0
    .args:
      - .offset:         0
        .size:           8
        .value_kind:     by_value
      - .actual_access:  read_only
        .address_space:  global
        .offset:         8
        .size:           8
        .value_kind:     global_buffer
      - .actual_access:  read_only
        .address_space:  global
        .offset:         16
        .size:           8
        .value_kind:     global_buffer
      - .offset:         24
        .size:           16
        .value_kind:     by_value
      - .actual_access:  read_only
        .address_space:  global
        .offset:         40
        .size:           8
        .value_kind:     global_buffer
      - .actual_access:  read_only
        .address_space:  global
        .offset:         48
        .size:           8
        .value_kind:     global_buffer
      - .actual_access:  read_only
        .address_space:  global
        .offset:         56
        .size:           8
        .value_kind:     global_buffer
      - .actual_access:  read_only
        .address_space:  global
        .offset:         64
        .size:           8
        .value_kind:     global_buffer
      - .actual_access:  read_only
        .address_space:  global
        .offset:         72
        .size:           8
        .value_kind:     global_buffer
      - .actual_access:  read_only
        .address_space:  global
        .offset:         80
        .size:           8
        .value_kind:     global_buffer
      - .offset:         88
        .size:           16
        .value_kind:     by_value
      - .actual_access:  read_only
        .address_space:  global
        .offset:         104
        .size:           8
        .value_kind:     global_buffer
      - .actual_access:  read_only
        .address_space:  global
        .offset:         112
        .size:           8
        .value_kind:     global_buffer
      - .actual_access:  read_only
        .address_space:  global
        .offset:         120
        .size:           8
        .value_kind:     global_buffer
      - .actual_access:  read_only
        .address_space:  global
        .offset:         128
        .size:           8
        .value_kind:     global_buffer
      - .actual_access:  write_only
        .address_space:  global
        .offset:         136
        .size:           8
        .value_kind:     global_buffer
      - .actual_access:  write_only
        .address_space:  global
        .offset:         144
        .size:           8
        .value_kind:     global_buffer
      - .offset:         152
        .size:           4
        .value_kind:     by_value
      - .offset:         156
        .size:           4
        .value_kind:     by_value
      - .offset:         160
        .size:           4
        .value_kind:     by_value
      - .offset:         164
        .size:           4
        .value_kind:     by_value
      - .offset:         168
        .size:           1
        .value_kind:     by_value
      - .offset:         169
        .size:           1
        .value_kind:     by_value
      - .offset:         170
        .size:           1
        .value_kind:     by_value
    .group_segment_fixed_size: 0
    .kernarg_segment_align: 8
    .kernarg_segment_size: 172
    .language:       OpenCL C
    .language_version:
      - 2
      - 0
    .max_flat_workgroup_size: 1024
    .name:           _ZN9rocsparseL26csrgemm_fill_block_per_rowILj1024ELj64ELj8192ELj137ELj32Ell21rocsparse_complex_numIdEEEvT5_PKS3_S5_NS_24const_host_device_scalarIT6_EEPKT4_S5_PKS7_SB_S5_SD_S8_SB_S5_SD_SB_PS3_PS7_21rocsparse_index_base_SG_SG_SG_bbb
    .private_segment_fixed_size: 40
    .sgpr_count:     106
    .sgpr_spill_count: 22
    .symbol:         _ZN9rocsparseL26csrgemm_fill_block_per_rowILj1024ELj64ELj8192ELj137ELj32Ell21rocsparse_complex_numIdEEEvT5_PKS3_S5_NS_24const_host_device_scalarIT6_EEPKT4_S5_PKS7_SB_S5_SD_S8_SB_S5_SD_SB_PS3_PS7_21rocsparse_index_base_SG_SG_SG_bbb.kd
    .uniform_work_group_size: 1
    .uses_dynamic_stack: false
    .vgpr_count:     41
    .vgpr_spill_count: 0
    .wavefront_size: 64
  - .agpr_count:     0
    .args:
      - .offset:         0
        .size:           8
        .value_kind:     by_value
      - .actual_access:  read_only
        .address_space:  global
        .offset:         8
        .size:           8
        .value_kind:     global_buffer
      - .actual_access:  read_only
        .address_space:  global
        .offset:         16
        .size:           8
        .value_kind:     global_buffer
      - .offset:         24
        .size:           16
        .value_kind:     by_value
      - .actual_access:  read_only
        .address_space:  global
        .offset:         40
        .size:           8
        .value_kind:     global_buffer
      - .actual_access:  read_only
        .address_space:  global
        .offset:         48
        .size:           8
        .value_kind:     global_buffer
      - .actual_access:  read_only
        .address_space:  global
        .offset:         56
        .size:           8
        .value_kind:     global_buffer
      - .actual_access:  read_only
        .address_space:  global
        .offset:         64
        .size:           8
        .value_kind:     global_buffer
      - .actual_access:  read_only
        .address_space:  global
        .offset:         72
        .size:           8
        .value_kind:     global_buffer
      - .actual_access:  read_only
        .address_space:  global
        .offset:         80
        .size:           8
        .value_kind:     global_buffer
      - .offset:         88
        .size:           16
        .value_kind:     by_value
      - .actual_access:  read_only
        .address_space:  global
        .offset:         104
        .size:           8
        .value_kind:     global_buffer
      - .actual_access:  read_only
        .address_space:  global
        .offset:         112
        .size:           8
        .value_kind:     global_buffer
      - .actual_access:  read_only
        .address_space:  global
        .offset:         120
        .size:           8
        .value_kind:     global_buffer
      - .actual_access:  read_only
        .address_space:  global
        .offset:         128
        .size:           8
        .value_kind:     global_buffer
      - .actual_access:  write_only
        .address_space:  global
        .offset:         136
        .size:           8
        .value_kind:     global_buffer
      - .actual_access:  write_only
        .address_space:  global
        .offset:         144
        .size:           8
        .value_kind:     global_buffer
      - .offset:         152
        .size:           4
        .value_kind:     by_value
      - .offset:         156
        .size:           4
        .value_kind:     by_value
      - .offset:         160
        .size:           4
        .value_kind:     by_value
      - .offset:         164
        .size:           4
        .value_kind:     by_value
      - .offset:         168
        .size:           1
        .value_kind:     by_value
      - .offset:         169
        .size:           1
        .value_kind:     by_value
      - .offset:         170
        .size:           1
        .value_kind:     by_value
    .group_segment_fixed_size: 0
    .kernarg_segment_align: 8
    .kernarg_segment_size: 172
    .language:       OpenCL C
    .language_version:
      - 2
      - 0
    .max_flat_workgroup_size: 1024
    .name:           _ZN9rocsparseL26csrgemm_fill_block_per_rowILj1024ELj64ELj8192ELj137ELj64Ell21rocsparse_complex_numIdEEEvT5_PKS3_S5_NS_24const_host_device_scalarIT6_EEPKT4_S5_PKS7_SB_S5_SD_S8_SB_S5_SD_SB_PS3_PS7_21rocsparse_index_base_SG_SG_SG_bbb
    .private_segment_fixed_size: 40
    .sgpr_count:     75
    .sgpr_spill_count: 0
    .symbol:         _ZN9rocsparseL26csrgemm_fill_block_per_rowILj1024ELj64ELj8192ELj137ELj64Ell21rocsparse_complex_numIdEEEvT5_PKS3_S5_NS_24const_host_device_scalarIT6_EEPKT4_S5_PKS7_SB_S5_SD_S8_SB_S5_SD_SB_PS3_PS7_21rocsparse_index_base_SG_SG_SG_bbb.kd
    .uniform_work_group_size: 1
    .uses_dynamic_stack: false
    .vgpr_count:     42
    .vgpr_spill_count: 0
    .wavefront_size: 64
  - .agpr_count:     0
    .args:
      - .offset:         0
        .size:           8
        .value_kind:     by_value
      - .actual_access:  read_only
        .address_space:  global
        .offset:         8
        .size:           8
        .value_kind:     global_buffer
      - .actual_access:  read_only
        .address_space:  global
        .offset:         16
        .size:           8
        .value_kind:     global_buffer
      - .offset:         24
        .size:           16
        .value_kind:     by_value
      - .actual_access:  read_only
        .address_space:  global
        .offset:         40
        .size:           8
        .value_kind:     global_buffer
      - .actual_access:  read_only
        .address_space:  global
        .offset:         48
        .size:           8
        .value_kind:     global_buffer
      - .actual_access:  read_only
        .address_space:  global
        .offset:         56
        .size:           8
        .value_kind:     global_buffer
      - .actual_access:  read_only
        .address_space:  global
        .offset:         64
        .size:           8
        .value_kind:     global_buffer
      - .actual_access:  read_only
        .address_space:  global
        .offset:         72
        .size:           8
        .value_kind:     global_buffer
      - .actual_access:  read_only
        .address_space:  global
        .offset:         80
        .size:           8
        .value_kind:     global_buffer
      - .offset:         88
        .size:           16
        .value_kind:     by_value
      - .actual_access:  read_only
        .address_space:  global
        .offset:         104
        .size:           8
        .value_kind:     global_buffer
      - .actual_access:  read_only
        .address_space:  global
        .offset:         112
        .size:           8
        .value_kind:     global_buffer
      - .actual_access:  read_only
        .address_space:  global
        .offset:         120
        .size:           8
        .value_kind:     global_buffer
      - .actual_access:  read_only
        .address_space:  global
        .offset:         128
        .size:           8
        .value_kind:     global_buffer
      - .actual_access:  write_only
        .address_space:  global
        .offset:         136
        .size:           8
        .value_kind:     global_buffer
      - .actual_access:  write_only
        .address_space:  global
        .offset:         144
        .size:           8
        .value_kind:     global_buffer
      - .offset:         152
        .size:           4
        .value_kind:     by_value
      - .offset:         156
        .size:           4
        .value_kind:     by_value
      - .offset:         160
        .size:           4
        .value_kind:     by_value
      - .offset:         164
        .size:           4
        .value_kind:     by_value
      - .offset:         168
        .size:           1
        .value_kind:     by_value
      - .offset:         169
        .size:           1
        .value_kind:     by_value
      - .offset:         170
        .size:           1
        .value_kind:     by_value
    .group_segment_fixed_size: 0
    .kernarg_segment_align: 8
    .kernarg_segment_size: 172
    .language:       OpenCL C
    .language_version:
      - 2
      - 0
    .max_flat_workgroup_size: 1024
    .name:           _ZN9rocsparseL26csrgemm_fill_block_per_rowILj1024ELj64ELj16384ELj137ELj32Ell21rocsparse_complex_numIdEEEvT5_PKS3_S5_NS_24const_host_device_scalarIT6_EEPKT4_S5_PKS7_SB_S5_SD_S8_SB_S5_SD_SB_PS3_PS7_21rocsparse_index_base_SG_SG_SG_bbb
    .private_segment_fixed_size: 40
    .sgpr_count:     106
    .sgpr_spill_count: 28
    .symbol:         _ZN9rocsparseL26csrgemm_fill_block_per_rowILj1024ELj64ELj16384ELj137ELj32Ell21rocsparse_complex_numIdEEEvT5_PKS3_S5_NS_24const_host_device_scalarIT6_EEPKT4_S5_PKS7_SB_S5_SD_S8_SB_S5_SD_SB_PS3_PS7_21rocsparse_index_base_SG_SG_SG_bbb.kd
    .uniform_work_group_size: 1
    .uses_dynamic_stack: false
    .vgpr_count:     43
    .vgpr_spill_count: 0
    .wavefront_size: 64
  - .agpr_count:     0
    .args:
      - .offset:         0
        .size:           8
        .value_kind:     by_value
      - .actual_access:  read_only
        .address_space:  global
        .offset:         8
        .size:           8
        .value_kind:     global_buffer
      - .actual_access:  read_only
        .address_space:  global
        .offset:         16
        .size:           8
        .value_kind:     global_buffer
      - .offset:         24
        .size:           16
        .value_kind:     by_value
      - .actual_access:  read_only
        .address_space:  global
        .offset:         40
        .size:           8
        .value_kind:     global_buffer
      - .actual_access:  read_only
        .address_space:  global
        .offset:         48
        .size:           8
        .value_kind:     global_buffer
      - .actual_access:  read_only
        .address_space:  global
        .offset:         56
        .size:           8
        .value_kind:     global_buffer
      - .actual_access:  read_only
        .address_space:  global
        .offset:         64
        .size:           8
        .value_kind:     global_buffer
      - .actual_access:  read_only
        .address_space:  global
        .offset:         72
        .size:           8
        .value_kind:     global_buffer
      - .actual_access:  read_only
        .address_space:  global
        .offset:         80
        .size:           8
        .value_kind:     global_buffer
      - .offset:         88
        .size:           16
        .value_kind:     by_value
      - .actual_access:  read_only
        .address_space:  global
        .offset:         104
        .size:           8
        .value_kind:     global_buffer
      - .actual_access:  read_only
        .address_space:  global
        .offset:         112
        .size:           8
        .value_kind:     global_buffer
      - .actual_access:  read_only
        .address_space:  global
        .offset:         120
        .size:           8
        .value_kind:     global_buffer
      - .actual_access:  read_only
        .address_space:  global
        .offset:         128
        .size:           8
        .value_kind:     global_buffer
      - .actual_access:  write_only
        .address_space:  global
        .offset:         136
        .size:           8
        .value_kind:     global_buffer
      - .actual_access:  write_only
        .address_space:  global
        .offset:         144
        .size:           8
        .value_kind:     global_buffer
      - .offset:         152
        .size:           4
        .value_kind:     by_value
      - .offset:         156
        .size:           4
        .value_kind:     by_value
      - .offset:         160
        .size:           4
        .value_kind:     by_value
      - .offset:         164
        .size:           4
        .value_kind:     by_value
      - .offset:         168
        .size:           1
        .value_kind:     by_value
      - .offset:         169
        .size:           1
        .value_kind:     by_value
      - .offset:         170
        .size:           1
        .value_kind:     by_value
    .group_segment_fixed_size: 0
    .kernarg_segment_align: 8
    .kernarg_segment_size: 172
    .language:       OpenCL C
    .language_version:
      - 2
      - 0
    .max_flat_workgroup_size: 1024
    .name:           _ZN9rocsparseL26csrgemm_fill_block_per_rowILj1024ELj64ELj16384ELj137ELj64Ell21rocsparse_complex_numIdEEEvT5_PKS3_S5_NS_24const_host_device_scalarIT6_EEPKT4_S5_PKS7_SB_S5_SD_S8_SB_S5_SD_SB_PS3_PS7_21rocsparse_index_base_SG_SG_SG_bbb
    .private_segment_fixed_size: 40
    .sgpr_count:     75
    .sgpr_spill_count: 0
    .symbol:         _ZN9rocsparseL26csrgemm_fill_block_per_rowILj1024ELj64ELj16384ELj137ELj64Ell21rocsparse_complex_numIdEEEvT5_PKS3_S5_NS_24const_host_device_scalarIT6_EEPKT4_S5_PKS7_SB_S5_SD_S8_SB_S5_SD_SB_PS3_PS7_21rocsparse_index_base_SG_SG_SG_bbb.kd
    .uniform_work_group_size: 1
    .uses_dynamic_stack: false
    .vgpr_count:     42
    .vgpr_spill_count: 0
    .wavefront_size: 64
  - .agpr_count:     0
    .args:
      - .offset:         0
        .size:           8
        .value_kind:     by_value
      - .actual_access:  read_only
        .address_space:  global
        .offset:         8
        .size:           8
        .value_kind:     global_buffer
      - .actual_access:  read_only
        .address_space:  global
        .offset:         16
        .size:           8
        .value_kind:     global_buffer
      - .offset:         24
        .size:           16
        .value_kind:     by_value
      - .actual_access:  read_only
        .address_space:  global
        .offset:         40
        .size:           8
        .value_kind:     global_buffer
      - .actual_access:  read_only
        .address_space:  global
        .offset:         48
        .size:           8
        .value_kind:     global_buffer
      - .actual_access:  read_only
        .address_space:  global
        .offset:         56
        .size:           8
        .value_kind:     global_buffer
      - .actual_access:  read_only
        .address_space:  global
        .offset:         64
        .size:           8
        .value_kind:     global_buffer
      - .actual_access:  read_only
        .address_space:  global
        .offset:         72
        .size:           8
        .value_kind:     global_buffer
      - .actual_access:  read_only
        .address_space:  global
        .offset:         80
        .size:           8
        .value_kind:     global_buffer
      - .offset:         88
        .size:           16
        .value_kind:     by_value
      - .actual_access:  read_only
        .address_space:  global
        .offset:         104
        .size:           8
        .value_kind:     global_buffer
      - .actual_access:  read_only
        .address_space:  global
        .offset:         112
        .size:           8
        .value_kind:     global_buffer
      - .actual_access:  read_only
        .address_space:  global
        .offset:         120
        .size:           8
        .value_kind:     global_buffer
      - .actual_access:  read_only
        .address_space:  global
        .offset:         128
        .size:           8
        .value_kind:     global_buffer
      - .actual_access:  write_only
        .address_space:  global
        .offset:         136
        .size:           8
        .value_kind:     global_buffer
      - .actual_access:  write_only
        .address_space:  global
        .offset:         144
        .size:           8
        .value_kind:     global_buffer
      - .offset:         152
        .size:           4
        .value_kind:     by_value
      - .offset:         156
        .size:           4
        .value_kind:     by_value
      - .offset:         160
        .size:           4
        .value_kind:     by_value
      - .offset:         164
        .size:           4
        .value_kind:     by_value
      - .offset:         168
        .size:           1
        .value_kind:     by_value
      - .offset:         169
        .size:           1
        .value_kind:     by_value
      - .offset:         170
        .size:           1
        .value_kind:     by_value
    .group_segment_fixed_size: 0
    .kernarg_segment_align: 8
    .kernarg_segment_size: 172
    .language:       OpenCL C
    .language_version:
      - 2
      - 0
    .max_flat_workgroup_size: 1024
    .name:           _ZN9rocsparseL26csrgemm_fill_block_per_rowILj1024ELj64ELj32768ELj137ELj32Ell21rocsparse_complex_numIdEEEvT5_PKS3_S5_NS_24const_host_device_scalarIT6_EEPKT4_S5_PKS7_SB_S5_SD_S8_SB_S5_SD_SB_PS3_PS7_21rocsparse_index_base_SG_SG_SG_bbb
    .private_segment_fixed_size: 40
    .sgpr_count:     106
    .sgpr_spill_count: 28
    .symbol:         _ZN9rocsparseL26csrgemm_fill_block_per_rowILj1024ELj64ELj32768ELj137ELj32Ell21rocsparse_complex_numIdEEEvT5_PKS3_S5_NS_24const_host_device_scalarIT6_EEPKT4_S5_PKS7_SB_S5_SD_S8_SB_S5_SD_SB_PS3_PS7_21rocsparse_index_base_SG_SG_SG_bbb.kd
    .uniform_work_group_size: 1
    .uses_dynamic_stack: false
    .vgpr_count:     43
    .vgpr_spill_count: 0
    .wavefront_size: 64
  - .agpr_count:     0
    .args:
      - .offset:         0
        .size:           8
        .value_kind:     by_value
      - .actual_access:  read_only
        .address_space:  global
        .offset:         8
        .size:           8
        .value_kind:     global_buffer
      - .actual_access:  read_only
        .address_space:  global
        .offset:         16
        .size:           8
        .value_kind:     global_buffer
      - .offset:         24
        .size:           16
        .value_kind:     by_value
      - .actual_access:  read_only
        .address_space:  global
        .offset:         40
        .size:           8
        .value_kind:     global_buffer
      - .actual_access:  read_only
        .address_space:  global
        .offset:         48
        .size:           8
        .value_kind:     global_buffer
      - .actual_access:  read_only
        .address_space:  global
        .offset:         56
        .size:           8
        .value_kind:     global_buffer
      - .actual_access:  read_only
        .address_space:  global
        .offset:         64
        .size:           8
        .value_kind:     global_buffer
      - .actual_access:  read_only
        .address_space:  global
        .offset:         72
        .size:           8
        .value_kind:     global_buffer
      - .actual_access:  read_only
        .address_space:  global
        .offset:         80
        .size:           8
        .value_kind:     global_buffer
      - .offset:         88
        .size:           16
        .value_kind:     by_value
      - .actual_access:  read_only
        .address_space:  global
        .offset:         104
        .size:           8
        .value_kind:     global_buffer
      - .actual_access:  read_only
        .address_space:  global
        .offset:         112
        .size:           8
        .value_kind:     global_buffer
      - .actual_access:  read_only
        .address_space:  global
        .offset:         120
        .size:           8
        .value_kind:     global_buffer
      - .actual_access:  read_only
        .address_space:  global
        .offset:         128
        .size:           8
        .value_kind:     global_buffer
      - .actual_access:  write_only
        .address_space:  global
        .offset:         136
        .size:           8
        .value_kind:     global_buffer
      - .actual_access:  write_only
        .address_space:  global
        .offset:         144
        .size:           8
        .value_kind:     global_buffer
      - .offset:         152
        .size:           4
        .value_kind:     by_value
      - .offset:         156
        .size:           4
        .value_kind:     by_value
      - .offset:         160
        .size:           4
        .value_kind:     by_value
      - .offset:         164
        .size:           4
        .value_kind:     by_value
      - .offset:         168
        .size:           1
        .value_kind:     by_value
      - .offset:         169
        .size:           1
        .value_kind:     by_value
      - .offset:         170
        .size:           1
        .value_kind:     by_value
    .group_segment_fixed_size: 0
    .kernarg_segment_align: 8
    .kernarg_segment_size: 172
    .language:       OpenCL C
    .language_version:
      - 2
      - 0
    .max_flat_workgroup_size: 1024
    .name:           _ZN9rocsparseL26csrgemm_fill_block_per_rowILj1024ELj64ELj32768ELj137ELj64Ell21rocsparse_complex_numIdEEEvT5_PKS3_S5_NS_24const_host_device_scalarIT6_EEPKT4_S5_PKS7_SB_S5_SD_S8_SB_S5_SD_SB_PS3_PS7_21rocsparse_index_base_SG_SG_SG_bbb
    .private_segment_fixed_size: 40
    .sgpr_count:     75
    .sgpr_spill_count: 0
    .symbol:         _ZN9rocsparseL26csrgemm_fill_block_per_rowILj1024ELj64ELj32768ELj137ELj64Ell21rocsparse_complex_numIdEEEvT5_PKS3_S5_NS_24const_host_device_scalarIT6_EEPKT4_S5_PKS7_SB_S5_SD_S8_SB_S5_SD_SB_PS3_PS7_21rocsparse_index_base_SG_SG_SG_bbb.kd
    .uniform_work_group_size: 1
    .uses_dynamic_stack: false
    .vgpr_count:     42
    .vgpr_spill_count: 0
    .wavefront_size: 64
  - .agpr_count:     0
    .args:
      - .offset:         0
        .size:           8
        .value_kind:     by_value
      - .actual_access:  read_only
        .address_space:  global
        .offset:         8
        .size:           8
        .value_kind:     global_buffer
      - .actual_access:  read_only
        .address_space:  global
        .offset:         16
        .size:           8
        .value_kind:     global_buffer
      - .offset:         24
        .size:           16
        .value_kind:     by_value
      - .actual_access:  read_only
        .address_space:  global
        .offset:         40
        .size:           8
        .value_kind:     global_buffer
      - .actual_access:  read_only
        .address_space:  global
        .offset:         48
        .size:           8
        .value_kind:     global_buffer
      - .actual_access:  read_only
        .address_space:  global
        .offset:         56
        .size:           8
        .value_kind:     global_buffer
      - .actual_access:  read_only
        .address_space:  global
        .offset:         64
        .size:           8
        .value_kind:     global_buffer
      - .actual_access:  read_only
        .address_space:  global
        .offset:         72
        .size:           8
        .value_kind:     global_buffer
      - .actual_access:  read_only
        .address_space:  global
        .offset:         80
        .size:           8
        .value_kind:     global_buffer
      - .offset:         88
        .size:           16
        .value_kind:     by_value
      - .actual_access:  read_only
        .address_space:  global
        .offset:         104
        .size:           8
        .value_kind:     global_buffer
      - .actual_access:  read_only
        .address_space:  global
        .offset:         112
        .size:           8
        .value_kind:     global_buffer
      - .actual_access:  read_only
        .address_space:  global
        .offset:         120
        .size:           8
        .value_kind:     global_buffer
      - .actual_access:  read_only
        .address_space:  global
        .offset:         128
        .size:           8
        .value_kind:     global_buffer
      - .actual_access:  write_only
        .address_space:  global
        .offset:         136
        .size:           8
        .value_kind:     global_buffer
      - .actual_access:  write_only
        .address_space:  global
        .offset:         144
        .size:           8
        .value_kind:     global_buffer
      - .address_space:  global
        .offset:         152
        .size:           8
        .value_kind:     global_buffer
      - .offset:         160
        .size:           4
        .value_kind:     by_value
      - .offset:         164
        .size:           4
        .value_kind:     by_value
      - .offset:         168
        .size:           4
        .value_kind:     by_value
      - .offset:         172
        .size:           4
        .value_kind:     by_value
      - .offset:         176
        .size:           1
        .value_kind:     by_value
      - .offset:         177
        .size:           1
        .value_kind:     by_value
      - .offset:         178
        .size:           1
        .value_kind:     by_value
    .group_segment_fixed_size: 51208
    .kernarg_segment_align: 8
    .kernarg_segment_size: 180
    .language:       OpenCL C
    .language_version:
      - 2
      - 0
    .max_flat_workgroup_size: 512
    .name:           _ZN9rocsparseL36csrgemm_fill_block_per_row_multipassILj512ELj16ELj2048ELj32Ell21rocsparse_complex_numIdEEEvT4_PKS3_S5_NS_24const_host_device_scalarIT5_EEPKT3_S5_PKS7_SB_S5_SD_S8_SB_S5_SD_SB_PS3_PS7_PS9_21rocsparse_index_base_SH_SH_SH_bbb
    .private_segment_fixed_size: 0
    .sgpr_count:     100
    .sgpr_spill_count: 12
    .symbol:         _ZN9rocsparseL36csrgemm_fill_block_per_row_multipassILj512ELj16ELj2048ELj32Ell21rocsparse_complex_numIdEEEvT4_PKS3_S5_NS_24const_host_device_scalarIT5_EEPKT3_S5_PKS7_SB_S5_SD_S8_SB_S5_SD_SB_PS3_PS7_PS9_21rocsparse_index_base_SH_SH_SH_bbb.kd
    .uniform_work_group_size: 1
    .uses_dynamic_stack: false
    .vgpr_count:     60
    .vgpr_spill_count: 0
    .wavefront_size: 64
  - .agpr_count:     0
    .args:
      - .offset:         0
        .size:           8
        .value_kind:     by_value
      - .actual_access:  read_only
        .address_space:  global
        .offset:         8
        .size:           8
        .value_kind:     global_buffer
      - .actual_access:  read_only
        .address_space:  global
        .offset:         16
        .size:           8
        .value_kind:     global_buffer
      - .offset:         24
        .size:           16
        .value_kind:     by_value
      - .actual_access:  read_only
        .address_space:  global
        .offset:         40
        .size:           8
        .value_kind:     global_buffer
      - .actual_access:  read_only
        .address_space:  global
        .offset:         48
        .size:           8
        .value_kind:     global_buffer
      - .actual_access:  read_only
        .address_space:  global
        .offset:         56
        .size:           8
        .value_kind:     global_buffer
      - .actual_access:  read_only
        .address_space:  global
        .offset:         64
        .size:           8
        .value_kind:     global_buffer
      - .actual_access:  read_only
        .address_space:  global
        .offset:         72
        .size:           8
        .value_kind:     global_buffer
      - .actual_access:  read_only
        .address_space:  global
        .offset:         80
        .size:           8
        .value_kind:     global_buffer
      - .offset:         88
        .size:           16
        .value_kind:     by_value
      - .actual_access:  read_only
        .address_space:  global
        .offset:         104
        .size:           8
        .value_kind:     global_buffer
      - .actual_access:  read_only
        .address_space:  global
        .offset:         112
        .size:           8
        .value_kind:     global_buffer
      - .actual_access:  read_only
        .address_space:  global
        .offset:         120
        .size:           8
        .value_kind:     global_buffer
      - .actual_access:  read_only
        .address_space:  global
        .offset:         128
        .size:           8
        .value_kind:     global_buffer
      - .actual_access:  write_only
        .address_space:  global
        .offset:         136
        .size:           8
        .value_kind:     global_buffer
      - .actual_access:  write_only
        .address_space:  global
        .offset:         144
        .size:           8
        .value_kind:     global_buffer
      - .address_space:  global
        .offset:         152
        .size:           8
        .value_kind:     global_buffer
      - .offset:         160
        .size:           4
        .value_kind:     by_value
      - .offset:         164
        .size:           4
        .value_kind:     by_value
      - .offset:         168
        .size:           4
        .value_kind:     by_value
      - .offset:         172
        .size:           4
        .value_kind:     by_value
      - .offset:         176
        .size:           1
        .value_kind:     by_value
      - .offset:         177
        .size:           1
        .value_kind:     by_value
      - .offset:         178
        .size:           1
        .value_kind:     by_value
    .group_segment_fixed_size: 51208
    .kernarg_segment_align: 8
    .kernarg_segment_size: 180
    .language:       OpenCL C
    .language_version:
      - 2
      - 0
    .max_flat_workgroup_size: 512
    .name:           _ZN9rocsparseL36csrgemm_fill_block_per_row_multipassILj512ELj16ELj2048ELj64Ell21rocsparse_complex_numIdEEEvT4_PKS3_S5_NS_24const_host_device_scalarIT5_EEPKT3_S5_PKS7_SB_S5_SD_S8_SB_S5_SD_SB_PS3_PS7_PS9_21rocsparse_index_base_SH_SH_SH_bbb
    .private_segment_fixed_size: 0
    .sgpr_count:     88
    .sgpr_spill_count: 0
    .symbol:         _ZN9rocsparseL36csrgemm_fill_block_per_row_multipassILj512ELj16ELj2048ELj64Ell21rocsparse_complex_numIdEEEvT4_PKS3_S5_NS_24const_host_device_scalarIT5_EEPKT3_S5_PKS7_SB_S5_SD_S8_SB_S5_SD_SB_PS3_PS7_PS9_21rocsparse_index_base_SH_SH_SH_bbb.kd
    .uniform_work_group_size: 1
    .uses_dynamic_stack: false
    .vgpr_count:     59
    .vgpr_spill_count: 0
    .wavefront_size: 64
  - .agpr_count:     0
    .args:
      - .offset:         0
        .size:           4
        .value_kind:     by_value
      - .actual_access:  read_only
        .address_space:  global
        .offset:         8
        .size:           8
        .value_kind:     global_buffer
      - .actual_access:  write_only
        .address_space:  global
        .offset:         16
        .size:           8
        .value_kind:     global_buffer
      - .offset:         24
        .size:           4
        .value_kind:     hidden_block_count_x
      - .offset:         28
        .size:           4
        .value_kind:     hidden_block_count_y
      - .offset:         32
        .size:           4
        .value_kind:     hidden_block_count_z
      - .offset:         36
        .size:           2
        .value_kind:     hidden_group_size_x
      - .offset:         38
        .size:           2
        .value_kind:     hidden_group_size_y
      - .offset:         40
        .size:           2
        .value_kind:     hidden_group_size_z
      - .offset:         42
        .size:           2
        .value_kind:     hidden_remainder_x
      - .offset:         44
        .size:           2
        .value_kind:     hidden_remainder_y
      - .offset:         46
        .size:           2
        .value_kind:     hidden_remainder_z
      - .offset:         64
        .size:           8
        .value_kind:     hidden_global_offset_x
      - .offset:         72
        .size:           8
        .value_kind:     hidden_global_offset_y
      - .offset:         80
        .size:           8
        .value_kind:     hidden_global_offset_z
      - .offset:         88
        .size:           2
        .value_kind:     hidden_grid_dims
    .group_segment_fixed_size: 1024
    .kernarg_segment_align: 8
    .kernarg_segment_size: 280
    .language:       OpenCL C
    .language_version:
      - 2
      - 0
    .max_flat_workgroup_size: 256
    .name:           _ZN9rocsparseL25csrgemm_max_row_nnz_part1ILj256EliEEvT1_PKT0_PS1_
    .private_segment_fixed_size: 0
    .sgpr_count:     15
    .sgpr_spill_count: 0
    .symbol:         _ZN9rocsparseL25csrgemm_max_row_nnz_part1ILj256EliEEvT1_PKT0_PS1_.kd
    .uniform_work_group_size: 1
    .uses_dynamic_stack: false
    .vgpr_count:     10
    .vgpr_spill_count: 0
    .wavefront_size: 64
  - .agpr_count:     0
    .args:
      - .offset:         0
        .size:           4
        .value_kind:     by_value
      - .actual_access:  read_only
        .address_space:  global
        .offset:         8
        .size:           8
        .value_kind:     global_buffer
      - .actual_access:  write_only
        .address_space:  global
        .offset:         16
        .size:           8
        .value_kind:     global_buffer
      - .actual_access:  write_only
        .address_space:  global
        .offset:         24
        .size:           8
        .value_kind:     global_buffer
      - .offset:         32
        .size:           4
        .value_kind:     by_value
      - .offset:         40
        .size:           4
        .value_kind:     hidden_block_count_x
      - .offset:         44
        .size:           4
        .value_kind:     hidden_block_count_y
      - .offset:         48
        .size:           4
        .value_kind:     hidden_block_count_z
      - .offset:         52
        .size:           2
        .value_kind:     hidden_group_size_x
      - .offset:         54
        .size:           2
        .value_kind:     hidden_group_size_y
      - .offset:         56
        .size:           2
        .value_kind:     hidden_group_size_z
      - .offset:         58
        .size:           2
        .value_kind:     hidden_remainder_x
      - .offset:         60
        .size:           2
        .value_kind:     hidden_remainder_y
      - .offset:         62
        .size:           2
        .value_kind:     hidden_remainder_z
      - .offset:         80
        .size:           8
        .value_kind:     hidden_global_offset_x
      - .offset:         88
        .size:           8
        .value_kind:     hidden_global_offset_y
      - .offset:         96
        .size:           8
        .value_kind:     hidden_global_offset_z
      - .offset:         104
        .size:           2
        .value_kind:     hidden_grid_dims
    .group_segment_fixed_size: 11264
    .kernarg_segment_align: 8
    .kernarg_segment_size: 296
    .language:       OpenCL C
    .language_version:
      - 2
      - 0
    .max_flat_workgroup_size: 256
    .name:           _ZN9rocsparseL26csrgemm_group_reduce_part2ILj256ELj11EfliEEvT3_PKT2_PS1_Pij
    .private_segment_fixed_size: 0
    .sgpr_count:     64
    .sgpr_spill_count: 0
    .symbol:         _ZN9rocsparseL26csrgemm_group_reduce_part2ILj256ELj11EfliEEvT3_PKT2_PS1_Pij.kd
    .uniform_work_group_size: 1
    .uses_dynamic_stack: false
    .vgpr_count:     22
    .vgpr_spill_count: 0
    .wavefront_size: 64
  - .agpr_count:     0
    .args:
      - .offset:         0
        .size:           4
        .value_kind:     by_value
      - .offset:         4
        .size:           4
        .value_kind:     by_value
      - .actual_access:  read_only
        .address_space:  global
        .offset:         8
        .size:           8
        .value_kind:     global_buffer
      - .actual_access:  read_only
        .address_space:  global
        .offset:         16
        .size:           8
        .value_kind:     global_buffer
      - .offset:         24
        .size:           8
        .value_kind:     by_value
      - .actual_access:  read_only
        .address_space:  global
        .offset:         32
        .size:           8
        .value_kind:     global_buffer
      - .actual_access:  read_only
        .address_space:  global
        .offset:         40
        .size:           8
        .value_kind:     global_buffer
      - .actual_access:  read_only
        .address_space:  global
        .offset:         48
        .size:           8
        .value_kind:     global_buffer
      - .actual_access:  read_only
        .address_space:  global
        .offset:         56
        .size:           8
        .value_kind:     global_buffer
      - .actual_access:  read_only
        .address_space:  global
        .offset:         64
        .size:           8
        .value_kind:     global_buffer
      - .actual_access:  read_only
        .address_space:  global
        .offset:         72
        .size:           8
        .value_kind:     global_buffer
      - .offset:         80
        .size:           8
        .value_kind:     by_value
      - .actual_access:  read_only
        .address_space:  global
        .offset:         88
        .size:           8
        .value_kind:     global_buffer
      - .actual_access:  read_only
        .address_space:  global
        .offset:         96
        .size:           8
        .value_kind:     global_buffer
      - .actual_access:  read_only
        .address_space:  global
        .offset:         104
        .size:           8
        .value_kind:     global_buffer
      - .actual_access:  read_only
        .address_space:  global
        .offset:         112
        .size:           8
        .value_kind:     global_buffer
      - .actual_access:  write_only
        .address_space:  global
        .offset:         120
        .size:           8
        .value_kind:     global_buffer
      - .actual_access:  write_only
        .address_space:  global
        .offset:         128
        .size:           8
        .value_kind:     global_buffer
      - .offset:         136
        .size:           4
        .value_kind:     by_value
      - .offset:         140
        .size:           4
        .value_kind:     by_value
      - .offset:         144
        .size:           4
        .value_kind:     by_value
      - .offset:         148
        .size:           4
        .value_kind:     by_value
      - .offset:         152
        .size:           1
        .value_kind:     by_value
      - .offset:         153
        .size:           1
        .value_kind:     by_value
      - .offset:         154
        .size:           1
        .value_kind:     by_value
    .group_segment_fixed_size: 4096
    .kernarg_segment_align: 8
    .kernarg_segment_size: 156
    .language:       OpenCL C
    .language_version:
      - 2
      - 0
    .max_flat_workgroup_size: 256
    .name:           _ZN9rocsparseL23csrgemm_fill_wf_per_rowILj256ELj8ELj16ELj137ElifEEvT4_S1_PKS1_S3_NS_24const_host_device_scalarIT5_EEPKT3_S3_PKS5_S9_S3_SB_S6_S9_S3_SB_S9_PS1_PS5_21rocsparse_index_base_SE_SE_SE_bbb
    .private_segment_fixed_size: 0
    .sgpr_count:     56
    .sgpr_spill_count: 0
    .symbol:         _ZN9rocsparseL23csrgemm_fill_wf_per_rowILj256ELj8ELj16ELj137ElifEEvT4_S1_PKS1_S3_NS_24const_host_device_scalarIT5_EEPKT3_S3_PKS5_S9_S3_SB_S6_S9_S3_SB_S9_PS1_PS5_21rocsparse_index_base_SE_SE_SE_bbb.kd
    .uniform_work_group_size: 1
    .uses_dynamic_stack: false
    .vgpr_count:     26
    .vgpr_spill_count: 0
    .wavefront_size: 64
  - .agpr_count:     0
    .args:
      - .offset:         0
        .size:           4
        .value_kind:     by_value
      - .offset:         4
        .size:           4
        .value_kind:     by_value
      - .actual_access:  read_only
        .address_space:  global
        .offset:         8
        .size:           8
        .value_kind:     global_buffer
      - .actual_access:  read_only
        .address_space:  global
        .offset:         16
        .size:           8
        .value_kind:     global_buffer
      - .offset:         24
        .size:           8
        .value_kind:     by_value
      - .actual_access:  read_only
        .address_space:  global
        .offset:         32
        .size:           8
        .value_kind:     global_buffer
      - .actual_access:  read_only
        .address_space:  global
        .offset:         40
        .size:           8
        .value_kind:     global_buffer
      - .actual_access:  read_only
        .address_space:  global
        .offset:         48
        .size:           8
        .value_kind:     global_buffer
      - .actual_access:  read_only
        .address_space:  global
        .offset:         56
        .size:           8
        .value_kind:     global_buffer
      - .actual_access:  read_only
        .address_space:  global
        .offset:         64
        .size:           8
        .value_kind:     global_buffer
      - .actual_access:  read_only
        .address_space:  global
        .offset:         72
        .size:           8
        .value_kind:     global_buffer
      - .offset:         80
        .size:           8
        .value_kind:     by_value
      - .actual_access:  read_only
        .address_space:  global
        .offset:         88
        .size:           8
        .value_kind:     global_buffer
      - .actual_access:  read_only
        .address_space:  global
        .offset:         96
        .size:           8
        .value_kind:     global_buffer
      - .actual_access:  read_only
        .address_space:  global
        .offset:         104
        .size:           8
        .value_kind:     global_buffer
      - .actual_access:  read_only
        .address_space:  global
        .offset:         112
        .size:           8
        .value_kind:     global_buffer
      - .actual_access:  write_only
        .address_space:  global
        .offset:         120
        .size:           8
        .value_kind:     global_buffer
      - .actual_access:  write_only
        .address_space:  global
        .offset:         128
        .size:           8
        .value_kind:     global_buffer
      - .offset:         136
        .size:           4
        .value_kind:     by_value
      - .offset:         140
        .size:           4
        .value_kind:     by_value
      - .offset:         144
        .size:           4
        .value_kind:     by_value
      - .offset:         148
        .size:           4
        .value_kind:     by_value
      - .offset:         152
        .size:           1
        .value_kind:     by_value
      - .offset:         153
        .size:           1
        .value_kind:     by_value
      - .offset:         154
        .size:           1
        .value_kind:     by_value
    .group_segment_fixed_size: 4096
    .kernarg_segment_align: 8
    .kernarg_segment_size: 156
    .language:       OpenCL C
    .language_version:
      - 2
      - 0
    .max_flat_workgroup_size: 256
    .name:           _ZN9rocsparseL23csrgemm_fill_wf_per_rowILj256ELj16ELj32ELj137ElifEEvT4_S1_PKS1_S3_NS_24const_host_device_scalarIT5_EEPKT3_S3_PKS5_S9_S3_SB_S6_S9_S3_SB_S9_PS1_PS5_21rocsparse_index_base_SE_SE_SE_bbb
    .private_segment_fixed_size: 0
    .sgpr_count:     56
    .sgpr_spill_count: 0
    .symbol:         _ZN9rocsparseL23csrgemm_fill_wf_per_rowILj256ELj16ELj32ELj137ElifEEvT4_S1_PKS1_S3_NS_24const_host_device_scalarIT5_EEPKT3_S3_PKS5_S9_S3_SB_S6_S9_S3_SB_S9_PS1_PS5_21rocsparse_index_base_SE_SE_SE_bbb.kd
    .uniform_work_group_size: 1
    .uses_dynamic_stack: false
    .vgpr_count:     26
    .vgpr_spill_count: 0
    .wavefront_size: 64
  - .agpr_count:     0
    .args:
      - .offset:         0
        .size:           4
        .value_kind:     by_value
      - .actual_access:  read_only
        .address_space:  global
        .offset:         8
        .size:           8
        .value_kind:     global_buffer
      - .actual_access:  read_only
        .address_space:  global
        .offset:         16
        .size:           8
        .value_kind:     global_buffer
      - .offset:         24
        .size:           8
        .value_kind:     by_value
      - .actual_access:  read_only
        .address_space:  global
        .offset:         32
        .size:           8
        .value_kind:     global_buffer
      - .actual_access:  read_only
        .address_space:  global
        .offset:         40
        .size:           8
        .value_kind:     global_buffer
      - .actual_access:  read_only
        .address_space:  global
        .offset:         48
        .size:           8
        .value_kind:     global_buffer
      - .actual_access:  read_only
        .address_space:  global
        .offset:         56
        .size:           8
        .value_kind:     global_buffer
      - .actual_access:  read_only
        .address_space:  global
        .offset:         64
        .size:           8
        .value_kind:     global_buffer
      - .actual_access:  read_only
        .address_space:  global
        .offset:         72
        .size:           8
        .value_kind:     global_buffer
      - .offset:         80
        .size:           8
        .value_kind:     by_value
      - .actual_access:  read_only
        .address_space:  global
        .offset:         88
        .size:           8
        .value_kind:     global_buffer
      - .actual_access:  read_only
        .address_space:  global
        .offset:         96
        .size:           8
        .value_kind:     global_buffer
      - .actual_access:  read_only
        .address_space:  global
        .offset:         104
        .size:           8
        .value_kind:     global_buffer
      - .actual_access:  read_only
        .address_space:  global
        .offset:         112
        .size:           8
        .value_kind:     global_buffer
      - .actual_access:  write_only
        .address_space:  global
        .offset:         120
        .size:           8
        .value_kind:     global_buffer
      - .actual_access:  write_only
        .address_space:  global
        .offset:         128
        .size:           8
        .value_kind:     global_buffer
      - .offset:         136
        .size:           4
        .value_kind:     by_value
      - .offset:         140
        .size:           4
        .value_kind:     by_value
      - .offset:         144
        .size:           4
        .value_kind:     by_value
      - .offset:         148
        .size:           4
        .value_kind:     by_value
      - .offset:         152
        .size:           1
        .value_kind:     by_value
      - .offset:         153
        .size:           1
        .value_kind:     by_value
      - .offset:         154
        .size:           1
        .value_kind:     by_value
    .group_segment_fixed_size: 0
    .kernarg_segment_align: 8
    .kernarg_segment_size: 156
    .language:       OpenCL C
    .language_version:
      - 2
      - 0
    .max_flat_workgroup_size: 128
    .name:           _ZN9rocsparseL26csrgemm_fill_block_per_rowILj128ELj16ELj256ELj137ELj32ElifEEvT5_PKS1_S3_NS_24const_host_device_scalarIT6_EEPKT4_S3_PKS5_S9_S3_SB_S6_S9_S3_SB_S9_PS1_PS5_21rocsparse_index_base_SE_SE_SE_bbb
    .private_segment_fixed_size: 0
    .sgpr_count:     60
    .sgpr_spill_count: 0
    .symbol:         _ZN9rocsparseL26csrgemm_fill_block_per_rowILj128ELj16ELj256ELj137ELj32ElifEEvT5_PKS1_S3_NS_24const_host_device_scalarIT6_EEPKT4_S3_PKS5_S9_S3_SB_S6_S9_S3_SB_S9_PS1_PS5_21rocsparse_index_base_SE_SE_SE_bbb.kd
    .uniform_work_group_size: 1
    .uses_dynamic_stack: false
    .vgpr_count:     22
    .vgpr_spill_count: 0
    .wavefront_size: 64
  - .agpr_count:     0
    .args:
      - .offset:         0
        .size:           4
        .value_kind:     by_value
      - .actual_access:  read_only
        .address_space:  global
        .offset:         8
        .size:           8
        .value_kind:     global_buffer
      - .actual_access:  read_only
        .address_space:  global
        .offset:         16
        .size:           8
        .value_kind:     global_buffer
      - .offset:         24
        .size:           8
        .value_kind:     by_value
      - .actual_access:  read_only
        .address_space:  global
        .offset:         32
        .size:           8
        .value_kind:     global_buffer
      - .actual_access:  read_only
        .address_space:  global
        .offset:         40
        .size:           8
        .value_kind:     global_buffer
      - .actual_access:  read_only
        .address_space:  global
        .offset:         48
        .size:           8
        .value_kind:     global_buffer
      - .actual_access:  read_only
        .address_space:  global
        .offset:         56
        .size:           8
        .value_kind:     global_buffer
      - .actual_access:  read_only
        .address_space:  global
        .offset:         64
        .size:           8
        .value_kind:     global_buffer
      - .actual_access:  read_only
        .address_space:  global
        .offset:         72
        .size:           8
        .value_kind:     global_buffer
      - .offset:         80
        .size:           8
        .value_kind:     by_value
      - .actual_access:  read_only
        .address_space:  global
        .offset:         88
        .size:           8
        .value_kind:     global_buffer
      - .actual_access:  read_only
        .address_space:  global
        .offset:         96
        .size:           8
        .value_kind:     global_buffer
      - .actual_access:  read_only
        .address_space:  global
        .offset:         104
        .size:           8
        .value_kind:     global_buffer
      - .actual_access:  read_only
        .address_space:  global
        .offset:         112
        .size:           8
        .value_kind:     global_buffer
      - .actual_access:  write_only
        .address_space:  global
        .offset:         120
        .size:           8
        .value_kind:     global_buffer
      - .actual_access:  write_only
        .address_space:  global
        .offset:         128
        .size:           8
        .value_kind:     global_buffer
      - .offset:         136
        .size:           4
        .value_kind:     by_value
      - .offset:         140
        .size:           4
        .value_kind:     by_value
      - .offset:         144
        .size:           4
        .value_kind:     by_value
      - .offset:         148
        .size:           4
        .value_kind:     by_value
      - .offset:         152
        .size:           1
        .value_kind:     by_value
      - .offset:         153
        .size:           1
        .value_kind:     by_value
      - .offset:         154
        .size:           1
        .value_kind:     by_value
    .group_segment_fixed_size: 0
    .kernarg_segment_align: 8
    .kernarg_segment_size: 156
    .language:       OpenCL C
    .language_version:
      - 2
      - 0
    .max_flat_workgroup_size: 128
    .name:           _ZN9rocsparseL26csrgemm_fill_block_per_rowILj128ELj16ELj256ELj137ELj64ElifEEvT5_PKS1_S3_NS_24const_host_device_scalarIT6_EEPKT4_S3_PKS5_S9_S3_SB_S6_S9_S3_SB_S9_PS1_PS5_21rocsparse_index_base_SE_SE_SE_bbb
    .private_segment_fixed_size: 0
    .sgpr_count:     60
    .sgpr_spill_count: 0
    .symbol:         _ZN9rocsparseL26csrgemm_fill_block_per_rowILj128ELj16ELj256ELj137ELj64ElifEEvT5_PKS1_S3_NS_24const_host_device_scalarIT6_EEPKT4_S3_PKS5_S9_S3_SB_S6_S9_S3_SB_S9_PS1_PS5_21rocsparse_index_base_SE_SE_SE_bbb.kd
    .uniform_work_group_size: 1
    .uses_dynamic_stack: false
    .vgpr_count:     22
    .vgpr_spill_count: 0
    .wavefront_size: 64
  - .agpr_count:     0
    .args:
      - .offset:         0
        .size:           4
        .value_kind:     by_value
      - .actual_access:  read_only
        .address_space:  global
        .offset:         8
        .size:           8
        .value_kind:     global_buffer
      - .actual_access:  read_only
        .address_space:  global
        .offset:         16
        .size:           8
        .value_kind:     global_buffer
      - .offset:         24
        .size:           8
        .value_kind:     by_value
      - .actual_access:  read_only
        .address_space:  global
        .offset:         32
        .size:           8
        .value_kind:     global_buffer
      - .actual_access:  read_only
        .address_space:  global
        .offset:         40
        .size:           8
        .value_kind:     global_buffer
      - .actual_access:  read_only
        .address_space:  global
        .offset:         48
        .size:           8
        .value_kind:     global_buffer
      - .actual_access:  read_only
        .address_space:  global
        .offset:         56
        .size:           8
        .value_kind:     global_buffer
      - .actual_access:  read_only
        .address_space:  global
        .offset:         64
        .size:           8
        .value_kind:     global_buffer
      - .actual_access:  read_only
        .address_space:  global
        .offset:         72
        .size:           8
        .value_kind:     global_buffer
      - .offset:         80
        .size:           8
        .value_kind:     by_value
      - .actual_access:  read_only
        .address_space:  global
        .offset:         88
        .size:           8
        .value_kind:     global_buffer
      - .actual_access:  read_only
        .address_space:  global
        .offset:         96
        .size:           8
        .value_kind:     global_buffer
      - .actual_access:  read_only
        .address_space:  global
        .offset:         104
        .size:           8
        .value_kind:     global_buffer
      - .actual_access:  read_only
        .address_space:  global
        .offset:         112
        .size:           8
        .value_kind:     global_buffer
      - .actual_access:  write_only
        .address_space:  global
        .offset:         120
        .size:           8
        .value_kind:     global_buffer
      - .actual_access:  write_only
        .address_space:  global
        .offset:         128
        .size:           8
        .value_kind:     global_buffer
      - .offset:         136
        .size:           4
        .value_kind:     by_value
      - .offset:         140
        .size:           4
        .value_kind:     by_value
      - .offset:         144
        .size:           4
        .value_kind:     by_value
      - .offset:         148
        .size:           4
        .value_kind:     by_value
      - .offset:         152
        .size:           1
        .value_kind:     by_value
      - .offset:         153
        .size:           1
        .value_kind:     by_value
      - .offset:         154
        .size:           1
        .value_kind:     by_value
    .group_segment_fixed_size: 0
    .kernarg_segment_align: 8
    .kernarg_segment_size: 156
    .language:       OpenCL C
    .language_version:
      - 2
      - 0
    .max_flat_workgroup_size: 256
    .name:           _ZN9rocsparseL26csrgemm_fill_block_per_rowILj256ELj32ELj512ELj137ELj32ElifEEvT5_PKS1_S3_NS_24const_host_device_scalarIT6_EEPKT4_S3_PKS5_S9_S3_SB_S6_S9_S3_SB_S9_PS1_PS5_21rocsparse_index_base_SE_SE_SE_bbb
    .private_segment_fixed_size: 0
    .sgpr_count:     60
    .sgpr_spill_count: 0
    .symbol:         _ZN9rocsparseL26csrgemm_fill_block_per_rowILj256ELj32ELj512ELj137ELj32ElifEEvT5_PKS1_S3_NS_24const_host_device_scalarIT6_EEPKT4_S3_PKS5_S9_S3_SB_S6_S9_S3_SB_S9_PS1_PS5_21rocsparse_index_base_SE_SE_SE_bbb.kd
    .uniform_work_group_size: 1
    .uses_dynamic_stack: false
    .vgpr_count:     22
    .vgpr_spill_count: 0
    .wavefront_size: 64
  - .agpr_count:     0
    .args:
      - .offset:         0
        .size:           4
        .value_kind:     by_value
      - .actual_access:  read_only
        .address_space:  global
        .offset:         8
        .size:           8
        .value_kind:     global_buffer
      - .actual_access:  read_only
        .address_space:  global
        .offset:         16
        .size:           8
        .value_kind:     global_buffer
      - .offset:         24
        .size:           8
        .value_kind:     by_value
      - .actual_access:  read_only
        .address_space:  global
        .offset:         32
        .size:           8
        .value_kind:     global_buffer
      - .actual_access:  read_only
        .address_space:  global
        .offset:         40
        .size:           8
        .value_kind:     global_buffer
      - .actual_access:  read_only
        .address_space:  global
        .offset:         48
        .size:           8
        .value_kind:     global_buffer
      - .actual_access:  read_only
        .address_space:  global
        .offset:         56
        .size:           8
        .value_kind:     global_buffer
      - .actual_access:  read_only
        .address_space:  global
        .offset:         64
        .size:           8
        .value_kind:     global_buffer
      - .actual_access:  read_only
        .address_space:  global
        .offset:         72
        .size:           8
        .value_kind:     global_buffer
      - .offset:         80
        .size:           8
        .value_kind:     by_value
      - .actual_access:  read_only
        .address_space:  global
        .offset:         88
        .size:           8
        .value_kind:     global_buffer
      - .actual_access:  read_only
        .address_space:  global
        .offset:         96
        .size:           8
        .value_kind:     global_buffer
      - .actual_access:  read_only
        .address_space:  global
        .offset:         104
        .size:           8
        .value_kind:     global_buffer
      - .actual_access:  read_only
        .address_space:  global
        .offset:         112
        .size:           8
        .value_kind:     global_buffer
      - .actual_access:  write_only
        .address_space:  global
        .offset:         120
        .size:           8
        .value_kind:     global_buffer
      - .actual_access:  write_only
        .address_space:  global
        .offset:         128
        .size:           8
        .value_kind:     global_buffer
      - .offset:         136
        .size:           4
        .value_kind:     by_value
      - .offset:         140
        .size:           4
        .value_kind:     by_value
      - .offset:         144
        .size:           4
        .value_kind:     by_value
      - .offset:         148
        .size:           4
        .value_kind:     by_value
      - .offset:         152
        .size:           1
        .value_kind:     by_value
      - .offset:         153
        .size:           1
        .value_kind:     by_value
      - .offset:         154
        .size:           1
        .value_kind:     by_value
    .group_segment_fixed_size: 0
    .kernarg_segment_align: 8
    .kernarg_segment_size: 156
    .language:       OpenCL C
    .language_version:
      - 2
      - 0
    .max_flat_workgroup_size: 256
    .name:           _ZN9rocsparseL26csrgemm_fill_block_per_rowILj256ELj32ELj512ELj137ELj64ElifEEvT5_PKS1_S3_NS_24const_host_device_scalarIT6_EEPKT4_S3_PKS5_S9_S3_SB_S6_S9_S3_SB_S9_PS1_PS5_21rocsparse_index_base_SE_SE_SE_bbb
    .private_segment_fixed_size: 0
    .sgpr_count:     60
    .sgpr_spill_count: 0
    .symbol:         _ZN9rocsparseL26csrgemm_fill_block_per_rowILj256ELj32ELj512ELj137ELj64ElifEEvT5_PKS1_S3_NS_24const_host_device_scalarIT6_EEPKT4_S3_PKS5_S9_S3_SB_S6_S9_S3_SB_S9_PS1_PS5_21rocsparse_index_base_SE_SE_SE_bbb.kd
    .uniform_work_group_size: 1
    .uses_dynamic_stack: false
    .vgpr_count:     22
    .vgpr_spill_count: 0
    .wavefront_size: 64
  - .agpr_count:     0
    .args:
      - .offset:         0
        .size:           4
        .value_kind:     by_value
      - .actual_access:  read_only
        .address_space:  global
        .offset:         8
        .size:           8
        .value_kind:     global_buffer
      - .actual_access:  read_only
        .address_space:  global
        .offset:         16
        .size:           8
        .value_kind:     global_buffer
      - .offset:         24
        .size:           8
        .value_kind:     by_value
      - .actual_access:  read_only
        .address_space:  global
        .offset:         32
        .size:           8
        .value_kind:     global_buffer
      - .actual_access:  read_only
        .address_space:  global
        .offset:         40
        .size:           8
        .value_kind:     global_buffer
      - .actual_access:  read_only
        .address_space:  global
        .offset:         48
        .size:           8
        .value_kind:     global_buffer
      - .actual_access:  read_only
        .address_space:  global
        .offset:         56
        .size:           8
        .value_kind:     global_buffer
      - .actual_access:  read_only
        .address_space:  global
        .offset:         64
        .size:           8
        .value_kind:     global_buffer
      - .actual_access:  read_only
        .address_space:  global
        .offset:         72
        .size:           8
        .value_kind:     global_buffer
      - .offset:         80
        .size:           8
        .value_kind:     by_value
      - .actual_access:  read_only
        .address_space:  global
        .offset:         88
        .size:           8
        .value_kind:     global_buffer
      - .actual_access:  read_only
        .address_space:  global
        .offset:         96
        .size:           8
        .value_kind:     global_buffer
      - .actual_access:  read_only
        .address_space:  global
        .offset:         104
        .size:           8
        .value_kind:     global_buffer
      - .actual_access:  read_only
        .address_space:  global
        .offset:         112
        .size:           8
        .value_kind:     global_buffer
      - .actual_access:  write_only
        .address_space:  global
        .offset:         120
        .size:           8
        .value_kind:     global_buffer
      - .actual_access:  write_only
        .address_space:  global
        .offset:         128
        .size:           8
        .value_kind:     global_buffer
      - .offset:         136
        .size:           4
        .value_kind:     by_value
      - .offset:         140
        .size:           4
        .value_kind:     by_value
      - .offset:         144
        .size:           4
        .value_kind:     by_value
      - .offset:         148
        .size:           4
        .value_kind:     by_value
      - .offset:         152
        .size:           1
        .value_kind:     by_value
      - .offset:         153
        .size:           1
        .value_kind:     by_value
      - .offset:         154
        .size:           1
        .value_kind:     by_value
    .group_segment_fixed_size: 0
    .kernarg_segment_align: 8
    .kernarg_segment_size: 156
    .language:       OpenCL C
    .language_version:
      - 2
      - 0
    .max_flat_workgroup_size: 512
    .name:           _ZN9rocsparseL26csrgemm_fill_block_per_rowILj512ELj32ELj1024ELj137ELj32ElifEEvT5_PKS1_S3_NS_24const_host_device_scalarIT6_EEPKT4_S3_PKS5_S9_S3_SB_S6_S9_S3_SB_S9_PS1_PS5_21rocsparse_index_base_SE_SE_SE_bbb
    .private_segment_fixed_size: 0
    .sgpr_count:     58
    .sgpr_spill_count: 0
    .symbol:         _ZN9rocsparseL26csrgemm_fill_block_per_rowILj512ELj32ELj1024ELj137ELj32ElifEEvT5_PKS1_S3_NS_24const_host_device_scalarIT6_EEPKT4_S3_PKS5_S9_S3_SB_S6_S9_S3_SB_S9_PS1_PS5_21rocsparse_index_base_SE_SE_SE_bbb.kd
    .uniform_work_group_size: 1
    .uses_dynamic_stack: false
    .vgpr_count:     24
    .vgpr_spill_count: 0
    .wavefront_size: 64
  - .agpr_count:     0
    .args:
      - .offset:         0
        .size:           4
        .value_kind:     by_value
      - .actual_access:  read_only
        .address_space:  global
        .offset:         8
        .size:           8
        .value_kind:     global_buffer
      - .actual_access:  read_only
        .address_space:  global
        .offset:         16
        .size:           8
        .value_kind:     global_buffer
      - .offset:         24
        .size:           8
        .value_kind:     by_value
      - .actual_access:  read_only
        .address_space:  global
        .offset:         32
        .size:           8
        .value_kind:     global_buffer
      - .actual_access:  read_only
        .address_space:  global
        .offset:         40
        .size:           8
        .value_kind:     global_buffer
      - .actual_access:  read_only
        .address_space:  global
        .offset:         48
        .size:           8
        .value_kind:     global_buffer
      - .actual_access:  read_only
        .address_space:  global
        .offset:         56
        .size:           8
        .value_kind:     global_buffer
      - .actual_access:  read_only
        .address_space:  global
        .offset:         64
        .size:           8
        .value_kind:     global_buffer
      - .actual_access:  read_only
        .address_space:  global
        .offset:         72
        .size:           8
        .value_kind:     global_buffer
      - .offset:         80
        .size:           8
        .value_kind:     by_value
      - .actual_access:  read_only
        .address_space:  global
        .offset:         88
        .size:           8
        .value_kind:     global_buffer
      - .actual_access:  read_only
        .address_space:  global
        .offset:         96
        .size:           8
        .value_kind:     global_buffer
      - .actual_access:  read_only
        .address_space:  global
        .offset:         104
        .size:           8
        .value_kind:     global_buffer
      - .actual_access:  read_only
        .address_space:  global
        .offset:         112
        .size:           8
        .value_kind:     global_buffer
      - .actual_access:  write_only
        .address_space:  global
        .offset:         120
        .size:           8
        .value_kind:     global_buffer
      - .actual_access:  write_only
        .address_space:  global
        .offset:         128
        .size:           8
        .value_kind:     global_buffer
      - .offset:         136
        .size:           4
        .value_kind:     by_value
      - .offset:         140
        .size:           4
        .value_kind:     by_value
      - .offset:         144
        .size:           4
        .value_kind:     by_value
      - .offset:         148
        .size:           4
        .value_kind:     by_value
      - .offset:         152
        .size:           1
        .value_kind:     by_value
      - .offset:         153
        .size:           1
        .value_kind:     by_value
      - .offset:         154
        .size:           1
        .value_kind:     by_value
    .group_segment_fixed_size: 0
    .kernarg_segment_align: 8
    .kernarg_segment_size: 156
    .language:       OpenCL C
    .language_version:
      - 2
      - 0
    .max_flat_workgroup_size: 512
    .name:           _ZN9rocsparseL26csrgemm_fill_block_per_rowILj512ELj32ELj1024ELj137ELj64ElifEEvT5_PKS1_S3_NS_24const_host_device_scalarIT6_EEPKT4_S3_PKS5_S9_S3_SB_S6_S9_S3_SB_S9_PS1_PS5_21rocsparse_index_base_SE_SE_SE_bbb
    .private_segment_fixed_size: 0
    .sgpr_count:     58
    .sgpr_spill_count: 0
    .symbol:         _ZN9rocsparseL26csrgemm_fill_block_per_rowILj512ELj32ELj1024ELj137ELj64ElifEEvT5_PKS1_S3_NS_24const_host_device_scalarIT6_EEPKT4_S3_PKS5_S9_S3_SB_S6_S9_S3_SB_S9_PS1_PS5_21rocsparse_index_base_SE_SE_SE_bbb.kd
    .uniform_work_group_size: 1
    .uses_dynamic_stack: false
    .vgpr_count:     22
    .vgpr_spill_count: 0
    .wavefront_size: 64
  - .agpr_count:     0
    .args:
      - .offset:         0
        .size:           4
        .value_kind:     by_value
      - .actual_access:  read_only
        .address_space:  global
        .offset:         8
        .size:           8
        .value_kind:     global_buffer
      - .actual_access:  read_only
        .address_space:  global
        .offset:         16
        .size:           8
        .value_kind:     global_buffer
      - .offset:         24
        .size:           8
        .value_kind:     by_value
      - .actual_access:  read_only
        .address_space:  global
        .offset:         32
        .size:           8
        .value_kind:     global_buffer
      - .actual_access:  read_only
        .address_space:  global
        .offset:         40
        .size:           8
        .value_kind:     global_buffer
      - .actual_access:  read_only
        .address_space:  global
        .offset:         48
        .size:           8
        .value_kind:     global_buffer
      - .actual_access:  read_only
        .address_space:  global
        .offset:         56
        .size:           8
        .value_kind:     global_buffer
      - .actual_access:  read_only
        .address_space:  global
        .offset:         64
        .size:           8
        .value_kind:     global_buffer
      - .actual_access:  read_only
        .address_space:  global
        .offset:         72
        .size:           8
        .value_kind:     global_buffer
      - .offset:         80
        .size:           8
        .value_kind:     by_value
      - .actual_access:  read_only
        .address_space:  global
        .offset:         88
        .size:           8
        .value_kind:     global_buffer
      - .actual_access:  read_only
        .address_space:  global
        .offset:         96
        .size:           8
        .value_kind:     global_buffer
      - .actual_access:  read_only
        .address_space:  global
        .offset:         104
        .size:           8
        .value_kind:     global_buffer
      - .actual_access:  read_only
        .address_space:  global
        .offset:         112
        .size:           8
        .value_kind:     global_buffer
      - .actual_access:  write_only
        .address_space:  global
        .offset:         120
        .size:           8
        .value_kind:     global_buffer
      - .actual_access:  write_only
        .address_space:  global
        .offset:         128
        .size:           8
        .value_kind:     global_buffer
      - .offset:         136
        .size:           4
        .value_kind:     by_value
      - .offset:         140
        .size:           4
        .value_kind:     by_value
      - .offset:         144
        .size:           4
        .value_kind:     by_value
      - .offset:         148
        .size:           4
        .value_kind:     by_value
      - .offset:         152
        .size:           1
        .value_kind:     by_value
      - .offset:         153
        .size:           1
        .value_kind:     by_value
      - .offset:         154
        .size:           1
        .value_kind:     by_value
    .group_segment_fixed_size: 0
    .kernarg_segment_align: 8
    .kernarg_segment_size: 156
    .language:       OpenCL C
    .language_version:
      - 2
      - 0
    .max_flat_workgroup_size: 1024
    .name:           _ZN9rocsparseL26csrgemm_fill_block_per_rowILj1024ELj32ELj2048ELj137ELj32ElifEEvT5_PKS1_S3_NS_24const_host_device_scalarIT6_EEPKT4_S3_PKS5_S9_S3_SB_S6_S9_S3_SB_S9_PS1_PS5_21rocsparse_index_base_SE_SE_SE_bbb
    .private_segment_fixed_size: 0
    .sgpr_count:     84
    .sgpr_spill_count: 0
    .symbol:         _ZN9rocsparseL26csrgemm_fill_block_per_rowILj1024ELj32ELj2048ELj137ELj32ElifEEvT5_PKS1_S3_NS_24const_host_device_scalarIT6_EEPKT4_S3_PKS5_S9_S3_SB_S6_S9_S3_SB_S9_PS1_PS5_21rocsparse_index_base_SE_SE_SE_bbb.kd
    .uniform_work_group_size: 1
    .uses_dynamic_stack: false
    .vgpr_count:     24
    .vgpr_spill_count: 0
    .wavefront_size: 64
  - .agpr_count:     0
    .args:
      - .offset:         0
        .size:           4
        .value_kind:     by_value
      - .actual_access:  read_only
        .address_space:  global
        .offset:         8
        .size:           8
        .value_kind:     global_buffer
      - .actual_access:  read_only
        .address_space:  global
        .offset:         16
        .size:           8
        .value_kind:     global_buffer
      - .offset:         24
        .size:           8
        .value_kind:     by_value
      - .actual_access:  read_only
        .address_space:  global
        .offset:         32
        .size:           8
        .value_kind:     global_buffer
      - .actual_access:  read_only
        .address_space:  global
        .offset:         40
        .size:           8
        .value_kind:     global_buffer
      - .actual_access:  read_only
        .address_space:  global
        .offset:         48
        .size:           8
        .value_kind:     global_buffer
      - .actual_access:  read_only
        .address_space:  global
        .offset:         56
        .size:           8
        .value_kind:     global_buffer
      - .actual_access:  read_only
        .address_space:  global
        .offset:         64
        .size:           8
        .value_kind:     global_buffer
      - .actual_access:  read_only
        .address_space:  global
        .offset:         72
        .size:           8
        .value_kind:     global_buffer
      - .offset:         80
        .size:           8
        .value_kind:     by_value
      - .actual_access:  read_only
        .address_space:  global
        .offset:         88
        .size:           8
        .value_kind:     global_buffer
      - .actual_access:  read_only
        .address_space:  global
        .offset:         96
        .size:           8
        .value_kind:     global_buffer
      - .actual_access:  read_only
        .address_space:  global
        .offset:         104
        .size:           8
        .value_kind:     global_buffer
      - .actual_access:  read_only
        .address_space:  global
        .offset:         112
        .size:           8
        .value_kind:     global_buffer
      - .actual_access:  write_only
        .address_space:  global
        .offset:         120
        .size:           8
        .value_kind:     global_buffer
      - .actual_access:  write_only
        .address_space:  global
        .offset:         128
        .size:           8
        .value_kind:     global_buffer
      - .offset:         136
        .size:           4
        .value_kind:     by_value
      - .offset:         140
        .size:           4
        .value_kind:     by_value
      - .offset:         144
        .size:           4
        .value_kind:     by_value
      - .offset:         148
        .size:           4
        .value_kind:     by_value
      - .offset:         152
        .size:           1
        .value_kind:     by_value
      - .offset:         153
        .size:           1
        .value_kind:     by_value
      - .offset:         154
        .size:           1
        .value_kind:     by_value
    .group_segment_fixed_size: 0
    .kernarg_segment_align: 8
    .kernarg_segment_size: 156
    .language:       OpenCL C
    .language_version:
      - 2
      - 0
    .max_flat_workgroup_size: 1024
    .name:           _ZN9rocsparseL26csrgemm_fill_block_per_rowILj1024ELj32ELj2048ELj137ELj64ElifEEvT5_PKS1_S3_NS_24const_host_device_scalarIT6_EEPKT4_S3_PKS5_S9_S3_SB_S6_S9_S3_SB_S9_PS1_PS5_21rocsparse_index_base_SE_SE_SE_bbb
    .private_segment_fixed_size: 0
    .sgpr_count:     58
    .sgpr_spill_count: 0
    .symbol:         _ZN9rocsparseL26csrgemm_fill_block_per_rowILj1024ELj32ELj2048ELj137ELj64ElifEEvT5_PKS1_S3_NS_24const_host_device_scalarIT6_EEPKT4_S3_PKS5_S9_S3_SB_S6_S9_S3_SB_S9_PS1_PS5_21rocsparse_index_base_SE_SE_SE_bbb.kd
    .uniform_work_group_size: 1
    .uses_dynamic_stack: false
    .vgpr_count:     22
    .vgpr_spill_count: 0
    .wavefront_size: 64
  - .agpr_count:     0
    .args:
      - .offset:         0
        .size:           4
        .value_kind:     by_value
      - .actual_access:  read_only
        .address_space:  global
        .offset:         8
        .size:           8
        .value_kind:     global_buffer
      - .actual_access:  read_only
        .address_space:  global
        .offset:         16
        .size:           8
        .value_kind:     global_buffer
      - .offset:         24
        .size:           8
        .value_kind:     by_value
      - .actual_access:  read_only
        .address_space:  global
        .offset:         32
        .size:           8
        .value_kind:     global_buffer
      - .actual_access:  read_only
        .address_space:  global
        .offset:         40
        .size:           8
        .value_kind:     global_buffer
      - .actual_access:  read_only
        .address_space:  global
        .offset:         48
        .size:           8
        .value_kind:     global_buffer
      - .actual_access:  read_only
        .address_space:  global
        .offset:         56
        .size:           8
        .value_kind:     global_buffer
      - .actual_access:  read_only
        .address_space:  global
        .offset:         64
        .size:           8
        .value_kind:     global_buffer
      - .actual_access:  read_only
        .address_space:  global
        .offset:         72
        .size:           8
        .value_kind:     global_buffer
      - .offset:         80
        .size:           8
        .value_kind:     by_value
      - .actual_access:  read_only
        .address_space:  global
        .offset:         88
        .size:           8
        .value_kind:     global_buffer
      - .actual_access:  read_only
        .address_space:  global
        .offset:         96
        .size:           8
        .value_kind:     global_buffer
      - .actual_access:  read_only
        .address_space:  global
        .offset:         104
        .size:           8
        .value_kind:     global_buffer
      - .actual_access:  read_only
        .address_space:  global
        .offset:         112
        .size:           8
        .value_kind:     global_buffer
      - .actual_access:  write_only
        .address_space:  global
        .offset:         120
        .size:           8
        .value_kind:     global_buffer
      - .actual_access:  write_only
        .address_space:  global
        .offset:         128
        .size:           8
        .value_kind:     global_buffer
      - .offset:         136
        .size:           4
        .value_kind:     by_value
      - .offset:         140
        .size:           4
        .value_kind:     by_value
      - .offset:         144
        .size:           4
        .value_kind:     by_value
      - .offset:         148
        .size:           4
        .value_kind:     by_value
      - .offset:         152
        .size:           1
        .value_kind:     by_value
      - .offset:         153
        .size:           1
        .value_kind:     by_value
      - .offset:         154
        .size:           1
        .value_kind:     by_value
    .group_segment_fixed_size: 0
    .kernarg_segment_align: 8
    .kernarg_segment_size: 156
    .language:       OpenCL C
    .language_version:
      - 2
      - 0
    .max_flat_workgroup_size: 1024
    .name:           _ZN9rocsparseL26csrgemm_fill_block_per_rowILj1024ELj64ELj4096ELj137ELj32ElifEEvT5_PKS1_S3_NS_24const_host_device_scalarIT6_EEPKT4_S3_PKS5_S9_S3_SB_S6_S9_S3_SB_S9_PS1_PS5_21rocsparse_index_base_SE_SE_SE_bbb
    .private_segment_fixed_size: 0
    .sgpr_count:     84
    .sgpr_spill_count: 0
    .symbol:         _ZN9rocsparseL26csrgemm_fill_block_per_rowILj1024ELj64ELj4096ELj137ELj32ElifEEvT5_PKS1_S3_NS_24const_host_device_scalarIT6_EEPKT4_S3_PKS5_S9_S3_SB_S6_S9_S3_SB_S9_PS1_PS5_21rocsparse_index_base_SE_SE_SE_bbb.kd
    .uniform_work_group_size: 1
    .uses_dynamic_stack: false
    .vgpr_count:     22
    .vgpr_spill_count: 0
    .wavefront_size: 64
  - .agpr_count:     0
    .args:
      - .offset:         0
        .size:           4
        .value_kind:     by_value
      - .actual_access:  read_only
        .address_space:  global
        .offset:         8
        .size:           8
        .value_kind:     global_buffer
      - .actual_access:  read_only
        .address_space:  global
        .offset:         16
        .size:           8
        .value_kind:     global_buffer
      - .offset:         24
        .size:           8
        .value_kind:     by_value
      - .actual_access:  read_only
        .address_space:  global
        .offset:         32
        .size:           8
        .value_kind:     global_buffer
      - .actual_access:  read_only
        .address_space:  global
        .offset:         40
        .size:           8
        .value_kind:     global_buffer
      - .actual_access:  read_only
        .address_space:  global
        .offset:         48
        .size:           8
        .value_kind:     global_buffer
      - .actual_access:  read_only
        .address_space:  global
        .offset:         56
        .size:           8
        .value_kind:     global_buffer
      - .actual_access:  read_only
        .address_space:  global
        .offset:         64
        .size:           8
        .value_kind:     global_buffer
      - .actual_access:  read_only
        .address_space:  global
        .offset:         72
        .size:           8
        .value_kind:     global_buffer
      - .offset:         80
        .size:           8
        .value_kind:     by_value
      - .actual_access:  read_only
        .address_space:  global
        .offset:         88
        .size:           8
        .value_kind:     global_buffer
      - .actual_access:  read_only
        .address_space:  global
        .offset:         96
        .size:           8
        .value_kind:     global_buffer
      - .actual_access:  read_only
        .address_space:  global
        .offset:         104
        .size:           8
        .value_kind:     global_buffer
      - .actual_access:  read_only
        .address_space:  global
        .offset:         112
        .size:           8
        .value_kind:     global_buffer
      - .actual_access:  write_only
        .address_space:  global
        .offset:         120
        .size:           8
        .value_kind:     global_buffer
      - .actual_access:  write_only
        .address_space:  global
        .offset:         128
        .size:           8
        .value_kind:     global_buffer
      - .offset:         136
        .size:           4
        .value_kind:     by_value
      - .offset:         140
        .size:           4
        .value_kind:     by_value
      - .offset:         144
        .size:           4
        .value_kind:     by_value
      - .offset:         148
        .size:           4
        .value_kind:     by_value
      - .offset:         152
        .size:           1
        .value_kind:     by_value
      - .offset:         153
        .size:           1
        .value_kind:     by_value
      - .offset:         154
        .size:           1
        .value_kind:     by_value
    .group_segment_fixed_size: 0
    .kernarg_segment_align: 8
    .kernarg_segment_size: 156
    .language:       OpenCL C
    .language_version:
      - 2
      - 0
    .max_flat_workgroup_size: 1024
    .name:           _ZN9rocsparseL26csrgemm_fill_block_per_rowILj1024ELj64ELj4096ELj137ELj64ElifEEvT5_PKS1_S3_NS_24const_host_device_scalarIT6_EEPKT4_S3_PKS5_S9_S3_SB_S6_S9_S3_SB_S9_PS1_PS5_21rocsparse_index_base_SE_SE_SE_bbb
    .private_segment_fixed_size: 0
    .sgpr_count:     58
    .sgpr_spill_count: 0
    .symbol:         _ZN9rocsparseL26csrgemm_fill_block_per_rowILj1024ELj64ELj4096ELj137ELj64ElifEEvT5_PKS1_S3_NS_24const_host_device_scalarIT6_EEPKT4_S3_PKS5_S9_S3_SB_S6_S9_S3_SB_S9_PS1_PS5_21rocsparse_index_base_SE_SE_SE_bbb.kd
    .uniform_work_group_size: 1
    .uses_dynamic_stack: false
    .vgpr_count:     24
    .vgpr_spill_count: 0
    .wavefront_size: 64
  - .agpr_count:     0
    .args:
      - .offset:         0
        .size:           4
        .value_kind:     by_value
      - .actual_access:  read_only
        .address_space:  global
        .offset:         8
        .size:           8
        .value_kind:     global_buffer
      - .actual_access:  read_only
        .address_space:  global
        .offset:         16
        .size:           8
        .value_kind:     global_buffer
      - .offset:         24
        .size:           8
        .value_kind:     by_value
      - .actual_access:  read_only
        .address_space:  global
        .offset:         32
        .size:           8
        .value_kind:     global_buffer
      - .actual_access:  read_only
        .address_space:  global
        .offset:         40
        .size:           8
        .value_kind:     global_buffer
      - .actual_access:  read_only
        .address_space:  global
        .offset:         48
        .size:           8
        .value_kind:     global_buffer
      - .actual_access:  read_only
        .address_space:  global
        .offset:         56
        .size:           8
        .value_kind:     global_buffer
      - .actual_access:  read_only
        .address_space:  global
        .offset:         64
        .size:           8
        .value_kind:     global_buffer
      - .actual_access:  read_only
        .address_space:  global
        .offset:         72
        .size:           8
        .value_kind:     global_buffer
      - .offset:         80
        .size:           8
        .value_kind:     by_value
      - .actual_access:  read_only
        .address_space:  global
        .offset:         88
        .size:           8
        .value_kind:     global_buffer
      - .actual_access:  read_only
        .address_space:  global
        .offset:         96
        .size:           8
        .value_kind:     global_buffer
      - .actual_access:  read_only
        .address_space:  global
        .offset:         104
        .size:           8
        .value_kind:     global_buffer
      - .actual_access:  read_only
        .address_space:  global
        .offset:         112
        .size:           8
        .value_kind:     global_buffer
      - .actual_access:  write_only
        .address_space:  global
        .offset:         120
        .size:           8
        .value_kind:     global_buffer
      - .actual_access:  write_only
        .address_space:  global
        .offset:         128
        .size:           8
        .value_kind:     global_buffer
      - .offset:         136
        .size:           4
        .value_kind:     by_value
      - .offset:         140
        .size:           4
        .value_kind:     by_value
      - .offset:         144
        .size:           4
        .value_kind:     by_value
      - .offset:         148
        .size:           4
        .value_kind:     by_value
      - .offset:         152
        .size:           1
        .value_kind:     by_value
      - .offset:         153
        .size:           1
        .value_kind:     by_value
      - .offset:         154
        .size:           1
        .value_kind:     by_value
    .group_segment_fixed_size: 0
    .kernarg_segment_align: 8
    .kernarg_segment_size: 156
    .language:       OpenCL C
    .language_version:
      - 2
      - 0
    .max_flat_workgroup_size: 1024
    .name:           _ZN9rocsparseL26csrgemm_fill_block_per_rowILj1024ELj64ELj8192ELj137ELj32ElifEEvT5_PKS1_S3_NS_24const_host_device_scalarIT6_EEPKT4_S3_PKS5_S9_S3_SB_S6_S9_S3_SB_S9_PS1_PS5_21rocsparse_index_base_SE_SE_SE_bbb
    .private_segment_fixed_size: 0
    .sgpr_count:     100
    .sgpr_spill_count: 18
    .symbol:         _ZN9rocsparseL26csrgemm_fill_block_per_rowILj1024ELj64ELj8192ELj137ELj32ElifEEvT5_PKS1_S3_NS_24const_host_device_scalarIT6_EEPKT4_S3_PKS5_S9_S3_SB_S6_S9_S3_SB_S9_PS1_PS5_21rocsparse_index_base_SE_SE_SE_bbb.kd
    .uniform_work_group_size: 1
    .uses_dynamic_stack: false
    .vgpr_count:     21
    .vgpr_spill_count: 0
    .wavefront_size: 64
  - .agpr_count:     0
    .args:
      - .offset:         0
        .size:           4
        .value_kind:     by_value
      - .actual_access:  read_only
        .address_space:  global
        .offset:         8
        .size:           8
        .value_kind:     global_buffer
      - .actual_access:  read_only
        .address_space:  global
        .offset:         16
        .size:           8
        .value_kind:     global_buffer
      - .offset:         24
        .size:           8
        .value_kind:     by_value
      - .actual_access:  read_only
        .address_space:  global
        .offset:         32
        .size:           8
        .value_kind:     global_buffer
      - .actual_access:  read_only
        .address_space:  global
        .offset:         40
        .size:           8
        .value_kind:     global_buffer
      - .actual_access:  read_only
        .address_space:  global
        .offset:         48
        .size:           8
        .value_kind:     global_buffer
      - .actual_access:  read_only
        .address_space:  global
        .offset:         56
        .size:           8
        .value_kind:     global_buffer
      - .actual_access:  read_only
        .address_space:  global
        .offset:         64
        .size:           8
        .value_kind:     global_buffer
      - .actual_access:  read_only
        .address_space:  global
        .offset:         72
        .size:           8
        .value_kind:     global_buffer
      - .offset:         80
        .size:           8
        .value_kind:     by_value
      - .actual_access:  read_only
        .address_space:  global
        .offset:         88
        .size:           8
        .value_kind:     global_buffer
      - .actual_access:  read_only
        .address_space:  global
        .offset:         96
        .size:           8
        .value_kind:     global_buffer
      - .actual_access:  read_only
        .address_space:  global
        .offset:         104
        .size:           8
        .value_kind:     global_buffer
      - .actual_access:  read_only
        .address_space:  global
        .offset:         112
        .size:           8
        .value_kind:     global_buffer
      - .actual_access:  write_only
        .address_space:  global
        .offset:         120
        .size:           8
        .value_kind:     global_buffer
      - .actual_access:  write_only
        .address_space:  global
        .offset:         128
        .size:           8
        .value_kind:     global_buffer
      - .offset:         136
        .size:           4
        .value_kind:     by_value
      - .offset:         140
        .size:           4
        .value_kind:     by_value
      - .offset:         144
        .size:           4
        .value_kind:     by_value
      - .offset:         148
        .size:           4
        .value_kind:     by_value
      - .offset:         152
        .size:           1
        .value_kind:     by_value
      - .offset:         153
        .size:           1
        .value_kind:     by_value
      - .offset:         154
        .size:           1
        .value_kind:     by_value
    .group_segment_fixed_size: 0
    .kernarg_segment_align: 8
    .kernarg_segment_size: 156
    .language:       OpenCL C
    .language_version:
      - 2
      - 0
    .max_flat_workgroup_size: 1024
    .name:           _ZN9rocsparseL26csrgemm_fill_block_per_rowILj1024ELj64ELj8192ELj137ELj64ElifEEvT5_PKS1_S3_NS_24const_host_device_scalarIT6_EEPKT4_S3_PKS5_S9_S3_SB_S6_S9_S3_SB_S9_PS1_PS5_21rocsparse_index_base_SE_SE_SE_bbb
    .private_segment_fixed_size: 0
    .sgpr_count:     67
    .sgpr_spill_count: 0
    .symbol:         _ZN9rocsparseL26csrgemm_fill_block_per_rowILj1024ELj64ELj8192ELj137ELj64ElifEEvT5_PKS1_S3_NS_24const_host_device_scalarIT6_EEPKT4_S3_PKS5_S9_S3_SB_S6_S9_S3_SB_S9_PS1_PS5_21rocsparse_index_base_SE_SE_SE_bbb.kd
    .uniform_work_group_size: 1
    .uses_dynamic_stack: false
    .vgpr_count:     22
    .vgpr_spill_count: 0
    .wavefront_size: 64
  - .agpr_count:     0
    .args:
      - .offset:         0
        .size:           4
        .value_kind:     by_value
      - .actual_access:  read_only
        .address_space:  global
        .offset:         8
        .size:           8
        .value_kind:     global_buffer
      - .actual_access:  read_only
        .address_space:  global
        .offset:         16
        .size:           8
        .value_kind:     global_buffer
      - .offset:         24
        .size:           8
        .value_kind:     by_value
      - .actual_access:  read_only
        .address_space:  global
        .offset:         32
        .size:           8
        .value_kind:     global_buffer
      - .actual_access:  read_only
        .address_space:  global
        .offset:         40
        .size:           8
        .value_kind:     global_buffer
      - .actual_access:  read_only
        .address_space:  global
        .offset:         48
        .size:           8
        .value_kind:     global_buffer
      - .actual_access:  read_only
        .address_space:  global
        .offset:         56
        .size:           8
        .value_kind:     global_buffer
      - .actual_access:  read_only
        .address_space:  global
        .offset:         64
        .size:           8
        .value_kind:     global_buffer
      - .actual_access:  read_only
        .address_space:  global
        .offset:         72
        .size:           8
        .value_kind:     global_buffer
      - .offset:         80
        .size:           8
        .value_kind:     by_value
      - .actual_access:  read_only
        .address_space:  global
        .offset:         88
        .size:           8
        .value_kind:     global_buffer
      - .actual_access:  read_only
        .address_space:  global
        .offset:         96
        .size:           8
        .value_kind:     global_buffer
      - .actual_access:  read_only
        .address_space:  global
        .offset:         104
        .size:           8
        .value_kind:     global_buffer
      - .actual_access:  read_only
        .address_space:  global
        .offset:         112
        .size:           8
        .value_kind:     global_buffer
      - .actual_access:  write_only
        .address_space:  global
        .offset:         120
        .size:           8
        .value_kind:     global_buffer
      - .actual_access:  write_only
        .address_space:  global
        .offset:         128
        .size:           8
        .value_kind:     global_buffer
      - .offset:         136
        .size:           4
        .value_kind:     by_value
      - .offset:         140
        .size:           4
        .value_kind:     by_value
      - .offset:         144
        .size:           4
        .value_kind:     by_value
      - .offset:         148
        .size:           4
        .value_kind:     by_value
      - .offset:         152
        .size:           1
        .value_kind:     by_value
      - .offset:         153
        .size:           1
        .value_kind:     by_value
      - .offset:         154
        .size:           1
        .value_kind:     by_value
    .group_segment_fixed_size: 0
    .kernarg_segment_align: 8
    .kernarg_segment_size: 156
    .language:       OpenCL C
    .language_version:
      - 2
      - 0
    .max_flat_workgroup_size: 1024
    .name:           _ZN9rocsparseL26csrgemm_fill_block_per_rowILj1024ELj64ELj16384ELj137ELj32ElifEEvT5_PKS1_S3_NS_24const_host_device_scalarIT6_EEPKT4_S3_PKS5_S9_S3_SB_S6_S9_S3_SB_S9_PS1_PS5_21rocsparse_index_base_SE_SE_SE_bbb
    .private_segment_fixed_size: 0
    .sgpr_count:     100
    .sgpr_spill_count: 28
    .symbol:         _ZN9rocsparseL26csrgemm_fill_block_per_rowILj1024ELj64ELj16384ELj137ELj32ElifEEvT5_PKS1_S3_NS_24const_host_device_scalarIT6_EEPKT4_S3_PKS5_S9_S3_SB_S6_S9_S3_SB_S9_PS1_PS5_21rocsparse_index_base_SE_SE_SE_bbb.kd
    .uniform_work_group_size: 1
    .uses_dynamic_stack: false
    .vgpr_count:     23
    .vgpr_spill_count: 0
    .wavefront_size: 64
  - .agpr_count:     0
    .args:
      - .offset:         0
        .size:           4
        .value_kind:     by_value
      - .actual_access:  read_only
        .address_space:  global
        .offset:         8
        .size:           8
        .value_kind:     global_buffer
      - .actual_access:  read_only
        .address_space:  global
        .offset:         16
        .size:           8
        .value_kind:     global_buffer
      - .offset:         24
        .size:           8
        .value_kind:     by_value
      - .actual_access:  read_only
        .address_space:  global
        .offset:         32
        .size:           8
        .value_kind:     global_buffer
      - .actual_access:  read_only
        .address_space:  global
        .offset:         40
        .size:           8
        .value_kind:     global_buffer
      - .actual_access:  read_only
        .address_space:  global
        .offset:         48
        .size:           8
        .value_kind:     global_buffer
      - .actual_access:  read_only
        .address_space:  global
        .offset:         56
        .size:           8
        .value_kind:     global_buffer
      - .actual_access:  read_only
        .address_space:  global
        .offset:         64
        .size:           8
        .value_kind:     global_buffer
      - .actual_access:  read_only
        .address_space:  global
        .offset:         72
        .size:           8
        .value_kind:     global_buffer
      - .offset:         80
        .size:           8
        .value_kind:     by_value
      - .actual_access:  read_only
        .address_space:  global
        .offset:         88
        .size:           8
        .value_kind:     global_buffer
      - .actual_access:  read_only
        .address_space:  global
        .offset:         96
        .size:           8
        .value_kind:     global_buffer
      - .actual_access:  read_only
        .address_space:  global
        .offset:         104
        .size:           8
        .value_kind:     global_buffer
      - .actual_access:  read_only
        .address_space:  global
        .offset:         112
        .size:           8
        .value_kind:     global_buffer
      - .actual_access:  write_only
        .address_space:  global
        .offset:         120
        .size:           8
        .value_kind:     global_buffer
      - .actual_access:  write_only
        .address_space:  global
        .offset:         128
        .size:           8
        .value_kind:     global_buffer
      - .offset:         136
        .size:           4
        .value_kind:     by_value
      - .offset:         140
        .size:           4
        .value_kind:     by_value
      - .offset:         144
        .size:           4
        .value_kind:     by_value
      - .offset:         148
        .size:           4
        .value_kind:     by_value
      - .offset:         152
        .size:           1
        .value_kind:     by_value
      - .offset:         153
        .size:           1
        .value_kind:     by_value
      - .offset:         154
        .size:           1
        .value_kind:     by_value
    .group_segment_fixed_size: 0
    .kernarg_segment_align: 8
    .kernarg_segment_size: 156
    .language:       OpenCL C
    .language_version:
      - 2
      - 0
    .max_flat_workgroup_size: 1024
    .name:           _ZN9rocsparseL26csrgemm_fill_block_per_rowILj1024ELj64ELj16384ELj137ELj64ElifEEvT5_PKS1_S3_NS_24const_host_device_scalarIT6_EEPKT4_S3_PKS5_S9_S3_SB_S6_S9_S3_SB_S9_PS1_PS5_21rocsparse_index_base_SE_SE_SE_bbb
    .private_segment_fixed_size: 0
    .sgpr_count:     67
    .sgpr_spill_count: 0
    .symbol:         _ZN9rocsparseL26csrgemm_fill_block_per_rowILj1024ELj64ELj16384ELj137ELj64ElifEEvT5_PKS1_S3_NS_24const_host_device_scalarIT6_EEPKT4_S3_PKS5_S9_S3_SB_S6_S9_S3_SB_S9_PS1_PS5_21rocsparse_index_base_SE_SE_SE_bbb.kd
    .uniform_work_group_size: 1
    .uses_dynamic_stack: false
    .vgpr_count:     24
    .vgpr_spill_count: 0
    .wavefront_size: 64
  - .agpr_count:     0
    .args:
      - .offset:         0
        .size:           4
        .value_kind:     by_value
      - .actual_access:  read_only
        .address_space:  global
        .offset:         8
        .size:           8
        .value_kind:     global_buffer
      - .actual_access:  read_only
        .address_space:  global
        .offset:         16
        .size:           8
        .value_kind:     global_buffer
      - .offset:         24
        .size:           8
        .value_kind:     by_value
      - .actual_access:  read_only
        .address_space:  global
        .offset:         32
        .size:           8
        .value_kind:     global_buffer
      - .actual_access:  read_only
        .address_space:  global
        .offset:         40
        .size:           8
        .value_kind:     global_buffer
      - .actual_access:  read_only
        .address_space:  global
        .offset:         48
        .size:           8
        .value_kind:     global_buffer
      - .actual_access:  read_only
        .address_space:  global
        .offset:         56
        .size:           8
        .value_kind:     global_buffer
      - .actual_access:  read_only
        .address_space:  global
        .offset:         64
        .size:           8
        .value_kind:     global_buffer
      - .actual_access:  read_only
        .address_space:  global
        .offset:         72
        .size:           8
        .value_kind:     global_buffer
      - .offset:         80
        .size:           8
        .value_kind:     by_value
      - .actual_access:  read_only
        .address_space:  global
        .offset:         88
        .size:           8
        .value_kind:     global_buffer
      - .actual_access:  read_only
        .address_space:  global
        .offset:         96
        .size:           8
        .value_kind:     global_buffer
      - .actual_access:  read_only
        .address_space:  global
        .offset:         104
        .size:           8
        .value_kind:     global_buffer
      - .actual_access:  read_only
        .address_space:  global
        .offset:         112
        .size:           8
        .value_kind:     global_buffer
      - .actual_access:  write_only
        .address_space:  global
        .offset:         120
        .size:           8
        .value_kind:     global_buffer
      - .actual_access:  write_only
        .address_space:  global
        .offset:         128
        .size:           8
        .value_kind:     global_buffer
      - .offset:         136
        .size:           4
        .value_kind:     by_value
      - .offset:         140
        .size:           4
        .value_kind:     by_value
      - .offset:         144
        .size:           4
        .value_kind:     by_value
      - .offset:         148
        .size:           4
        .value_kind:     by_value
      - .offset:         152
        .size:           1
        .value_kind:     by_value
      - .offset:         153
        .size:           1
        .value_kind:     by_value
      - .offset:         154
        .size:           1
        .value_kind:     by_value
    .group_segment_fixed_size: 0
    .kernarg_segment_align: 8
    .kernarg_segment_size: 156
    .language:       OpenCL C
    .language_version:
      - 2
      - 0
    .max_flat_workgroup_size: 1024
    .name:           _ZN9rocsparseL26csrgemm_fill_block_per_rowILj1024ELj64ELj32768ELj137ELj32ElifEEvT5_PKS1_S3_NS_24const_host_device_scalarIT6_EEPKT4_S3_PKS5_S9_S3_SB_S6_S9_S3_SB_S9_PS1_PS5_21rocsparse_index_base_SE_SE_SE_bbb
    .private_segment_fixed_size: 0
    .sgpr_count:     100
    .sgpr_spill_count: 28
    .symbol:         _ZN9rocsparseL26csrgemm_fill_block_per_rowILj1024ELj64ELj32768ELj137ELj32ElifEEvT5_PKS1_S3_NS_24const_host_device_scalarIT6_EEPKT4_S3_PKS5_S9_S3_SB_S6_S9_S3_SB_S9_PS1_PS5_21rocsparse_index_base_SE_SE_SE_bbb.kd
    .uniform_work_group_size: 1
    .uses_dynamic_stack: false
    .vgpr_count:     23
    .vgpr_spill_count: 0
    .wavefront_size: 64
  - .agpr_count:     0
    .args:
      - .offset:         0
        .size:           4
        .value_kind:     by_value
      - .actual_access:  read_only
        .address_space:  global
        .offset:         8
        .size:           8
        .value_kind:     global_buffer
      - .actual_access:  read_only
        .address_space:  global
        .offset:         16
        .size:           8
        .value_kind:     global_buffer
      - .offset:         24
        .size:           8
        .value_kind:     by_value
      - .actual_access:  read_only
        .address_space:  global
        .offset:         32
        .size:           8
        .value_kind:     global_buffer
      - .actual_access:  read_only
        .address_space:  global
        .offset:         40
        .size:           8
        .value_kind:     global_buffer
      - .actual_access:  read_only
        .address_space:  global
        .offset:         48
        .size:           8
        .value_kind:     global_buffer
      - .actual_access:  read_only
        .address_space:  global
        .offset:         56
        .size:           8
        .value_kind:     global_buffer
      - .actual_access:  read_only
        .address_space:  global
        .offset:         64
        .size:           8
        .value_kind:     global_buffer
      - .actual_access:  read_only
        .address_space:  global
        .offset:         72
        .size:           8
        .value_kind:     global_buffer
      - .offset:         80
        .size:           8
        .value_kind:     by_value
      - .actual_access:  read_only
        .address_space:  global
        .offset:         88
        .size:           8
        .value_kind:     global_buffer
      - .actual_access:  read_only
        .address_space:  global
        .offset:         96
        .size:           8
        .value_kind:     global_buffer
      - .actual_access:  read_only
        .address_space:  global
        .offset:         104
        .size:           8
        .value_kind:     global_buffer
      - .actual_access:  read_only
        .address_space:  global
        .offset:         112
        .size:           8
        .value_kind:     global_buffer
      - .actual_access:  write_only
        .address_space:  global
        .offset:         120
        .size:           8
        .value_kind:     global_buffer
      - .actual_access:  write_only
        .address_space:  global
        .offset:         128
        .size:           8
        .value_kind:     global_buffer
      - .offset:         136
        .size:           4
        .value_kind:     by_value
      - .offset:         140
        .size:           4
        .value_kind:     by_value
      - .offset:         144
        .size:           4
        .value_kind:     by_value
      - .offset:         148
        .size:           4
        .value_kind:     by_value
      - .offset:         152
        .size:           1
        .value_kind:     by_value
      - .offset:         153
        .size:           1
        .value_kind:     by_value
      - .offset:         154
        .size:           1
        .value_kind:     by_value
    .group_segment_fixed_size: 0
    .kernarg_segment_align: 8
    .kernarg_segment_size: 156
    .language:       OpenCL C
    .language_version:
      - 2
      - 0
    .max_flat_workgroup_size: 1024
    .name:           _ZN9rocsparseL26csrgemm_fill_block_per_rowILj1024ELj64ELj32768ELj137ELj64ElifEEvT5_PKS1_S3_NS_24const_host_device_scalarIT6_EEPKT4_S3_PKS5_S9_S3_SB_S6_S9_S3_SB_S9_PS1_PS5_21rocsparse_index_base_SE_SE_SE_bbb
    .private_segment_fixed_size: 0
    .sgpr_count:     67
    .sgpr_spill_count: 0
    .symbol:         _ZN9rocsparseL26csrgemm_fill_block_per_rowILj1024ELj64ELj32768ELj137ELj64ElifEEvT5_PKS1_S3_NS_24const_host_device_scalarIT6_EEPKT4_S3_PKS5_S9_S3_SB_S6_S9_S3_SB_S9_PS1_PS5_21rocsparse_index_base_SE_SE_SE_bbb.kd
    .uniform_work_group_size: 1
    .uses_dynamic_stack: false
    .vgpr_count:     24
    .vgpr_spill_count: 0
    .wavefront_size: 64
  - .agpr_count:     0
    .args:
      - .offset:         0
        .size:           4
        .value_kind:     by_value
      - .actual_access:  read_only
        .address_space:  global
        .offset:         8
        .size:           8
        .value_kind:     global_buffer
      - .actual_access:  read_only
        .address_space:  global
        .offset:         16
        .size:           8
        .value_kind:     global_buffer
      - .offset:         24
        .size:           8
        .value_kind:     by_value
      - .actual_access:  read_only
        .address_space:  global
        .offset:         32
        .size:           8
        .value_kind:     global_buffer
      - .actual_access:  read_only
        .address_space:  global
        .offset:         40
        .size:           8
        .value_kind:     global_buffer
      - .actual_access:  read_only
        .address_space:  global
        .offset:         48
        .size:           8
        .value_kind:     global_buffer
      - .actual_access:  read_only
        .address_space:  global
        .offset:         56
        .size:           8
        .value_kind:     global_buffer
      - .actual_access:  read_only
        .address_space:  global
        .offset:         64
        .size:           8
        .value_kind:     global_buffer
      - .actual_access:  read_only
        .address_space:  global
        .offset:         72
        .size:           8
        .value_kind:     global_buffer
      - .offset:         80
        .size:           8
        .value_kind:     by_value
      - .actual_access:  read_only
        .address_space:  global
        .offset:         88
        .size:           8
        .value_kind:     global_buffer
      - .actual_access:  read_only
        .address_space:  global
        .offset:         96
        .size:           8
        .value_kind:     global_buffer
      - .actual_access:  read_only
        .address_space:  global
        .offset:         104
        .size:           8
        .value_kind:     global_buffer
      - .actual_access:  read_only
        .address_space:  global
        .offset:         112
        .size:           8
        .value_kind:     global_buffer
      - .actual_access:  write_only
        .address_space:  global
        .offset:         120
        .size:           8
        .value_kind:     global_buffer
      - .actual_access:  write_only
        .address_space:  global
        .offset:         128
        .size:           8
        .value_kind:     global_buffer
      - .address_space:  global
        .offset:         136
        .size:           8
        .value_kind:     global_buffer
      - .offset:         144
        .size:           4
        .value_kind:     by_value
      - .offset:         148
        .size:           4
        .value_kind:     by_value
      - .offset:         152
        .size:           4
        .value_kind:     by_value
      - .offset:         156
        .size:           4
        .value_kind:     by_value
      - .offset:         160
        .size:           1
        .value_kind:     by_value
      - .offset:         161
        .size:           1
        .value_kind:     by_value
      - .offset:         162
        .size:           1
        .value_kind:     by_value
    .group_segment_fixed_size: 10244
    .kernarg_segment_align: 8
    .kernarg_segment_size: 164
    .language:       OpenCL C
    .language_version:
      - 2
      - 0
    .max_flat_workgroup_size: 512
    .name:           _ZN9rocsparseL36csrgemm_fill_block_per_row_multipassILj512ELj16ELj2048ELj32ElifEEvT4_PKS1_S3_NS_24const_host_device_scalarIT5_EEPKT3_S3_PKS5_S9_S3_SB_S6_S9_S3_SB_S9_PS1_PS5_PS7_21rocsparse_index_base_SF_SF_SF_bbb
    .private_segment_fixed_size: 0
    .sgpr_count:     100
    .sgpr_spill_count: 9
    .symbol:         _ZN9rocsparseL36csrgemm_fill_block_per_row_multipassILj512ELj16ELj2048ELj32ElifEEvT4_PKS1_S3_NS_24const_host_device_scalarIT5_EEPKT3_S3_PKS5_S9_S3_SB_S6_S9_S3_SB_S9_PS1_PS5_PS7_21rocsparse_index_base_SF_SF_SF_bbb.kd
    .uniform_work_group_size: 1
    .uses_dynamic_stack: false
    .vgpr_count:     40
    .vgpr_spill_count: 0
    .wavefront_size: 64
  - .agpr_count:     0
    .args:
      - .offset:         0
        .size:           4
        .value_kind:     by_value
      - .actual_access:  read_only
        .address_space:  global
        .offset:         8
        .size:           8
        .value_kind:     global_buffer
      - .actual_access:  read_only
        .address_space:  global
        .offset:         16
        .size:           8
        .value_kind:     global_buffer
      - .offset:         24
        .size:           8
        .value_kind:     by_value
      - .actual_access:  read_only
        .address_space:  global
        .offset:         32
        .size:           8
        .value_kind:     global_buffer
      - .actual_access:  read_only
        .address_space:  global
        .offset:         40
        .size:           8
        .value_kind:     global_buffer
      - .actual_access:  read_only
        .address_space:  global
        .offset:         48
        .size:           8
        .value_kind:     global_buffer
      - .actual_access:  read_only
        .address_space:  global
        .offset:         56
        .size:           8
        .value_kind:     global_buffer
      - .actual_access:  read_only
        .address_space:  global
        .offset:         64
        .size:           8
        .value_kind:     global_buffer
      - .actual_access:  read_only
        .address_space:  global
        .offset:         72
        .size:           8
        .value_kind:     global_buffer
      - .offset:         80
        .size:           8
        .value_kind:     by_value
      - .actual_access:  read_only
        .address_space:  global
        .offset:         88
        .size:           8
        .value_kind:     global_buffer
      - .actual_access:  read_only
        .address_space:  global
        .offset:         96
        .size:           8
        .value_kind:     global_buffer
      - .actual_access:  read_only
        .address_space:  global
        .offset:         104
        .size:           8
        .value_kind:     global_buffer
      - .actual_access:  read_only
        .address_space:  global
        .offset:         112
        .size:           8
        .value_kind:     global_buffer
      - .actual_access:  write_only
        .address_space:  global
        .offset:         120
        .size:           8
        .value_kind:     global_buffer
      - .actual_access:  write_only
        .address_space:  global
        .offset:         128
        .size:           8
        .value_kind:     global_buffer
      - .address_space:  global
        .offset:         136
        .size:           8
        .value_kind:     global_buffer
      - .offset:         144
        .size:           4
        .value_kind:     by_value
      - .offset:         148
        .size:           4
        .value_kind:     by_value
      - .offset:         152
        .size:           4
        .value_kind:     by_value
      - .offset:         156
        .size:           4
        .value_kind:     by_value
      - .offset:         160
        .size:           1
        .value_kind:     by_value
      - .offset:         161
        .size:           1
        .value_kind:     by_value
      - .offset:         162
        .size:           1
        .value_kind:     by_value
    .group_segment_fixed_size: 10244
    .kernarg_segment_align: 8
    .kernarg_segment_size: 164
    .language:       OpenCL C
    .language_version:
      - 2
      - 0
    .max_flat_workgroup_size: 512
    .name:           _ZN9rocsparseL36csrgemm_fill_block_per_row_multipassILj512ELj16ELj2048ELj64ElifEEvT4_PKS1_S3_NS_24const_host_device_scalarIT5_EEPKT3_S3_PKS5_S9_S3_SB_S6_S9_S3_SB_S9_PS1_PS5_PS7_21rocsparse_index_base_SF_SF_SF_bbb
    .private_segment_fixed_size: 0
    .sgpr_count:     88
    .sgpr_spill_count: 0
    .symbol:         _ZN9rocsparseL36csrgemm_fill_block_per_row_multipassILj512ELj16ELj2048ELj64ElifEEvT4_PKS1_S3_NS_24const_host_device_scalarIT5_EEPKT3_S3_PKS5_S9_S3_SB_S6_S9_S3_SB_S9_PS1_PS5_PS7_21rocsparse_index_base_SF_SF_SF_bbb.kd
    .uniform_work_group_size: 1
    .uses_dynamic_stack: false
    .vgpr_count:     39
    .vgpr_spill_count: 0
    .wavefront_size: 64
  - .agpr_count:     0
    .args:
      - .offset:         0
        .size:           4
        .value_kind:     by_value
      - .actual_access:  read_only
        .address_space:  global
        .offset:         8
        .size:           8
        .value_kind:     global_buffer
      - .actual_access:  write_only
        .address_space:  global
        .offset:         16
        .size:           8
        .value_kind:     global_buffer
      - .actual_access:  write_only
        .address_space:  global
        .offset:         24
        .size:           8
        .value_kind:     global_buffer
      - .offset:         32
        .size:           4
        .value_kind:     by_value
      - .offset:         40
        .size:           4
        .value_kind:     hidden_block_count_x
      - .offset:         44
        .size:           4
        .value_kind:     hidden_block_count_y
      - .offset:         48
        .size:           4
        .value_kind:     hidden_block_count_z
      - .offset:         52
        .size:           2
        .value_kind:     hidden_group_size_x
      - .offset:         54
        .size:           2
        .value_kind:     hidden_group_size_y
      - .offset:         56
        .size:           2
        .value_kind:     hidden_group_size_z
      - .offset:         58
        .size:           2
        .value_kind:     hidden_remainder_x
      - .offset:         60
        .size:           2
        .value_kind:     hidden_remainder_y
      - .offset:         62
        .size:           2
        .value_kind:     hidden_remainder_z
      - .offset:         80
        .size:           8
        .value_kind:     hidden_global_offset_x
      - .offset:         88
        .size:           8
        .value_kind:     hidden_global_offset_y
      - .offset:         96
        .size:           8
        .value_kind:     hidden_global_offset_z
      - .offset:         104
        .size:           2
        .value_kind:     hidden_grid_dims
    .group_segment_fixed_size: 11264
    .kernarg_segment_align: 8
    .kernarg_segment_size: 296
    .language:       OpenCL C
    .language_version:
      - 2
      - 0
    .max_flat_workgroup_size: 256
    .name:           _ZN9rocsparseL26csrgemm_group_reduce_part2ILj256ELj11EdliEEvT3_PKT2_PS1_Pij
    .private_segment_fixed_size: 0
    .sgpr_count:     64
    .sgpr_spill_count: 0
    .symbol:         _ZN9rocsparseL26csrgemm_group_reduce_part2ILj256ELj11EdliEEvT3_PKT2_PS1_Pij.kd
    .uniform_work_group_size: 1
    .uses_dynamic_stack: false
    .vgpr_count:     22
    .vgpr_spill_count: 0
    .wavefront_size: 64
  - .agpr_count:     0
    .args:
      - .offset:         0
        .size:           4
        .value_kind:     by_value
      - .offset:         4
        .size:           4
        .value_kind:     by_value
      - .actual_access:  read_only
        .address_space:  global
        .offset:         8
        .size:           8
        .value_kind:     global_buffer
      - .actual_access:  read_only
        .address_space:  global
        .offset:         16
        .size:           8
        .value_kind:     global_buffer
      - .offset:         24
        .size:           8
        .value_kind:     by_value
      - .actual_access:  read_only
        .address_space:  global
        .offset:         32
        .size:           8
        .value_kind:     global_buffer
      - .actual_access:  read_only
        .address_space:  global
        .offset:         40
        .size:           8
        .value_kind:     global_buffer
      - .actual_access:  read_only
        .address_space:  global
        .offset:         48
        .size:           8
        .value_kind:     global_buffer
      - .actual_access:  read_only
        .address_space:  global
        .offset:         56
        .size:           8
        .value_kind:     global_buffer
      - .actual_access:  read_only
        .address_space:  global
        .offset:         64
        .size:           8
        .value_kind:     global_buffer
      - .actual_access:  read_only
        .address_space:  global
        .offset:         72
        .size:           8
        .value_kind:     global_buffer
      - .offset:         80
        .size:           8
        .value_kind:     by_value
      - .actual_access:  read_only
        .address_space:  global
        .offset:         88
        .size:           8
        .value_kind:     global_buffer
      - .actual_access:  read_only
        .address_space:  global
        .offset:         96
        .size:           8
        .value_kind:     global_buffer
      - .actual_access:  read_only
        .address_space:  global
        .offset:         104
        .size:           8
        .value_kind:     global_buffer
      - .actual_access:  read_only
        .address_space:  global
        .offset:         112
        .size:           8
        .value_kind:     global_buffer
      - .actual_access:  write_only
        .address_space:  global
        .offset:         120
        .size:           8
        .value_kind:     global_buffer
      - .actual_access:  write_only
        .address_space:  global
        .offset:         128
        .size:           8
        .value_kind:     global_buffer
      - .offset:         136
        .size:           4
        .value_kind:     by_value
      - .offset:         140
        .size:           4
        .value_kind:     by_value
      - .offset:         144
        .size:           4
        .value_kind:     by_value
      - .offset:         148
        .size:           4
        .value_kind:     by_value
      - .offset:         152
        .size:           1
        .value_kind:     by_value
      - .offset:         153
        .size:           1
        .value_kind:     by_value
      - .offset:         154
        .size:           1
        .value_kind:     by_value
    .group_segment_fixed_size: 6144
    .kernarg_segment_align: 8
    .kernarg_segment_size: 156
    .language:       OpenCL C
    .language_version:
      - 2
      - 0
    .max_flat_workgroup_size: 256
    .name:           _ZN9rocsparseL23csrgemm_fill_wf_per_rowILj256ELj8ELj16ELj137ElidEEvT4_S1_PKS1_S3_NS_24const_host_device_scalarIT5_EEPKT3_S3_PKS5_S9_S3_SB_S6_S9_S3_SB_S9_PS1_PS5_21rocsparse_index_base_SE_SE_SE_bbb
    .private_segment_fixed_size: 0
    .sgpr_count:     56
    .sgpr_spill_count: 0
    .symbol:         _ZN9rocsparseL23csrgemm_fill_wf_per_rowILj256ELj8ELj16ELj137ElidEEvT4_S1_PKS1_S3_NS_24const_host_device_scalarIT5_EEPKT3_S3_PKS5_S9_S3_SB_S6_S9_S3_SB_S9_PS1_PS5_21rocsparse_index_base_SE_SE_SE_bbb.kd
    .uniform_work_group_size: 1
    .uses_dynamic_stack: false
    .vgpr_count:     30
    .vgpr_spill_count: 0
    .wavefront_size: 64
  - .agpr_count:     0
    .args:
      - .offset:         0
        .size:           4
        .value_kind:     by_value
      - .offset:         4
        .size:           4
        .value_kind:     by_value
      - .actual_access:  read_only
        .address_space:  global
        .offset:         8
        .size:           8
        .value_kind:     global_buffer
      - .actual_access:  read_only
        .address_space:  global
        .offset:         16
        .size:           8
        .value_kind:     global_buffer
      - .offset:         24
        .size:           8
        .value_kind:     by_value
      - .actual_access:  read_only
        .address_space:  global
        .offset:         32
        .size:           8
        .value_kind:     global_buffer
      - .actual_access:  read_only
        .address_space:  global
        .offset:         40
        .size:           8
        .value_kind:     global_buffer
      - .actual_access:  read_only
        .address_space:  global
        .offset:         48
        .size:           8
        .value_kind:     global_buffer
      - .actual_access:  read_only
        .address_space:  global
        .offset:         56
        .size:           8
        .value_kind:     global_buffer
      - .actual_access:  read_only
        .address_space:  global
        .offset:         64
        .size:           8
        .value_kind:     global_buffer
      - .actual_access:  read_only
        .address_space:  global
        .offset:         72
        .size:           8
        .value_kind:     global_buffer
      - .offset:         80
        .size:           8
        .value_kind:     by_value
      - .actual_access:  read_only
        .address_space:  global
        .offset:         88
        .size:           8
        .value_kind:     global_buffer
      - .actual_access:  read_only
        .address_space:  global
        .offset:         96
        .size:           8
        .value_kind:     global_buffer
      - .actual_access:  read_only
        .address_space:  global
        .offset:         104
        .size:           8
        .value_kind:     global_buffer
      - .actual_access:  read_only
        .address_space:  global
        .offset:         112
        .size:           8
        .value_kind:     global_buffer
      - .actual_access:  write_only
        .address_space:  global
        .offset:         120
        .size:           8
        .value_kind:     global_buffer
      - .actual_access:  write_only
        .address_space:  global
        .offset:         128
        .size:           8
        .value_kind:     global_buffer
      - .offset:         136
        .size:           4
        .value_kind:     by_value
      - .offset:         140
        .size:           4
        .value_kind:     by_value
      - .offset:         144
        .size:           4
        .value_kind:     by_value
      - .offset:         148
        .size:           4
        .value_kind:     by_value
      - .offset:         152
        .size:           1
        .value_kind:     by_value
      - .offset:         153
        .size:           1
        .value_kind:     by_value
      - .offset:         154
        .size:           1
        .value_kind:     by_value
    .group_segment_fixed_size: 6144
    .kernarg_segment_align: 8
    .kernarg_segment_size: 156
    .language:       OpenCL C
    .language_version:
      - 2
      - 0
    .max_flat_workgroup_size: 256
    .name:           _ZN9rocsparseL23csrgemm_fill_wf_per_rowILj256ELj16ELj32ELj137ElidEEvT4_S1_PKS1_S3_NS_24const_host_device_scalarIT5_EEPKT3_S3_PKS5_S9_S3_SB_S6_S9_S3_SB_S9_PS1_PS5_21rocsparse_index_base_SE_SE_SE_bbb
    .private_segment_fixed_size: 0
    .sgpr_count:     56
    .sgpr_spill_count: 0
    .symbol:         _ZN9rocsparseL23csrgemm_fill_wf_per_rowILj256ELj16ELj32ELj137ElidEEvT4_S1_PKS1_S3_NS_24const_host_device_scalarIT5_EEPKT3_S3_PKS5_S9_S3_SB_S6_S9_S3_SB_S9_PS1_PS5_21rocsparse_index_base_SE_SE_SE_bbb.kd
    .uniform_work_group_size: 1
    .uses_dynamic_stack: false
    .vgpr_count:     30
    .vgpr_spill_count: 0
    .wavefront_size: 64
  - .agpr_count:     0
    .args:
      - .offset:         0
        .size:           4
        .value_kind:     by_value
      - .actual_access:  read_only
        .address_space:  global
        .offset:         8
        .size:           8
        .value_kind:     global_buffer
      - .actual_access:  read_only
        .address_space:  global
        .offset:         16
        .size:           8
        .value_kind:     global_buffer
      - .offset:         24
        .size:           8
        .value_kind:     by_value
      - .actual_access:  read_only
        .address_space:  global
        .offset:         32
        .size:           8
        .value_kind:     global_buffer
      - .actual_access:  read_only
        .address_space:  global
        .offset:         40
        .size:           8
        .value_kind:     global_buffer
      - .actual_access:  read_only
        .address_space:  global
        .offset:         48
        .size:           8
        .value_kind:     global_buffer
      - .actual_access:  read_only
        .address_space:  global
        .offset:         56
        .size:           8
        .value_kind:     global_buffer
      - .actual_access:  read_only
        .address_space:  global
        .offset:         64
        .size:           8
        .value_kind:     global_buffer
      - .actual_access:  read_only
        .address_space:  global
        .offset:         72
        .size:           8
        .value_kind:     global_buffer
      - .offset:         80
        .size:           8
        .value_kind:     by_value
      - .actual_access:  read_only
        .address_space:  global
        .offset:         88
        .size:           8
        .value_kind:     global_buffer
      - .actual_access:  read_only
        .address_space:  global
        .offset:         96
        .size:           8
        .value_kind:     global_buffer
      - .actual_access:  read_only
        .address_space:  global
        .offset:         104
        .size:           8
        .value_kind:     global_buffer
      - .actual_access:  read_only
        .address_space:  global
        .offset:         112
        .size:           8
        .value_kind:     global_buffer
      - .actual_access:  write_only
        .address_space:  global
        .offset:         120
        .size:           8
        .value_kind:     global_buffer
      - .actual_access:  write_only
        .address_space:  global
        .offset:         128
        .size:           8
        .value_kind:     global_buffer
      - .offset:         136
        .size:           4
        .value_kind:     by_value
      - .offset:         140
        .size:           4
        .value_kind:     by_value
      - .offset:         144
        .size:           4
        .value_kind:     by_value
      - .offset:         148
        .size:           4
        .value_kind:     by_value
      - .offset:         152
        .size:           1
        .value_kind:     by_value
      - .offset:         153
        .size:           1
        .value_kind:     by_value
      - .offset:         154
        .size:           1
        .value_kind:     by_value
    .group_segment_fixed_size: 0
    .kernarg_segment_align: 8
    .kernarg_segment_size: 156
    .language:       OpenCL C
    .language_version:
      - 2
      - 0
    .max_flat_workgroup_size: 128
    .name:           _ZN9rocsparseL26csrgemm_fill_block_per_rowILj128ELj16ELj256ELj137ELj32ElidEEvT5_PKS1_S3_NS_24const_host_device_scalarIT6_EEPKT4_S3_PKS5_S9_S3_SB_S6_S9_S3_SB_S9_PS1_PS5_21rocsparse_index_base_SE_SE_SE_bbb
    .private_segment_fixed_size: 0
    .sgpr_count:     60
    .sgpr_spill_count: 0
    .symbol:         _ZN9rocsparseL26csrgemm_fill_block_per_rowILj128ELj16ELj256ELj137ELj32ElidEEvT5_PKS1_S3_NS_24const_host_device_scalarIT6_EEPKT4_S3_PKS5_S9_S3_SB_S6_S9_S3_SB_S9_PS1_PS5_21rocsparse_index_base_SE_SE_SE_bbb.kd
    .uniform_work_group_size: 1
    .uses_dynamic_stack: false
    .vgpr_count:     26
    .vgpr_spill_count: 0
    .wavefront_size: 64
  - .agpr_count:     0
    .args:
      - .offset:         0
        .size:           4
        .value_kind:     by_value
      - .actual_access:  read_only
        .address_space:  global
        .offset:         8
        .size:           8
        .value_kind:     global_buffer
      - .actual_access:  read_only
        .address_space:  global
        .offset:         16
        .size:           8
        .value_kind:     global_buffer
      - .offset:         24
        .size:           8
        .value_kind:     by_value
      - .actual_access:  read_only
        .address_space:  global
        .offset:         32
        .size:           8
        .value_kind:     global_buffer
      - .actual_access:  read_only
        .address_space:  global
        .offset:         40
        .size:           8
        .value_kind:     global_buffer
      - .actual_access:  read_only
        .address_space:  global
        .offset:         48
        .size:           8
        .value_kind:     global_buffer
      - .actual_access:  read_only
        .address_space:  global
        .offset:         56
        .size:           8
        .value_kind:     global_buffer
      - .actual_access:  read_only
        .address_space:  global
        .offset:         64
        .size:           8
        .value_kind:     global_buffer
      - .actual_access:  read_only
        .address_space:  global
        .offset:         72
        .size:           8
        .value_kind:     global_buffer
      - .offset:         80
        .size:           8
        .value_kind:     by_value
      - .actual_access:  read_only
        .address_space:  global
        .offset:         88
        .size:           8
        .value_kind:     global_buffer
      - .actual_access:  read_only
        .address_space:  global
        .offset:         96
        .size:           8
        .value_kind:     global_buffer
      - .actual_access:  read_only
        .address_space:  global
        .offset:         104
        .size:           8
        .value_kind:     global_buffer
      - .actual_access:  read_only
        .address_space:  global
        .offset:         112
        .size:           8
        .value_kind:     global_buffer
      - .actual_access:  write_only
        .address_space:  global
        .offset:         120
        .size:           8
        .value_kind:     global_buffer
      - .actual_access:  write_only
        .address_space:  global
        .offset:         128
        .size:           8
        .value_kind:     global_buffer
      - .offset:         136
        .size:           4
        .value_kind:     by_value
      - .offset:         140
        .size:           4
        .value_kind:     by_value
      - .offset:         144
        .size:           4
        .value_kind:     by_value
      - .offset:         148
        .size:           4
        .value_kind:     by_value
      - .offset:         152
        .size:           1
        .value_kind:     by_value
      - .offset:         153
        .size:           1
        .value_kind:     by_value
      - .offset:         154
        .size:           1
        .value_kind:     by_value
    .group_segment_fixed_size: 0
    .kernarg_segment_align: 8
    .kernarg_segment_size: 156
    .language:       OpenCL C
    .language_version:
      - 2
      - 0
    .max_flat_workgroup_size: 128
    .name:           _ZN9rocsparseL26csrgemm_fill_block_per_rowILj128ELj16ELj256ELj137ELj64ElidEEvT5_PKS1_S3_NS_24const_host_device_scalarIT6_EEPKT4_S3_PKS5_S9_S3_SB_S6_S9_S3_SB_S9_PS1_PS5_21rocsparse_index_base_SE_SE_SE_bbb
    .private_segment_fixed_size: 0
    .sgpr_count:     60
    .sgpr_spill_count: 0
    .symbol:         _ZN9rocsparseL26csrgemm_fill_block_per_rowILj128ELj16ELj256ELj137ELj64ElidEEvT5_PKS1_S3_NS_24const_host_device_scalarIT6_EEPKT4_S3_PKS5_S9_S3_SB_S6_S9_S3_SB_S9_PS1_PS5_21rocsparse_index_base_SE_SE_SE_bbb.kd
    .uniform_work_group_size: 1
    .uses_dynamic_stack: false
    .vgpr_count:     27
    .vgpr_spill_count: 0
    .wavefront_size: 64
  - .agpr_count:     0
    .args:
      - .offset:         0
        .size:           4
        .value_kind:     by_value
      - .actual_access:  read_only
        .address_space:  global
        .offset:         8
        .size:           8
        .value_kind:     global_buffer
      - .actual_access:  read_only
        .address_space:  global
        .offset:         16
        .size:           8
        .value_kind:     global_buffer
      - .offset:         24
        .size:           8
        .value_kind:     by_value
      - .actual_access:  read_only
        .address_space:  global
        .offset:         32
        .size:           8
        .value_kind:     global_buffer
      - .actual_access:  read_only
        .address_space:  global
        .offset:         40
        .size:           8
        .value_kind:     global_buffer
      - .actual_access:  read_only
        .address_space:  global
        .offset:         48
        .size:           8
        .value_kind:     global_buffer
      - .actual_access:  read_only
        .address_space:  global
        .offset:         56
        .size:           8
        .value_kind:     global_buffer
      - .actual_access:  read_only
        .address_space:  global
        .offset:         64
        .size:           8
        .value_kind:     global_buffer
      - .actual_access:  read_only
        .address_space:  global
        .offset:         72
        .size:           8
        .value_kind:     global_buffer
      - .offset:         80
        .size:           8
        .value_kind:     by_value
      - .actual_access:  read_only
        .address_space:  global
        .offset:         88
        .size:           8
        .value_kind:     global_buffer
      - .actual_access:  read_only
        .address_space:  global
        .offset:         96
        .size:           8
        .value_kind:     global_buffer
      - .actual_access:  read_only
        .address_space:  global
        .offset:         104
        .size:           8
        .value_kind:     global_buffer
      - .actual_access:  read_only
        .address_space:  global
        .offset:         112
        .size:           8
        .value_kind:     global_buffer
      - .actual_access:  write_only
        .address_space:  global
        .offset:         120
        .size:           8
        .value_kind:     global_buffer
      - .actual_access:  write_only
        .address_space:  global
        .offset:         128
        .size:           8
        .value_kind:     global_buffer
      - .offset:         136
        .size:           4
        .value_kind:     by_value
      - .offset:         140
        .size:           4
        .value_kind:     by_value
      - .offset:         144
        .size:           4
        .value_kind:     by_value
      - .offset:         148
        .size:           4
        .value_kind:     by_value
      - .offset:         152
        .size:           1
        .value_kind:     by_value
      - .offset:         153
        .size:           1
        .value_kind:     by_value
      - .offset:         154
        .size:           1
        .value_kind:     by_value
    .group_segment_fixed_size: 0
    .kernarg_segment_align: 8
    .kernarg_segment_size: 156
    .language:       OpenCL C
    .language_version:
      - 2
      - 0
    .max_flat_workgroup_size: 256
    .name:           _ZN9rocsparseL26csrgemm_fill_block_per_rowILj256ELj32ELj512ELj137ELj32ElidEEvT5_PKS1_S3_NS_24const_host_device_scalarIT6_EEPKT4_S3_PKS5_S9_S3_SB_S6_S9_S3_SB_S9_PS1_PS5_21rocsparse_index_base_SE_SE_SE_bbb
    .private_segment_fixed_size: 0
    .sgpr_count:     60
    .sgpr_spill_count: 0
    .symbol:         _ZN9rocsparseL26csrgemm_fill_block_per_rowILj256ELj32ELj512ELj137ELj32ElidEEvT5_PKS1_S3_NS_24const_host_device_scalarIT6_EEPKT4_S3_PKS5_S9_S3_SB_S6_S9_S3_SB_S9_PS1_PS5_21rocsparse_index_base_SE_SE_SE_bbb.kd
    .uniform_work_group_size: 1
    .uses_dynamic_stack: false
    .vgpr_count:     27
    .vgpr_spill_count: 0
    .wavefront_size: 64
  - .agpr_count:     0
    .args:
      - .offset:         0
        .size:           4
        .value_kind:     by_value
      - .actual_access:  read_only
        .address_space:  global
        .offset:         8
        .size:           8
        .value_kind:     global_buffer
      - .actual_access:  read_only
        .address_space:  global
        .offset:         16
        .size:           8
        .value_kind:     global_buffer
      - .offset:         24
        .size:           8
        .value_kind:     by_value
      - .actual_access:  read_only
        .address_space:  global
        .offset:         32
        .size:           8
        .value_kind:     global_buffer
      - .actual_access:  read_only
        .address_space:  global
        .offset:         40
        .size:           8
        .value_kind:     global_buffer
      - .actual_access:  read_only
        .address_space:  global
        .offset:         48
        .size:           8
        .value_kind:     global_buffer
      - .actual_access:  read_only
        .address_space:  global
        .offset:         56
        .size:           8
        .value_kind:     global_buffer
      - .actual_access:  read_only
        .address_space:  global
        .offset:         64
        .size:           8
        .value_kind:     global_buffer
      - .actual_access:  read_only
        .address_space:  global
        .offset:         72
        .size:           8
        .value_kind:     global_buffer
      - .offset:         80
        .size:           8
        .value_kind:     by_value
      - .actual_access:  read_only
        .address_space:  global
        .offset:         88
        .size:           8
        .value_kind:     global_buffer
      - .actual_access:  read_only
        .address_space:  global
        .offset:         96
        .size:           8
        .value_kind:     global_buffer
      - .actual_access:  read_only
        .address_space:  global
        .offset:         104
        .size:           8
        .value_kind:     global_buffer
      - .actual_access:  read_only
        .address_space:  global
        .offset:         112
        .size:           8
        .value_kind:     global_buffer
      - .actual_access:  write_only
        .address_space:  global
        .offset:         120
        .size:           8
        .value_kind:     global_buffer
      - .actual_access:  write_only
        .address_space:  global
        .offset:         128
        .size:           8
        .value_kind:     global_buffer
      - .offset:         136
        .size:           4
        .value_kind:     by_value
      - .offset:         140
        .size:           4
        .value_kind:     by_value
      - .offset:         144
        .size:           4
        .value_kind:     by_value
      - .offset:         148
        .size:           4
        .value_kind:     by_value
      - .offset:         152
        .size:           1
        .value_kind:     by_value
      - .offset:         153
        .size:           1
        .value_kind:     by_value
      - .offset:         154
        .size:           1
        .value_kind:     by_value
    .group_segment_fixed_size: 0
    .kernarg_segment_align: 8
    .kernarg_segment_size: 156
    .language:       OpenCL C
    .language_version:
      - 2
      - 0
    .max_flat_workgroup_size: 256
    .name:           _ZN9rocsparseL26csrgemm_fill_block_per_rowILj256ELj32ELj512ELj137ELj64ElidEEvT5_PKS1_S3_NS_24const_host_device_scalarIT6_EEPKT4_S3_PKS5_S9_S3_SB_S6_S9_S3_SB_S9_PS1_PS5_21rocsparse_index_base_SE_SE_SE_bbb
    .private_segment_fixed_size: 0
    .sgpr_count:     60
    .sgpr_spill_count: 0
    .symbol:         _ZN9rocsparseL26csrgemm_fill_block_per_rowILj256ELj32ELj512ELj137ELj64ElidEEvT5_PKS1_S3_NS_24const_host_device_scalarIT6_EEPKT4_S3_PKS5_S9_S3_SB_S6_S9_S3_SB_S9_PS1_PS5_21rocsparse_index_base_SE_SE_SE_bbb.kd
    .uniform_work_group_size: 1
    .uses_dynamic_stack: false
    .vgpr_count:     26
    .vgpr_spill_count: 0
    .wavefront_size: 64
  - .agpr_count:     0
    .args:
      - .offset:         0
        .size:           4
        .value_kind:     by_value
      - .actual_access:  read_only
        .address_space:  global
        .offset:         8
        .size:           8
        .value_kind:     global_buffer
      - .actual_access:  read_only
        .address_space:  global
        .offset:         16
        .size:           8
        .value_kind:     global_buffer
      - .offset:         24
        .size:           8
        .value_kind:     by_value
      - .actual_access:  read_only
        .address_space:  global
        .offset:         32
        .size:           8
        .value_kind:     global_buffer
      - .actual_access:  read_only
        .address_space:  global
        .offset:         40
        .size:           8
        .value_kind:     global_buffer
      - .actual_access:  read_only
        .address_space:  global
        .offset:         48
        .size:           8
        .value_kind:     global_buffer
      - .actual_access:  read_only
        .address_space:  global
        .offset:         56
        .size:           8
        .value_kind:     global_buffer
      - .actual_access:  read_only
        .address_space:  global
        .offset:         64
        .size:           8
        .value_kind:     global_buffer
      - .actual_access:  read_only
        .address_space:  global
        .offset:         72
        .size:           8
        .value_kind:     global_buffer
      - .offset:         80
        .size:           8
        .value_kind:     by_value
      - .actual_access:  read_only
        .address_space:  global
        .offset:         88
        .size:           8
        .value_kind:     global_buffer
      - .actual_access:  read_only
        .address_space:  global
        .offset:         96
        .size:           8
        .value_kind:     global_buffer
      - .actual_access:  read_only
        .address_space:  global
        .offset:         104
        .size:           8
        .value_kind:     global_buffer
      - .actual_access:  read_only
        .address_space:  global
        .offset:         112
        .size:           8
        .value_kind:     global_buffer
      - .actual_access:  write_only
        .address_space:  global
        .offset:         120
        .size:           8
        .value_kind:     global_buffer
      - .actual_access:  write_only
        .address_space:  global
        .offset:         128
        .size:           8
        .value_kind:     global_buffer
      - .offset:         136
        .size:           4
        .value_kind:     by_value
      - .offset:         140
        .size:           4
        .value_kind:     by_value
      - .offset:         144
        .size:           4
        .value_kind:     by_value
      - .offset:         148
        .size:           4
        .value_kind:     by_value
      - .offset:         152
        .size:           1
        .value_kind:     by_value
      - .offset:         153
        .size:           1
        .value_kind:     by_value
      - .offset:         154
        .size:           1
        .value_kind:     by_value
    .group_segment_fixed_size: 0
    .kernarg_segment_align: 8
    .kernarg_segment_size: 156
    .language:       OpenCL C
    .language_version:
      - 2
      - 0
    .max_flat_workgroup_size: 512
    .name:           _ZN9rocsparseL26csrgemm_fill_block_per_rowILj512ELj32ELj1024ELj137ELj32ElidEEvT5_PKS1_S3_NS_24const_host_device_scalarIT6_EEPKT4_S3_PKS5_S9_S3_SB_S6_S9_S3_SB_S9_PS1_PS5_21rocsparse_index_base_SE_SE_SE_bbb
    .private_segment_fixed_size: 0
    .sgpr_count:     58
    .sgpr_spill_count: 0
    .symbol:         _ZN9rocsparseL26csrgemm_fill_block_per_rowILj512ELj32ELj1024ELj137ELj32ElidEEvT5_PKS1_S3_NS_24const_host_device_scalarIT6_EEPKT4_S3_PKS5_S9_S3_SB_S6_S9_S3_SB_S9_PS1_PS5_21rocsparse_index_base_SE_SE_SE_bbb.kd
    .uniform_work_group_size: 1
    .uses_dynamic_stack: false
    .vgpr_count:     28
    .vgpr_spill_count: 0
    .wavefront_size: 64
  - .agpr_count:     0
    .args:
      - .offset:         0
        .size:           4
        .value_kind:     by_value
      - .actual_access:  read_only
        .address_space:  global
        .offset:         8
        .size:           8
        .value_kind:     global_buffer
      - .actual_access:  read_only
        .address_space:  global
        .offset:         16
        .size:           8
        .value_kind:     global_buffer
      - .offset:         24
        .size:           8
        .value_kind:     by_value
      - .actual_access:  read_only
        .address_space:  global
        .offset:         32
        .size:           8
        .value_kind:     global_buffer
      - .actual_access:  read_only
        .address_space:  global
        .offset:         40
        .size:           8
        .value_kind:     global_buffer
      - .actual_access:  read_only
        .address_space:  global
        .offset:         48
        .size:           8
        .value_kind:     global_buffer
      - .actual_access:  read_only
        .address_space:  global
        .offset:         56
        .size:           8
        .value_kind:     global_buffer
      - .actual_access:  read_only
        .address_space:  global
        .offset:         64
        .size:           8
        .value_kind:     global_buffer
      - .actual_access:  read_only
        .address_space:  global
        .offset:         72
        .size:           8
        .value_kind:     global_buffer
      - .offset:         80
        .size:           8
        .value_kind:     by_value
      - .actual_access:  read_only
        .address_space:  global
        .offset:         88
        .size:           8
        .value_kind:     global_buffer
      - .actual_access:  read_only
        .address_space:  global
        .offset:         96
        .size:           8
        .value_kind:     global_buffer
      - .actual_access:  read_only
        .address_space:  global
        .offset:         104
        .size:           8
        .value_kind:     global_buffer
      - .actual_access:  read_only
        .address_space:  global
        .offset:         112
        .size:           8
        .value_kind:     global_buffer
      - .actual_access:  write_only
        .address_space:  global
        .offset:         120
        .size:           8
        .value_kind:     global_buffer
      - .actual_access:  write_only
        .address_space:  global
        .offset:         128
        .size:           8
        .value_kind:     global_buffer
      - .offset:         136
        .size:           4
        .value_kind:     by_value
      - .offset:         140
        .size:           4
        .value_kind:     by_value
      - .offset:         144
        .size:           4
        .value_kind:     by_value
      - .offset:         148
        .size:           4
        .value_kind:     by_value
      - .offset:         152
        .size:           1
        .value_kind:     by_value
      - .offset:         153
        .size:           1
        .value_kind:     by_value
      - .offset:         154
        .size:           1
        .value_kind:     by_value
    .group_segment_fixed_size: 0
    .kernarg_segment_align: 8
    .kernarg_segment_size: 156
    .language:       OpenCL C
    .language_version:
      - 2
      - 0
    .max_flat_workgroup_size: 512
    .name:           _ZN9rocsparseL26csrgemm_fill_block_per_rowILj512ELj32ELj1024ELj137ELj64ElidEEvT5_PKS1_S3_NS_24const_host_device_scalarIT6_EEPKT4_S3_PKS5_S9_S3_SB_S6_S9_S3_SB_S9_PS1_PS5_21rocsparse_index_base_SE_SE_SE_bbb
    .private_segment_fixed_size: 0
    .sgpr_count:     58
    .sgpr_spill_count: 0
    .symbol:         _ZN9rocsparseL26csrgemm_fill_block_per_rowILj512ELj32ELj1024ELj137ELj64ElidEEvT5_PKS1_S3_NS_24const_host_device_scalarIT6_EEPKT4_S3_PKS5_S9_S3_SB_S6_S9_S3_SB_S9_PS1_PS5_21rocsparse_index_base_SE_SE_SE_bbb.kd
    .uniform_work_group_size: 1
    .uses_dynamic_stack: false
    .vgpr_count:     27
    .vgpr_spill_count: 0
    .wavefront_size: 64
  - .agpr_count:     0
    .args:
      - .offset:         0
        .size:           4
        .value_kind:     by_value
      - .actual_access:  read_only
        .address_space:  global
        .offset:         8
        .size:           8
        .value_kind:     global_buffer
      - .actual_access:  read_only
        .address_space:  global
        .offset:         16
        .size:           8
        .value_kind:     global_buffer
      - .offset:         24
        .size:           8
        .value_kind:     by_value
      - .actual_access:  read_only
        .address_space:  global
        .offset:         32
        .size:           8
        .value_kind:     global_buffer
      - .actual_access:  read_only
        .address_space:  global
        .offset:         40
        .size:           8
        .value_kind:     global_buffer
      - .actual_access:  read_only
        .address_space:  global
        .offset:         48
        .size:           8
        .value_kind:     global_buffer
      - .actual_access:  read_only
        .address_space:  global
        .offset:         56
        .size:           8
        .value_kind:     global_buffer
      - .actual_access:  read_only
        .address_space:  global
        .offset:         64
        .size:           8
        .value_kind:     global_buffer
      - .actual_access:  read_only
        .address_space:  global
        .offset:         72
        .size:           8
        .value_kind:     global_buffer
      - .offset:         80
        .size:           8
        .value_kind:     by_value
      - .actual_access:  read_only
        .address_space:  global
        .offset:         88
        .size:           8
        .value_kind:     global_buffer
      - .actual_access:  read_only
        .address_space:  global
        .offset:         96
        .size:           8
        .value_kind:     global_buffer
      - .actual_access:  read_only
        .address_space:  global
        .offset:         104
        .size:           8
        .value_kind:     global_buffer
      - .actual_access:  read_only
        .address_space:  global
        .offset:         112
        .size:           8
        .value_kind:     global_buffer
      - .actual_access:  write_only
        .address_space:  global
        .offset:         120
        .size:           8
        .value_kind:     global_buffer
      - .actual_access:  write_only
        .address_space:  global
        .offset:         128
        .size:           8
        .value_kind:     global_buffer
      - .offset:         136
        .size:           4
        .value_kind:     by_value
      - .offset:         140
        .size:           4
        .value_kind:     by_value
      - .offset:         144
        .size:           4
        .value_kind:     by_value
      - .offset:         148
        .size:           4
        .value_kind:     by_value
      - .offset:         152
        .size:           1
        .value_kind:     by_value
      - .offset:         153
        .size:           1
        .value_kind:     by_value
      - .offset:         154
        .size:           1
        .value_kind:     by_value
    .group_segment_fixed_size: 0
    .kernarg_segment_align: 8
    .kernarg_segment_size: 156
    .language:       OpenCL C
    .language_version:
      - 2
      - 0
    .max_flat_workgroup_size: 1024
    .name:           _ZN9rocsparseL26csrgemm_fill_block_per_rowILj1024ELj32ELj2048ELj137ELj32ElidEEvT5_PKS1_S3_NS_24const_host_device_scalarIT6_EEPKT4_S3_PKS5_S9_S3_SB_S6_S9_S3_SB_S9_PS1_PS5_21rocsparse_index_base_SE_SE_SE_bbb
    .private_segment_fixed_size: 0
    .sgpr_count:     84
    .sgpr_spill_count: 0
    .symbol:         _ZN9rocsparseL26csrgemm_fill_block_per_rowILj1024ELj32ELj2048ELj137ELj32ElidEEvT5_PKS1_S3_NS_24const_host_device_scalarIT6_EEPKT4_S3_PKS5_S9_S3_SB_S6_S9_S3_SB_S9_PS1_PS5_21rocsparse_index_base_SE_SE_SE_bbb.kd
    .uniform_work_group_size: 1
    .uses_dynamic_stack: false
    .vgpr_count:     28
    .vgpr_spill_count: 0
    .wavefront_size: 64
  - .agpr_count:     0
    .args:
      - .offset:         0
        .size:           4
        .value_kind:     by_value
      - .actual_access:  read_only
        .address_space:  global
        .offset:         8
        .size:           8
        .value_kind:     global_buffer
      - .actual_access:  read_only
        .address_space:  global
        .offset:         16
        .size:           8
        .value_kind:     global_buffer
      - .offset:         24
        .size:           8
        .value_kind:     by_value
      - .actual_access:  read_only
        .address_space:  global
        .offset:         32
        .size:           8
        .value_kind:     global_buffer
      - .actual_access:  read_only
        .address_space:  global
        .offset:         40
        .size:           8
        .value_kind:     global_buffer
      - .actual_access:  read_only
        .address_space:  global
        .offset:         48
        .size:           8
        .value_kind:     global_buffer
      - .actual_access:  read_only
        .address_space:  global
        .offset:         56
        .size:           8
        .value_kind:     global_buffer
      - .actual_access:  read_only
        .address_space:  global
        .offset:         64
        .size:           8
        .value_kind:     global_buffer
      - .actual_access:  read_only
        .address_space:  global
        .offset:         72
        .size:           8
        .value_kind:     global_buffer
      - .offset:         80
        .size:           8
        .value_kind:     by_value
      - .actual_access:  read_only
        .address_space:  global
        .offset:         88
        .size:           8
        .value_kind:     global_buffer
      - .actual_access:  read_only
        .address_space:  global
        .offset:         96
        .size:           8
        .value_kind:     global_buffer
      - .actual_access:  read_only
        .address_space:  global
        .offset:         104
        .size:           8
        .value_kind:     global_buffer
      - .actual_access:  read_only
        .address_space:  global
        .offset:         112
        .size:           8
        .value_kind:     global_buffer
      - .actual_access:  write_only
        .address_space:  global
        .offset:         120
        .size:           8
        .value_kind:     global_buffer
      - .actual_access:  write_only
        .address_space:  global
        .offset:         128
        .size:           8
        .value_kind:     global_buffer
      - .offset:         136
        .size:           4
        .value_kind:     by_value
      - .offset:         140
        .size:           4
        .value_kind:     by_value
      - .offset:         144
        .size:           4
        .value_kind:     by_value
      - .offset:         148
        .size:           4
        .value_kind:     by_value
      - .offset:         152
        .size:           1
        .value_kind:     by_value
      - .offset:         153
        .size:           1
        .value_kind:     by_value
      - .offset:         154
        .size:           1
        .value_kind:     by_value
    .group_segment_fixed_size: 0
    .kernarg_segment_align: 8
    .kernarg_segment_size: 156
    .language:       OpenCL C
    .language_version:
      - 2
      - 0
    .max_flat_workgroup_size: 1024
    .name:           _ZN9rocsparseL26csrgemm_fill_block_per_rowILj1024ELj32ELj2048ELj137ELj64ElidEEvT5_PKS1_S3_NS_24const_host_device_scalarIT6_EEPKT4_S3_PKS5_S9_S3_SB_S6_S9_S3_SB_S9_PS1_PS5_21rocsparse_index_base_SE_SE_SE_bbb
    .private_segment_fixed_size: 0
    .sgpr_count:     58
    .sgpr_spill_count: 0
    .symbol:         _ZN9rocsparseL26csrgemm_fill_block_per_rowILj1024ELj32ELj2048ELj137ELj64ElidEEvT5_PKS1_S3_NS_24const_host_device_scalarIT6_EEPKT4_S3_PKS5_S9_S3_SB_S6_S9_S3_SB_S9_PS1_PS5_21rocsparse_index_base_SE_SE_SE_bbb.kd
    .uniform_work_group_size: 1
    .uses_dynamic_stack: false
    .vgpr_count:     27
    .vgpr_spill_count: 0
    .wavefront_size: 64
  - .agpr_count:     0
    .args:
      - .offset:         0
        .size:           4
        .value_kind:     by_value
      - .actual_access:  read_only
        .address_space:  global
        .offset:         8
        .size:           8
        .value_kind:     global_buffer
      - .actual_access:  read_only
        .address_space:  global
        .offset:         16
        .size:           8
        .value_kind:     global_buffer
      - .offset:         24
        .size:           8
        .value_kind:     by_value
      - .actual_access:  read_only
        .address_space:  global
        .offset:         32
        .size:           8
        .value_kind:     global_buffer
      - .actual_access:  read_only
        .address_space:  global
        .offset:         40
        .size:           8
        .value_kind:     global_buffer
      - .actual_access:  read_only
        .address_space:  global
        .offset:         48
        .size:           8
        .value_kind:     global_buffer
      - .actual_access:  read_only
        .address_space:  global
        .offset:         56
        .size:           8
        .value_kind:     global_buffer
      - .actual_access:  read_only
        .address_space:  global
        .offset:         64
        .size:           8
        .value_kind:     global_buffer
      - .actual_access:  read_only
        .address_space:  global
        .offset:         72
        .size:           8
        .value_kind:     global_buffer
      - .offset:         80
        .size:           8
        .value_kind:     by_value
      - .actual_access:  read_only
        .address_space:  global
        .offset:         88
        .size:           8
        .value_kind:     global_buffer
      - .actual_access:  read_only
        .address_space:  global
        .offset:         96
        .size:           8
        .value_kind:     global_buffer
      - .actual_access:  read_only
        .address_space:  global
        .offset:         104
        .size:           8
        .value_kind:     global_buffer
      - .actual_access:  read_only
        .address_space:  global
        .offset:         112
        .size:           8
        .value_kind:     global_buffer
      - .actual_access:  write_only
        .address_space:  global
        .offset:         120
        .size:           8
        .value_kind:     global_buffer
      - .actual_access:  write_only
        .address_space:  global
        .offset:         128
        .size:           8
        .value_kind:     global_buffer
      - .offset:         136
        .size:           4
        .value_kind:     by_value
      - .offset:         140
        .size:           4
        .value_kind:     by_value
      - .offset:         144
        .size:           4
        .value_kind:     by_value
      - .offset:         148
        .size:           4
        .value_kind:     by_value
      - .offset:         152
        .size:           1
        .value_kind:     by_value
      - .offset:         153
        .size:           1
        .value_kind:     by_value
      - .offset:         154
        .size:           1
        .value_kind:     by_value
    .group_segment_fixed_size: 0
    .kernarg_segment_align: 8
    .kernarg_segment_size: 156
    .language:       OpenCL C
    .language_version:
      - 2
      - 0
    .max_flat_workgroup_size: 1024
    .name:           _ZN9rocsparseL26csrgemm_fill_block_per_rowILj1024ELj64ELj4096ELj137ELj32ElidEEvT5_PKS1_S3_NS_24const_host_device_scalarIT6_EEPKT4_S3_PKS5_S9_S3_SB_S6_S9_S3_SB_S9_PS1_PS5_21rocsparse_index_base_SE_SE_SE_bbb
    .private_segment_fixed_size: 0
    .sgpr_count:     84
    .sgpr_spill_count: 0
    .symbol:         _ZN9rocsparseL26csrgemm_fill_block_per_rowILj1024ELj64ELj4096ELj137ELj32ElidEEvT5_PKS1_S3_NS_24const_host_device_scalarIT6_EEPKT4_S3_PKS5_S9_S3_SB_S6_S9_S3_SB_S9_PS1_PS5_21rocsparse_index_base_SE_SE_SE_bbb.kd
    .uniform_work_group_size: 1
    .uses_dynamic_stack: false
    .vgpr_count:     27
    .vgpr_spill_count: 0
    .wavefront_size: 64
  - .agpr_count:     0
    .args:
      - .offset:         0
        .size:           4
        .value_kind:     by_value
      - .actual_access:  read_only
        .address_space:  global
        .offset:         8
        .size:           8
        .value_kind:     global_buffer
      - .actual_access:  read_only
        .address_space:  global
        .offset:         16
        .size:           8
        .value_kind:     global_buffer
      - .offset:         24
        .size:           8
        .value_kind:     by_value
      - .actual_access:  read_only
        .address_space:  global
        .offset:         32
        .size:           8
        .value_kind:     global_buffer
      - .actual_access:  read_only
        .address_space:  global
        .offset:         40
        .size:           8
        .value_kind:     global_buffer
      - .actual_access:  read_only
        .address_space:  global
        .offset:         48
        .size:           8
        .value_kind:     global_buffer
      - .actual_access:  read_only
        .address_space:  global
        .offset:         56
        .size:           8
        .value_kind:     global_buffer
      - .actual_access:  read_only
        .address_space:  global
        .offset:         64
        .size:           8
        .value_kind:     global_buffer
      - .actual_access:  read_only
        .address_space:  global
        .offset:         72
        .size:           8
        .value_kind:     global_buffer
      - .offset:         80
        .size:           8
        .value_kind:     by_value
      - .actual_access:  read_only
        .address_space:  global
        .offset:         88
        .size:           8
        .value_kind:     global_buffer
      - .actual_access:  read_only
        .address_space:  global
        .offset:         96
        .size:           8
        .value_kind:     global_buffer
      - .actual_access:  read_only
        .address_space:  global
        .offset:         104
        .size:           8
        .value_kind:     global_buffer
      - .actual_access:  read_only
        .address_space:  global
        .offset:         112
        .size:           8
        .value_kind:     global_buffer
      - .actual_access:  write_only
        .address_space:  global
        .offset:         120
        .size:           8
        .value_kind:     global_buffer
      - .actual_access:  write_only
        .address_space:  global
        .offset:         128
        .size:           8
        .value_kind:     global_buffer
      - .offset:         136
        .size:           4
        .value_kind:     by_value
      - .offset:         140
        .size:           4
        .value_kind:     by_value
      - .offset:         144
        .size:           4
        .value_kind:     by_value
      - .offset:         148
        .size:           4
        .value_kind:     by_value
      - .offset:         152
        .size:           1
        .value_kind:     by_value
      - .offset:         153
        .size:           1
        .value_kind:     by_value
      - .offset:         154
        .size:           1
        .value_kind:     by_value
    .group_segment_fixed_size: 0
    .kernarg_segment_align: 8
    .kernarg_segment_size: 156
    .language:       OpenCL C
    .language_version:
      - 2
      - 0
    .max_flat_workgroup_size: 1024
    .name:           _ZN9rocsparseL26csrgemm_fill_block_per_rowILj1024ELj64ELj4096ELj137ELj64ElidEEvT5_PKS1_S3_NS_24const_host_device_scalarIT6_EEPKT4_S3_PKS5_S9_S3_SB_S6_S9_S3_SB_S9_PS1_PS5_21rocsparse_index_base_SE_SE_SE_bbb
    .private_segment_fixed_size: 0
    .sgpr_count:     58
    .sgpr_spill_count: 0
    .symbol:         _ZN9rocsparseL26csrgemm_fill_block_per_rowILj1024ELj64ELj4096ELj137ELj64ElidEEvT5_PKS1_S3_NS_24const_host_device_scalarIT6_EEPKT4_S3_PKS5_S9_S3_SB_S6_S9_S3_SB_S9_PS1_PS5_21rocsparse_index_base_SE_SE_SE_bbb.kd
    .uniform_work_group_size: 1
    .uses_dynamic_stack: false
    .vgpr_count:     28
    .vgpr_spill_count: 0
    .wavefront_size: 64
  - .agpr_count:     0
    .args:
      - .offset:         0
        .size:           4
        .value_kind:     by_value
      - .actual_access:  read_only
        .address_space:  global
        .offset:         8
        .size:           8
        .value_kind:     global_buffer
      - .actual_access:  read_only
        .address_space:  global
        .offset:         16
        .size:           8
        .value_kind:     global_buffer
      - .offset:         24
        .size:           8
        .value_kind:     by_value
      - .actual_access:  read_only
        .address_space:  global
        .offset:         32
        .size:           8
        .value_kind:     global_buffer
      - .actual_access:  read_only
        .address_space:  global
        .offset:         40
        .size:           8
        .value_kind:     global_buffer
      - .actual_access:  read_only
        .address_space:  global
        .offset:         48
        .size:           8
        .value_kind:     global_buffer
      - .actual_access:  read_only
        .address_space:  global
        .offset:         56
        .size:           8
        .value_kind:     global_buffer
      - .actual_access:  read_only
        .address_space:  global
        .offset:         64
        .size:           8
        .value_kind:     global_buffer
      - .actual_access:  read_only
        .address_space:  global
        .offset:         72
        .size:           8
        .value_kind:     global_buffer
      - .offset:         80
        .size:           8
        .value_kind:     by_value
      - .actual_access:  read_only
        .address_space:  global
        .offset:         88
        .size:           8
        .value_kind:     global_buffer
      - .actual_access:  read_only
        .address_space:  global
        .offset:         96
        .size:           8
        .value_kind:     global_buffer
      - .actual_access:  read_only
        .address_space:  global
        .offset:         104
        .size:           8
        .value_kind:     global_buffer
      - .actual_access:  read_only
        .address_space:  global
        .offset:         112
        .size:           8
        .value_kind:     global_buffer
      - .actual_access:  write_only
        .address_space:  global
        .offset:         120
        .size:           8
        .value_kind:     global_buffer
      - .actual_access:  write_only
        .address_space:  global
        .offset:         128
        .size:           8
        .value_kind:     global_buffer
      - .offset:         136
        .size:           4
        .value_kind:     by_value
      - .offset:         140
        .size:           4
        .value_kind:     by_value
      - .offset:         144
        .size:           4
        .value_kind:     by_value
      - .offset:         148
        .size:           4
        .value_kind:     by_value
      - .offset:         152
        .size:           1
        .value_kind:     by_value
      - .offset:         153
        .size:           1
        .value_kind:     by_value
      - .offset:         154
        .size:           1
        .value_kind:     by_value
    .group_segment_fixed_size: 0
    .kernarg_segment_align: 8
    .kernarg_segment_size: 156
    .language:       OpenCL C
    .language_version:
      - 2
      - 0
    .max_flat_workgroup_size: 1024
    .name:           _ZN9rocsparseL26csrgemm_fill_block_per_rowILj1024ELj64ELj8192ELj137ELj32ElidEEvT5_PKS1_S3_NS_24const_host_device_scalarIT6_EEPKT4_S3_PKS5_S9_S3_SB_S6_S9_S3_SB_S9_PS1_PS5_21rocsparse_index_base_SE_SE_SE_bbb
    .private_segment_fixed_size: 0
    .sgpr_count:     100
    .sgpr_spill_count: 18
    .symbol:         _ZN9rocsparseL26csrgemm_fill_block_per_rowILj1024ELj64ELj8192ELj137ELj32ElidEEvT5_PKS1_S3_NS_24const_host_device_scalarIT6_EEPKT4_S3_PKS5_S9_S3_SB_S6_S9_S3_SB_S9_PS1_PS5_21rocsparse_index_base_SE_SE_SE_bbb.kd
    .uniform_work_group_size: 1
    .uses_dynamic_stack: false
    .vgpr_count:     26
    .vgpr_spill_count: 0
    .wavefront_size: 64
  - .agpr_count:     0
    .args:
      - .offset:         0
        .size:           4
        .value_kind:     by_value
      - .actual_access:  read_only
        .address_space:  global
        .offset:         8
        .size:           8
        .value_kind:     global_buffer
      - .actual_access:  read_only
        .address_space:  global
        .offset:         16
        .size:           8
        .value_kind:     global_buffer
      - .offset:         24
        .size:           8
        .value_kind:     by_value
      - .actual_access:  read_only
        .address_space:  global
        .offset:         32
        .size:           8
        .value_kind:     global_buffer
      - .actual_access:  read_only
        .address_space:  global
        .offset:         40
        .size:           8
        .value_kind:     global_buffer
      - .actual_access:  read_only
        .address_space:  global
        .offset:         48
        .size:           8
        .value_kind:     global_buffer
      - .actual_access:  read_only
        .address_space:  global
        .offset:         56
        .size:           8
        .value_kind:     global_buffer
      - .actual_access:  read_only
        .address_space:  global
        .offset:         64
        .size:           8
        .value_kind:     global_buffer
      - .actual_access:  read_only
        .address_space:  global
        .offset:         72
        .size:           8
        .value_kind:     global_buffer
      - .offset:         80
        .size:           8
        .value_kind:     by_value
      - .actual_access:  read_only
        .address_space:  global
        .offset:         88
        .size:           8
        .value_kind:     global_buffer
      - .actual_access:  read_only
        .address_space:  global
        .offset:         96
        .size:           8
        .value_kind:     global_buffer
      - .actual_access:  read_only
        .address_space:  global
        .offset:         104
        .size:           8
        .value_kind:     global_buffer
      - .actual_access:  read_only
        .address_space:  global
        .offset:         112
        .size:           8
        .value_kind:     global_buffer
      - .actual_access:  write_only
        .address_space:  global
        .offset:         120
        .size:           8
        .value_kind:     global_buffer
      - .actual_access:  write_only
        .address_space:  global
        .offset:         128
        .size:           8
        .value_kind:     global_buffer
      - .offset:         136
        .size:           4
        .value_kind:     by_value
      - .offset:         140
        .size:           4
        .value_kind:     by_value
      - .offset:         144
        .size:           4
        .value_kind:     by_value
      - .offset:         148
        .size:           4
        .value_kind:     by_value
      - .offset:         152
        .size:           1
        .value_kind:     by_value
      - .offset:         153
        .size:           1
        .value_kind:     by_value
      - .offset:         154
        .size:           1
        .value_kind:     by_value
    .group_segment_fixed_size: 0
    .kernarg_segment_align: 8
    .kernarg_segment_size: 156
    .language:       OpenCL C
    .language_version:
      - 2
      - 0
    .max_flat_workgroup_size: 1024
    .name:           _ZN9rocsparseL26csrgemm_fill_block_per_rowILj1024ELj64ELj8192ELj137ELj64ElidEEvT5_PKS1_S3_NS_24const_host_device_scalarIT6_EEPKT4_S3_PKS5_S9_S3_SB_S6_S9_S3_SB_S9_PS1_PS5_21rocsparse_index_base_SE_SE_SE_bbb
    .private_segment_fixed_size: 0
    .sgpr_count:     67
    .sgpr_spill_count: 0
    .symbol:         _ZN9rocsparseL26csrgemm_fill_block_per_rowILj1024ELj64ELj8192ELj137ELj64ElidEEvT5_PKS1_S3_NS_24const_host_device_scalarIT6_EEPKT4_S3_PKS5_S9_S3_SB_S6_S9_S3_SB_S9_PS1_PS5_21rocsparse_index_base_SE_SE_SE_bbb.kd
    .uniform_work_group_size: 1
    .uses_dynamic_stack: false
    .vgpr_count:     26
    .vgpr_spill_count: 0
    .wavefront_size: 64
  - .agpr_count:     0
    .args:
      - .offset:         0
        .size:           4
        .value_kind:     by_value
      - .actual_access:  read_only
        .address_space:  global
        .offset:         8
        .size:           8
        .value_kind:     global_buffer
      - .actual_access:  read_only
        .address_space:  global
        .offset:         16
        .size:           8
        .value_kind:     global_buffer
      - .offset:         24
        .size:           8
        .value_kind:     by_value
      - .actual_access:  read_only
        .address_space:  global
        .offset:         32
        .size:           8
        .value_kind:     global_buffer
      - .actual_access:  read_only
        .address_space:  global
        .offset:         40
        .size:           8
        .value_kind:     global_buffer
      - .actual_access:  read_only
        .address_space:  global
        .offset:         48
        .size:           8
        .value_kind:     global_buffer
      - .actual_access:  read_only
        .address_space:  global
        .offset:         56
        .size:           8
        .value_kind:     global_buffer
      - .actual_access:  read_only
        .address_space:  global
        .offset:         64
        .size:           8
        .value_kind:     global_buffer
      - .actual_access:  read_only
        .address_space:  global
        .offset:         72
        .size:           8
        .value_kind:     global_buffer
      - .offset:         80
        .size:           8
        .value_kind:     by_value
      - .actual_access:  read_only
        .address_space:  global
        .offset:         88
        .size:           8
        .value_kind:     global_buffer
      - .actual_access:  read_only
        .address_space:  global
        .offset:         96
        .size:           8
        .value_kind:     global_buffer
      - .actual_access:  read_only
        .address_space:  global
        .offset:         104
        .size:           8
        .value_kind:     global_buffer
      - .actual_access:  read_only
        .address_space:  global
        .offset:         112
        .size:           8
        .value_kind:     global_buffer
      - .actual_access:  write_only
        .address_space:  global
        .offset:         120
        .size:           8
        .value_kind:     global_buffer
      - .actual_access:  write_only
        .address_space:  global
        .offset:         128
        .size:           8
        .value_kind:     global_buffer
      - .offset:         136
        .size:           4
        .value_kind:     by_value
      - .offset:         140
        .size:           4
        .value_kind:     by_value
      - .offset:         144
        .size:           4
        .value_kind:     by_value
      - .offset:         148
        .size:           4
        .value_kind:     by_value
      - .offset:         152
        .size:           1
        .value_kind:     by_value
      - .offset:         153
        .size:           1
        .value_kind:     by_value
      - .offset:         154
        .size:           1
        .value_kind:     by_value
    .group_segment_fixed_size: 0
    .kernarg_segment_align: 8
    .kernarg_segment_size: 156
    .language:       OpenCL C
    .language_version:
      - 2
      - 0
    .max_flat_workgroup_size: 1024
    .name:           _ZN9rocsparseL26csrgemm_fill_block_per_rowILj1024ELj64ELj16384ELj137ELj32ElidEEvT5_PKS1_S3_NS_24const_host_device_scalarIT6_EEPKT4_S3_PKS5_S9_S3_SB_S6_S9_S3_SB_S9_PS1_PS5_21rocsparse_index_base_SE_SE_SE_bbb
    .private_segment_fixed_size: 0
    .sgpr_count:     100
    .sgpr_spill_count: 28
    .symbol:         _ZN9rocsparseL26csrgemm_fill_block_per_rowILj1024ELj64ELj16384ELj137ELj32ElidEEvT5_PKS1_S3_NS_24const_host_device_scalarIT6_EEPKT4_S3_PKS5_S9_S3_SB_S6_S9_S3_SB_S9_PS1_PS5_21rocsparse_index_base_SE_SE_SE_bbb.kd
    .uniform_work_group_size: 1
    .uses_dynamic_stack: false
    .vgpr_count:     28
    .vgpr_spill_count: 0
    .wavefront_size: 64
  - .agpr_count:     0
    .args:
      - .offset:         0
        .size:           4
        .value_kind:     by_value
      - .actual_access:  read_only
        .address_space:  global
        .offset:         8
        .size:           8
        .value_kind:     global_buffer
      - .actual_access:  read_only
        .address_space:  global
        .offset:         16
        .size:           8
        .value_kind:     global_buffer
      - .offset:         24
        .size:           8
        .value_kind:     by_value
      - .actual_access:  read_only
        .address_space:  global
        .offset:         32
        .size:           8
        .value_kind:     global_buffer
      - .actual_access:  read_only
        .address_space:  global
        .offset:         40
        .size:           8
        .value_kind:     global_buffer
      - .actual_access:  read_only
        .address_space:  global
        .offset:         48
        .size:           8
        .value_kind:     global_buffer
      - .actual_access:  read_only
        .address_space:  global
        .offset:         56
        .size:           8
        .value_kind:     global_buffer
      - .actual_access:  read_only
        .address_space:  global
        .offset:         64
        .size:           8
        .value_kind:     global_buffer
      - .actual_access:  read_only
        .address_space:  global
        .offset:         72
        .size:           8
        .value_kind:     global_buffer
      - .offset:         80
        .size:           8
        .value_kind:     by_value
      - .actual_access:  read_only
        .address_space:  global
        .offset:         88
        .size:           8
        .value_kind:     global_buffer
      - .actual_access:  read_only
        .address_space:  global
        .offset:         96
        .size:           8
        .value_kind:     global_buffer
      - .actual_access:  read_only
        .address_space:  global
        .offset:         104
        .size:           8
        .value_kind:     global_buffer
      - .actual_access:  read_only
        .address_space:  global
        .offset:         112
        .size:           8
        .value_kind:     global_buffer
      - .actual_access:  write_only
        .address_space:  global
        .offset:         120
        .size:           8
        .value_kind:     global_buffer
      - .actual_access:  write_only
        .address_space:  global
        .offset:         128
        .size:           8
        .value_kind:     global_buffer
      - .offset:         136
        .size:           4
        .value_kind:     by_value
      - .offset:         140
        .size:           4
        .value_kind:     by_value
      - .offset:         144
        .size:           4
        .value_kind:     by_value
      - .offset:         148
        .size:           4
        .value_kind:     by_value
      - .offset:         152
        .size:           1
        .value_kind:     by_value
      - .offset:         153
        .size:           1
        .value_kind:     by_value
      - .offset:         154
        .size:           1
        .value_kind:     by_value
    .group_segment_fixed_size: 0
    .kernarg_segment_align: 8
    .kernarg_segment_size: 156
    .language:       OpenCL C
    .language_version:
      - 2
      - 0
    .max_flat_workgroup_size: 1024
    .name:           _ZN9rocsparseL26csrgemm_fill_block_per_rowILj1024ELj64ELj16384ELj137ELj64ElidEEvT5_PKS1_S3_NS_24const_host_device_scalarIT6_EEPKT4_S3_PKS5_S9_S3_SB_S6_S9_S3_SB_S9_PS1_PS5_21rocsparse_index_base_SE_SE_SE_bbb
    .private_segment_fixed_size: 0
    .sgpr_count:     67
    .sgpr_spill_count: 0
    .symbol:         _ZN9rocsparseL26csrgemm_fill_block_per_rowILj1024ELj64ELj16384ELj137ELj64ElidEEvT5_PKS1_S3_NS_24const_host_device_scalarIT6_EEPKT4_S3_PKS5_S9_S3_SB_S6_S9_S3_SB_S9_PS1_PS5_21rocsparse_index_base_SE_SE_SE_bbb.kd
    .uniform_work_group_size: 1
    .uses_dynamic_stack: false
    .vgpr_count:     28
    .vgpr_spill_count: 0
    .wavefront_size: 64
  - .agpr_count:     0
    .args:
      - .offset:         0
        .size:           4
        .value_kind:     by_value
      - .actual_access:  read_only
        .address_space:  global
        .offset:         8
        .size:           8
        .value_kind:     global_buffer
      - .actual_access:  read_only
        .address_space:  global
        .offset:         16
        .size:           8
        .value_kind:     global_buffer
      - .offset:         24
        .size:           8
        .value_kind:     by_value
      - .actual_access:  read_only
        .address_space:  global
        .offset:         32
        .size:           8
        .value_kind:     global_buffer
      - .actual_access:  read_only
        .address_space:  global
        .offset:         40
        .size:           8
        .value_kind:     global_buffer
      - .actual_access:  read_only
        .address_space:  global
        .offset:         48
        .size:           8
        .value_kind:     global_buffer
      - .actual_access:  read_only
        .address_space:  global
        .offset:         56
        .size:           8
        .value_kind:     global_buffer
      - .actual_access:  read_only
        .address_space:  global
        .offset:         64
        .size:           8
        .value_kind:     global_buffer
      - .actual_access:  read_only
        .address_space:  global
        .offset:         72
        .size:           8
        .value_kind:     global_buffer
      - .offset:         80
        .size:           8
        .value_kind:     by_value
      - .actual_access:  read_only
        .address_space:  global
        .offset:         88
        .size:           8
        .value_kind:     global_buffer
      - .actual_access:  read_only
        .address_space:  global
        .offset:         96
        .size:           8
        .value_kind:     global_buffer
      - .actual_access:  read_only
        .address_space:  global
        .offset:         104
        .size:           8
        .value_kind:     global_buffer
      - .actual_access:  read_only
        .address_space:  global
        .offset:         112
        .size:           8
        .value_kind:     global_buffer
      - .actual_access:  write_only
        .address_space:  global
        .offset:         120
        .size:           8
        .value_kind:     global_buffer
      - .actual_access:  write_only
        .address_space:  global
        .offset:         128
        .size:           8
        .value_kind:     global_buffer
      - .offset:         136
        .size:           4
        .value_kind:     by_value
      - .offset:         140
        .size:           4
        .value_kind:     by_value
      - .offset:         144
        .size:           4
        .value_kind:     by_value
      - .offset:         148
        .size:           4
        .value_kind:     by_value
      - .offset:         152
        .size:           1
        .value_kind:     by_value
      - .offset:         153
        .size:           1
        .value_kind:     by_value
      - .offset:         154
        .size:           1
        .value_kind:     by_value
    .group_segment_fixed_size: 0
    .kernarg_segment_align: 8
    .kernarg_segment_size: 156
    .language:       OpenCL C
    .language_version:
      - 2
      - 0
    .max_flat_workgroup_size: 1024
    .name:           _ZN9rocsparseL26csrgemm_fill_block_per_rowILj1024ELj64ELj32768ELj137ELj32ElidEEvT5_PKS1_S3_NS_24const_host_device_scalarIT6_EEPKT4_S3_PKS5_S9_S3_SB_S6_S9_S3_SB_S9_PS1_PS5_21rocsparse_index_base_SE_SE_SE_bbb
    .private_segment_fixed_size: 0
    .sgpr_count:     100
    .sgpr_spill_count: 28
    .symbol:         _ZN9rocsparseL26csrgemm_fill_block_per_rowILj1024ELj64ELj32768ELj137ELj32ElidEEvT5_PKS1_S3_NS_24const_host_device_scalarIT6_EEPKT4_S3_PKS5_S9_S3_SB_S6_S9_S3_SB_S9_PS1_PS5_21rocsparse_index_base_SE_SE_SE_bbb.kd
    .uniform_work_group_size: 1
    .uses_dynamic_stack: false
    .vgpr_count:     28
    .vgpr_spill_count: 0
    .wavefront_size: 64
  - .agpr_count:     0
    .args:
      - .offset:         0
        .size:           4
        .value_kind:     by_value
      - .actual_access:  read_only
        .address_space:  global
        .offset:         8
        .size:           8
        .value_kind:     global_buffer
      - .actual_access:  read_only
        .address_space:  global
        .offset:         16
        .size:           8
        .value_kind:     global_buffer
      - .offset:         24
        .size:           8
        .value_kind:     by_value
      - .actual_access:  read_only
        .address_space:  global
        .offset:         32
        .size:           8
        .value_kind:     global_buffer
      - .actual_access:  read_only
        .address_space:  global
        .offset:         40
        .size:           8
        .value_kind:     global_buffer
      - .actual_access:  read_only
        .address_space:  global
        .offset:         48
        .size:           8
        .value_kind:     global_buffer
      - .actual_access:  read_only
        .address_space:  global
        .offset:         56
        .size:           8
        .value_kind:     global_buffer
      - .actual_access:  read_only
        .address_space:  global
        .offset:         64
        .size:           8
        .value_kind:     global_buffer
      - .actual_access:  read_only
        .address_space:  global
        .offset:         72
        .size:           8
        .value_kind:     global_buffer
      - .offset:         80
        .size:           8
        .value_kind:     by_value
      - .actual_access:  read_only
        .address_space:  global
        .offset:         88
        .size:           8
        .value_kind:     global_buffer
      - .actual_access:  read_only
        .address_space:  global
        .offset:         96
        .size:           8
        .value_kind:     global_buffer
      - .actual_access:  read_only
        .address_space:  global
        .offset:         104
        .size:           8
        .value_kind:     global_buffer
      - .actual_access:  read_only
        .address_space:  global
        .offset:         112
        .size:           8
        .value_kind:     global_buffer
      - .actual_access:  write_only
        .address_space:  global
        .offset:         120
        .size:           8
        .value_kind:     global_buffer
      - .actual_access:  write_only
        .address_space:  global
        .offset:         128
        .size:           8
        .value_kind:     global_buffer
      - .offset:         136
        .size:           4
        .value_kind:     by_value
      - .offset:         140
        .size:           4
        .value_kind:     by_value
      - .offset:         144
        .size:           4
        .value_kind:     by_value
      - .offset:         148
        .size:           4
        .value_kind:     by_value
      - .offset:         152
        .size:           1
        .value_kind:     by_value
      - .offset:         153
        .size:           1
        .value_kind:     by_value
      - .offset:         154
        .size:           1
        .value_kind:     by_value
    .group_segment_fixed_size: 0
    .kernarg_segment_align: 8
    .kernarg_segment_size: 156
    .language:       OpenCL C
    .language_version:
      - 2
      - 0
    .max_flat_workgroup_size: 1024
    .name:           _ZN9rocsparseL26csrgemm_fill_block_per_rowILj1024ELj64ELj32768ELj137ELj64ElidEEvT5_PKS1_S3_NS_24const_host_device_scalarIT6_EEPKT4_S3_PKS5_S9_S3_SB_S6_S9_S3_SB_S9_PS1_PS5_21rocsparse_index_base_SE_SE_SE_bbb
    .private_segment_fixed_size: 0
    .sgpr_count:     67
    .sgpr_spill_count: 0
    .symbol:         _ZN9rocsparseL26csrgemm_fill_block_per_rowILj1024ELj64ELj32768ELj137ELj64ElidEEvT5_PKS1_S3_NS_24const_host_device_scalarIT6_EEPKT4_S3_PKS5_S9_S3_SB_S6_S9_S3_SB_S9_PS1_PS5_21rocsparse_index_base_SE_SE_SE_bbb.kd
    .uniform_work_group_size: 1
    .uses_dynamic_stack: false
    .vgpr_count:     28
    .vgpr_spill_count: 0
    .wavefront_size: 64
  - .agpr_count:     0
    .args:
      - .offset:         0
        .size:           4
        .value_kind:     by_value
      - .actual_access:  read_only
        .address_space:  global
        .offset:         8
        .size:           8
        .value_kind:     global_buffer
      - .actual_access:  read_only
        .address_space:  global
        .offset:         16
        .size:           8
        .value_kind:     global_buffer
      - .offset:         24
        .size:           8
        .value_kind:     by_value
      - .actual_access:  read_only
        .address_space:  global
        .offset:         32
        .size:           8
        .value_kind:     global_buffer
      - .actual_access:  read_only
        .address_space:  global
        .offset:         40
        .size:           8
        .value_kind:     global_buffer
      - .actual_access:  read_only
        .address_space:  global
        .offset:         48
        .size:           8
        .value_kind:     global_buffer
      - .actual_access:  read_only
        .address_space:  global
        .offset:         56
        .size:           8
        .value_kind:     global_buffer
      - .actual_access:  read_only
        .address_space:  global
        .offset:         64
        .size:           8
        .value_kind:     global_buffer
      - .actual_access:  read_only
        .address_space:  global
        .offset:         72
        .size:           8
        .value_kind:     global_buffer
      - .offset:         80
        .size:           8
        .value_kind:     by_value
      - .actual_access:  read_only
        .address_space:  global
        .offset:         88
        .size:           8
        .value_kind:     global_buffer
      - .actual_access:  read_only
        .address_space:  global
        .offset:         96
        .size:           8
        .value_kind:     global_buffer
      - .actual_access:  read_only
        .address_space:  global
        .offset:         104
        .size:           8
        .value_kind:     global_buffer
      - .actual_access:  read_only
        .address_space:  global
        .offset:         112
        .size:           8
        .value_kind:     global_buffer
      - .actual_access:  write_only
        .address_space:  global
        .offset:         120
        .size:           8
        .value_kind:     global_buffer
      - .actual_access:  write_only
        .address_space:  global
        .offset:         128
        .size:           8
        .value_kind:     global_buffer
      - .address_space:  global
        .offset:         136
        .size:           8
        .value_kind:     global_buffer
      - .offset:         144
        .size:           4
        .value_kind:     by_value
      - .offset:         148
        .size:           4
        .value_kind:     by_value
      - .offset:         152
        .size:           4
        .value_kind:     by_value
      - .offset:         156
        .size:           4
        .value_kind:     by_value
      - .offset:         160
        .size:           1
        .value_kind:     by_value
      - .offset:         161
        .size:           1
        .value_kind:     by_value
      - .offset:         162
        .size:           1
        .value_kind:     by_value
    .group_segment_fixed_size: 18440
    .kernarg_segment_align: 8
    .kernarg_segment_size: 164
    .language:       OpenCL C
    .language_version:
      - 2
      - 0
    .max_flat_workgroup_size: 512
    .name:           _ZN9rocsparseL36csrgemm_fill_block_per_row_multipassILj512ELj16ELj2048ELj32ElidEEvT4_PKS1_S3_NS_24const_host_device_scalarIT5_EEPKT3_S3_PKS5_S9_S3_SB_S6_S9_S3_SB_S9_PS1_PS5_PS7_21rocsparse_index_base_SF_SF_SF_bbb
    .private_segment_fixed_size: 0
    .sgpr_count:     100
    .sgpr_spill_count: 9
    .symbol:         _ZN9rocsparseL36csrgemm_fill_block_per_row_multipassILj512ELj16ELj2048ELj32ElidEEvT4_PKS1_S3_NS_24const_host_device_scalarIT5_EEPKT3_S3_PKS5_S9_S3_SB_S6_S9_S3_SB_S9_PS1_PS5_PS7_21rocsparse_index_base_SF_SF_SF_bbb.kd
    .uniform_work_group_size: 1
    .uses_dynamic_stack: false
    .vgpr_count:     44
    .vgpr_spill_count: 0
    .wavefront_size: 64
  - .agpr_count:     0
    .args:
      - .offset:         0
        .size:           4
        .value_kind:     by_value
      - .actual_access:  read_only
        .address_space:  global
        .offset:         8
        .size:           8
        .value_kind:     global_buffer
      - .actual_access:  read_only
        .address_space:  global
        .offset:         16
        .size:           8
        .value_kind:     global_buffer
      - .offset:         24
        .size:           8
        .value_kind:     by_value
      - .actual_access:  read_only
        .address_space:  global
        .offset:         32
        .size:           8
        .value_kind:     global_buffer
      - .actual_access:  read_only
        .address_space:  global
        .offset:         40
        .size:           8
        .value_kind:     global_buffer
      - .actual_access:  read_only
        .address_space:  global
        .offset:         48
        .size:           8
        .value_kind:     global_buffer
      - .actual_access:  read_only
        .address_space:  global
        .offset:         56
        .size:           8
        .value_kind:     global_buffer
      - .actual_access:  read_only
        .address_space:  global
        .offset:         64
        .size:           8
        .value_kind:     global_buffer
      - .actual_access:  read_only
        .address_space:  global
        .offset:         72
        .size:           8
        .value_kind:     global_buffer
      - .offset:         80
        .size:           8
        .value_kind:     by_value
      - .actual_access:  read_only
        .address_space:  global
        .offset:         88
        .size:           8
        .value_kind:     global_buffer
      - .actual_access:  read_only
        .address_space:  global
        .offset:         96
        .size:           8
        .value_kind:     global_buffer
      - .actual_access:  read_only
        .address_space:  global
        .offset:         104
        .size:           8
        .value_kind:     global_buffer
      - .actual_access:  read_only
        .address_space:  global
        .offset:         112
        .size:           8
        .value_kind:     global_buffer
      - .actual_access:  write_only
        .address_space:  global
        .offset:         120
        .size:           8
        .value_kind:     global_buffer
      - .actual_access:  write_only
        .address_space:  global
        .offset:         128
        .size:           8
        .value_kind:     global_buffer
      - .address_space:  global
        .offset:         136
        .size:           8
        .value_kind:     global_buffer
      - .offset:         144
        .size:           4
        .value_kind:     by_value
      - .offset:         148
        .size:           4
        .value_kind:     by_value
      - .offset:         152
        .size:           4
        .value_kind:     by_value
      - .offset:         156
        .size:           4
        .value_kind:     by_value
      - .offset:         160
        .size:           1
        .value_kind:     by_value
      - .offset:         161
        .size:           1
        .value_kind:     by_value
      - .offset:         162
        .size:           1
        .value_kind:     by_value
    .group_segment_fixed_size: 18440
    .kernarg_segment_align: 8
    .kernarg_segment_size: 164
    .language:       OpenCL C
    .language_version:
      - 2
      - 0
    .max_flat_workgroup_size: 512
    .name:           _ZN9rocsparseL36csrgemm_fill_block_per_row_multipassILj512ELj16ELj2048ELj64ElidEEvT4_PKS1_S3_NS_24const_host_device_scalarIT5_EEPKT3_S3_PKS5_S9_S3_SB_S6_S9_S3_SB_S9_PS1_PS5_PS7_21rocsparse_index_base_SF_SF_SF_bbb
    .private_segment_fixed_size: 0
    .sgpr_count:     88
    .sgpr_spill_count: 0
    .symbol:         _ZN9rocsparseL36csrgemm_fill_block_per_row_multipassILj512ELj16ELj2048ELj64ElidEEvT4_PKS1_S3_NS_24const_host_device_scalarIT5_EEPKT3_S3_PKS5_S9_S3_SB_S6_S9_S3_SB_S9_PS1_PS5_PS7_21rocsparse_index_base_SF_SF_SF_bbb.kd
    .uniform_work_group_size: 1
    .uses_dynamic_stack: false
    .vgpr_count:     43
    .vgpr_spill_count: 0
    .wavefront_size: 64
  - .agpr_count:     0
    .args:
      - .offset:         0
        .size:           4
        .value_kind:     by_value
      - .actual_access:  read_only
        .address_space:  global
        .offset:         8
        .size:           8
        .value_kind:     global_buffer
      - .actual_access:  write_only
        .address_space:  global
        .offset:         16
        .size:           8
        .value_kind:     global_buffer
      - .actual_access:  write_only
        .address_space:  global
        .offset:         24
        .size:           8
        .value_kind:     global_buffer
      - .offset:         32
        .size:           4
        .value_kind:     by_value
      - .offset:         40
        .size:           4
        .value_kind:     hidden_block_count_x
      - .offset:         44
        .size:           4
        .value_kind:     hidden_block_count_y
      - .offset:         48
        .size:           4
        .value_kind:     hidden_block_count_z
      - .offset:         52
        .size:           2
        .value_kind:     hidden_group_size_x
      - .offset:         54
        .size:           2
        .value_kind:     hidden_group_size_y
      - .offset:         56
        .size:           2
        .value_kind:     hidden_group_size_z
      - .offset:         58
        .size:           2
        .value_kind:     hidden_remainder_x
      - .offset:         60
        .size:           2
        .value_kind:     hidden_remainder_y
      - .offset:         62
        .size:           2
        .value_kind:     hidden_remainder_z
      - .offset:         80
        .size:           8
        .value_kind:     hidden_global_offset_x
      - .offset:         88
        .size:           8
        .value_kind:     hidden_global_offset_y
      - .offset:         96
        .size:           8
        .value_kind:     hidden_global_offset_z
      - .offset:         104
        .size:           2
        .value_kind:     hidden_grid_dims
    .group_segment_fixed_size: 11264
    .kernarg_segment_align: 8
    .kernarg_segment_size: 296
    .language:       OpenCL C
    .language_version:
      - 2
      - 0
    .max_flat_workgroup_size: 256
    .name:           _ZN9rocsparseL26csrgemm_group_reduce_part2ILj256ELj11E21rocsparse_complex_numIfEliEEvT3_PKT2_PS3_Pij
    .private_segment_fixed_size: 0
    .sgpr_count:     64
    .sgpr_spill_count: 0
    .symbol:         _ZN9rocsparseL26csrgemm_group_reduce_part2ILj256ELj11E21rocsparse_complex_numIfEliEEvT3_PKT2_PS3_Pij.kd
    .uniform_work_group_size: 1
    .uses_dynamic_stack: false
    .vgpr_count:     22
    .vgpr_spill_count: 0
    .wavefront_size: 64
  - .agpr_count:     0
    .args:
      - .offset:         0
        .size:           4
        .value_kind:     by_value
      - .offset:         4
        .size:           4
        .value_kind:     by_value
      - .actual_access:  read_only
        .address_space:  global
        .offset:         8
        .size:           8
        .value_kind:     global_buffer
      - .actual_access:  read_only
        .address_space:  global
        .offset:         16
        .size:           8
        .value_kind:     global_buffer
      - .offset:         24
        .size:           8
        .value_kind:     by_value
      - .actual_access:  read_only
        .address_space:  global
        .offset:         32
        .size:           8
        .value_kind:     global_buffer
      - .actual_access:  read_only
        .address_space:  global
        .offset:         40
        .size:           8
        .value_kind:     global_buffer
      - .actual_access:  read_only
        .address_space:  global
        .offset:         48
        .size:           8
        .value_kind:     global_buffer
      - .actual_access:  read_only
        .address_space:  global
        .offset:         56
        .size:           8
        .value_kind:     global_buffer
      - .actual_access:  read_only
        .address_space:  global
        .offset:         64
        .size:           8
        .value_kind:     global_buffer
      - .actual_access:  read_only
        .address_space:  global
        .offset:         72
        .size:           8
        .value_kind:     global_buffer
      - .offset:         80
        .size:           8
        .value_kind:     by_value
      - .actual_access:  read_only
        .address_space:  global
        .offset:         88
        .size:           8
        .value_kind:     global_buffer
      - .actual_access:  read_only
        .address_space:  global
        .offset:         96
        .size:           8
        .value_kind:     global_buffer
      - .actual_access:  read_only
        .address_space:  global
        .offset:         104
        .size:           8
        .value_kind:     global_buffer
      - .actual_access:  read_only
        .address_space:  global
        .offset:         112
        .size:           8
        .value_kind:     global_buffer
      - .actual_access:  write_only
        .address_space:  global
        .offset:         120
        .size:           8
        .value_kind:     global_buffer
      - .actual_access:  write_only
        .address_space:  global
        .offset:         128
        .size:           8
        .value_kind:     global_buffer
      - .offset:         136
        .size:           4
        .value_kind:     by_value
      - .offset:         140
        .size:           4
        .value_kind:     by_value
      - .offset:         144
        .size:           4
        .value_kind:     by_value
      - .offset:         148
        .size:           4
        .value_kind:     by_value
      - .offset:         152
        .size:           1
        .value_kind:     by_value
      - .offset:         153
        .size:           1
        .value_kind:     by_value
      - .offset:         154
        .size:           1
        .value_kind:     by_value
    .group_segment_fixed_size: 6144
    .kernarg_segment_align: 8
    .kernarg_segment_size: 156
    .language:       OpenCL C
    .language_version:
      - 2
      - 0
    .max_flat_workgroup_size: 256
    .name:           _ZN9rocsparseL23csrgemm_fill_wf_per_rowILj256ELj8ELj16ELj137Eli21rocsparse_complex_numIfEEEvT4_S3_PKS3_S5_NS_24const_host_device_scalarIT5_EEPKT3_S5_PKS7_SB_S5_SD_S8_SB_S5_SD_SB_PS3_PS7_21rocsparse_index_base_SG_SG_SG_bbb
    .private_segment_fixed_size: 0
    .sgpr_count:     60
    .sgpr_spill_count: 0
    .symbol:         _ZN9rocsparseL23csrgemm_fill_wf_per_rowILj256ELj8ELj16ELj137Eli21rocsparse_complex_numIfEEEvT4_S3_PKS3_S5_NS_24const_host_device_scalarIT5_EEPKT3_S5_PKS7_SB_S5_SD_S8_SB_S5_SD_SB_PS3_PS7_21rocsparse_index_base_SG_SG_SG_bbb.kd
    .uniform_work_group_size: 1
    .uses_dynamic_stack: false
    .vgpr_count:     26
    .vgpr_spill_count: 0
    .wavefront_size: 64
  - .agpr_count:     0
    .args:
      - .offset:         0
        .size:           4
        .value_kind:     by_value
      - .offset:         4
        .size:           4
        .value_kind:     by_value
      - .actual_access:  read_only
        .address_space:  global
        .offset:         8
        .size:           8
        .value_kind:     global_buffer
      - .actual_access:  read_only
        .address_space:  global
        .offset:         16
        .size:           8
        .value_kind:     global_buffer
      - .offset:         24
        .size:           8
        .value_kind:     by_value
      - .actual_access:  read_only
        .address_space:  global
        .offset:         32
        .size:           8
        .value_kind:     global_buffer
      - .actual_access:  read_only
        .address_space:  global
        .offset:         40
        .size:           8
        .value_kind:     global_buffer
      - .actual_access:  read_only
        .address_space:  global
        .offset:         48
        .size:           8
        .value_kind:     global_buffer
      - .actual_access:  read_only
        .address_space:  global
        .offset:         56
        .size:           8
        .value_kind:     global_buffer
      - .actual_access:  read_only
        .address_space:  global
        .offset:         64
        .size:           8
        .value_kind:     global_buffer
      - .actual_access:  read_only
        .address_space:  global
        .offset:         72
        .size:           8
        .value_kind:     global_buffer
      - .offset:         80
        .size:           8
        .value_kind:     by_value
      - .actual_access:  read_only
        .address_space:  global
        .offset:         88
        .size:           8
        .value_kind:     global_buffer
      - .actual_access:  read_only
        .address_space:  global
        .offset:         96
        .size:           8
        .value_kind:     global_buffer
      - .actual_access:  read_only
        .address_space:  global
        .offset:         104
        .size:           8
        .value_kind:     global_buffer
      - .actual_access:  read_only
        .address_space:  global
        .offset:         112
        .size:           8
        .value_kind:     global_buffer
      - .actual_access:  write_only
        .address_space:  global
        .offset:         120
        .size:           8
        .value_kind:     global_buffer
      - .actual_access:  write_only
        .address_space:  global
        .offset:         128
        .size:           8
        .value_kind:     global_buffer
      - .offset:         136
        .size:           4
        .value_kind:     by_value
      - .offset:         140
        .size:           4
        .value_kind:     by_value
      - .offset:         144
        .size:           4
        .value_kind:     by_value
      - .offset:         148
        .size:           4
        .value_kind:     by_value
      - .offset:         152
        .size:           1
        .value_kind:     by_value
      - .offset:         153
        .size:           1
        .value_kind:     by_value
      - .offset:         154
        .size:           1
        .value_kind:     by_value
    .group_segment_fixed_size: 6144
    .kernarg_segment_align: 8
    .kernarg_segment_size: 156
    .language:       OpenCL C
    .language_version:
      - 2
      - 0
    .max_flat_workgroup_size: 256
    .name:           _ZN9rocsparseL23csrgemm_fill_wf_per_rowILj256ELj16ELj32ELj137Eli21rocsparse_complex_numIfEEEvT4_S3_PKS3_S5_NS_24const_host_device_scalarIT5_EEPKT3_S5_PKS7_SB_S5_SD_S8_SB_S5_SD_SB_PS3_PS7_21rocsparse_index_base_SG_SG_SG_bbb
    .private_segment_fixed_size: 0
    .sgpr_count:     60
    .sgpr_spill_count: 0
    .symbol:         _ZN9rocsparseL23csrgemm_fill_wf_per_rowILj256ELj16ELj32ELj137Eli21rocsparse_complex_numIfEEEvT4_S3_PKS3_S5_NS_24const_host_device_scalarIT5_EEPKT3_S5_PKS7_SB_S5_SD_S8_SB_S5_SD_SB_PS3_PS7_21rocsparse_index_base_SG_SG_SG_bbb.kd
    .uniform_work_group_size: 1
    .uses_dynamic_stack: false
    .vgpr_count:     26
    .vgpr_spill_count: 0
    .wavefront_size: 64
  - .agpr_count:     0
    .args:
      - .offset:         0
        .size:           4
        .value_kind:     by_value
      - .actual_access:  read_only
        .address_space:  global
        .offset:         8
        .size:           8
        .value_kind:     global_buffer
      - .actual_access:  read_only
        .address_space:  global
        .offset:         16
        .size:           8
        .value_kind:     global_buffer
      - .offset:         24
        .size:           8
        .value_kind:     by_value
      - .actual_access:  read_only
        .address_space:  global
        .offset:         32
        .size:           8
        .value_kind:     global_buffer
      - .actual_access:  read_only
        .address_space:  global
        .offset:         40
        .size:           8
        .value_kind:     global_buffer
      - .actual_access:  read_only
        .address_space:  global
        .offset:         48
        .size:           8
        .value_kind:     global_buffer
      - .actual_access:  read_only
        .address_space:  global
        .offset:         56
        .size:           8
        .value_kind:     global_buffer
      - .actual_access:  read_only
        .address_space:  global
        .offset:         64
        .size:           8
        .value_kind:     global_buffer
      - .actual_access:  read_only
        .address_space:  global
        .offset:         72
        .size:           8
        .value_kind:     global_buffer
      - .offset:         80
        .size:           8
        .value_kind:     by_value
      - .actual_access:  read_only
        .address_space:  global
        .offset:         88
        .size:           8
        .value_kind:     global_buffer
      - .actual_access:  read_only
        .address_space:  global
        .offset:         96
        .size:           8
        .value_kind:     global_buffer
      - .actual_access:  read_only
        .address_space:  global
        .offset:         104
        .size:           8
        .value_kind:     global_buffer
      - .actual_access:  read_only
        .address_space:  global
        .offset:         112
        .size:           8
        .value_kind:     global_buffer
      - .actual_access:  write_only
        .address_space:  global
        .offset:         120
        .size:           8
        .value_kind:     global_buffer
      - .actual_access:  write_only
        .address_space:  global
        .offset:         128
        .size:           8
        .value_kind:     global_buffer
      - .offset:         136
        .size:           4
        .value_kind:     by_value
      - .offset:         140
        .size:           4
        .value_kind:     by_value
      - .offset:         144
        .size:           4
        .value_kind:     by_value
      - .offset:         148
        .size:           4
        .value_kind:     by_value
      - .offset:         152
        .size:           1
        .value_kind:     by_value
      - .offset:         153
        .size:           1
        .value_kind:     by_value
      - .offset:         154
        .size:           1
        .value_kind:     by_value
    .group_segment_fixed_size: 0
    .kernarg_segment_align: 8
    .kernarg_segment_size: 156
    .language:       OpenCL C
    .language_version:
      - 2
      - 0
    .max_flat_workgroup_size: 128
    .name:           _ZN9rocsparseL26csrgemm_fill_block_per_rowILj128ELj16ELj256ELj137ELj32Eli21rocsparse_complex_numIfEEEvT5_PKS3_S5_NS_24const_host_device_scalarIT6_EEPKT4_S5_PKS7_SB_S5_SD_S8_SB_S5_SD_SB_PS3_PS7_21rocsparse_index_base_SG_SG_SG_bbb
    .private_segment_fixed_size: 0
    .sgpr_count:     65
    .sgpr_spill_count: 0
    .symbol:         _ZN9rocsparseL26csrgemm_fill_block_per_rowILj128ELj16ELj256ELj137ELj32Eli21rocsparse_complex_numIfEEEvT5_PKS3_S5_NS_24const_host_device_scalarIT6_EEPKT4_S5_PKS7_SB_S5_SD_S8_SB_S5_SD_SB_PS3_PS7_21rocsparse_index_base_SG_SG_SG_bbb.kd
    .uniform_work_group_size: 1
    .uses_dynamic_stack: false
    .vgpr_count:     22
    .vgpr_spill_count: 0
    .wavefront_size: 64
  - .agpr_count:     0
    .args:
      - .offset:         0
        .size:           4
        .value_kind:     by_value
      - .actual_access:  read_only
        .address_space:  global
        .offset:         8
        .size:           8
        .value_kind:     global_buffer
      - .actual_access:  read_only
        .address_space:  global
        .offset:         16
        .size:           8
        .value_kind:     global_buffer
      - .offset:         24
        .size:           8
        .value_kind:     by_value
      - .actual_access:  read_only
        .address_space:  global
        .offset:         32
        .size:           8
        .value_kind:     global_buffer
      - .actual_access:  read_only
        .address_space:  global
        .offset:         40
        .size:           8
        .value_kind:     global_buffer
      - .actual_access:  read_only
        .address_space:  global
        .offset:         48
        .size:           8
        .value_kind:     global_buffer
      - .actual_access:  read_only
        .address_space:  global
        .offset:         56
        .size:           8
        .value_kind:     global_buffer
      - .actual_access:  read_only
        .address_space:  global
        .offset:         64
        .size:           8
        .value_kind:     global_buffer
      - .actual_access:  read_only
        .address_space:  global
        .offset:         72
        .size:           8
        .value_kind:     global_buffer
      - .offset:         80
        .size:           8
        .value_kind:     by_value
      - .actual_access:  read_only
        .address_space:  global
        .offset:         88
        .size:           8
        .value_kind:     global_buffer
      - .actual_access:  read_only
        .address_space:  global
        .offset:         96
        .size:           8
        .value_kind:     global_buffer
      - .actual_access:  read_only
        .address_space:  global
        .offset:         104
        .size:           8
        .value_kind:     global_buffer
      - .actual_access:  read_only
        .address_space:  global
        .offset:         112
        .size:           8
        .value_kind:     global_buffer
      - .actual_access:  write_only
        .address_space:  global
        .offset:         120
        .size:           8
        .value_kind:     global_buffer
      - .actual_access:  write_only
        .address_space:  global
        .offset:         128
        .size:           8
        .value_kind:     global_buffer
      - .offset:         136
        .size:           4
        .value_kind:     by_value
      - .offset:         140
        .size:           4
        .value_kind:     by_value
      - .offset:         144
        .size:           4
        .value_kind:     by_value
      - .offset:         148
        .size:           4
        .value_kind:     by_value
      - .offset:         152
        .size:           1
        .value_kind:     by_value
      - .offset:         153
        .size:           1
        .value_kind:     by_value
      - .offset:         154
        .size:           1
        .value_kind:     by_value
    .group_segment_fixed_size: 0
    .kernarg_segment_align: 8
    .kernarg_segment_size: 156
    .language:       OpenCL C
    .language_version:
      - 2
      - 0
    .max_flat_workgroup_size: 128
    .name:           _ZN9rocsparseL26csrgemm_fill_block_per_rowILj128ELj16ELj256ELj137ELj64Eli21rocsparse_complex_numIfEEEvT5_PKS3_S5_NS_24const_host_device_scalarIT6_EEPKT4_S5_PKS7_SB_S5_SD_S8_SB_S5_SD_SB_PS3_PS7_21rocsparse_index_base_SG_SG_SG_bbb
    .private_segment_fixed_size: 0
    .sgpr_count:     65
    .sgpr_spill_count: 0
    .symbol:         _ZN9rocsparseL26csrgemm_fill_block_per_rowILj128ELj16ELj256ELj137ELj64Eli21rocsparse_complex_numIfEEEvT5_PKS3_S5_NS_24const_host_device_scalarIT6_EEPKT4_S5_PKS7_SB_S5_SD_S8_SB_S5_SD_SB_PS3_PS7_21rocsparse_index_base_SG_SG_SG_bbb.kd
    .uniform_work_group_size: 1
    .uses_dynamic_stack: false
    .vgpr_count:     23
    .vgpr_spill_count: 0
    .wavefront_size: 64
  - .agpr_count:     0
    .args:
      - .offset:         0
        .size:           4
        .value_kind:     by_value
      - .actual_access:  read_only
        .address_space:  global
        .offset:         8
        .size:           8
        .value_kind:     global_buffer
      - .actual_access:  read_only
        .address_space:  global
        .offset:         16
        .size:           8
        .value_kind:     global_buffer
      - .offset:         24
        .size:           8
        .value_kind:     by_value
      - .actual_access:  read_only
        .address_space:  global
        .offset:         32
        .size:           8
        .value_kind:     global_buffer
      - .actual_access:  read_only
        .address_space:  global
        .offset:         40
        .size:           8
        .value_kind:     global_buffer
      - .actual_access:  read_only
        .address_space:  global
        .offset:         48
        .size:           8
        .value_kind:     global_buffer
      - .actual_access:  read_only
        .address_space:  global
        .offset:         56
        .size:           8
        .value_kind:     global_buffer
      - .actual_access:  read_only
        .address_space:  global
        .offset:         64
        .size:           8
        .value_kind:     global_buffer
      - .actual_access:  read_only
        .address_space:  global
        .offset:         72
        .size:           8
        .value_kind:     global_buffer
      - .offset:         80
        .size:           8
        .value_kind:     by_value
      - .actual_access:  read_only
        .address_space:  global
        .offset:         88
        .size:           8
        .value_kind:     global_buffer
      - .actual_access:  read_only
        .address_space:  global
        .offset:         96
        .size:           8
        .value_kind:     global_buffer
      - .actual_access:  read_only
        .address_space:  global
        .offset:         104
        .size:           8
        .value_kind:     global_buffer
      - .actual_access:  read_only
        .address_space:  global
        .offset:         112
        .size:           8
        .value_kind:     global_buffer
      - .actual_access:  write_only
        .address_space:  global
        .offset:         120
        .size:           8
        .value_kind:     global_buffer
      - .actual_access:  write_only
        .address_space:  global
        .offset:         128
        .size:           8
        .value_kind:     global_buffer
      - .offset:         136
        .size:           4
        .value_kind:     by_value
      - .offset:         140
        .size:           4
        .value_kind:     by_value
      - .offset:         144
        .size:           4
        .value_kind:     by_value
      - .offset:         148
        .size:           4
        .value_kind:     by_value
      - .offset:         152
        .size:           1
        .value_kind:     by_value
      - .offset:         153
        .size:           1
        .value_kind:     by_value
      - .offset:         154
        .size:           1
        .value_kind:     by_value
    .group_segment_fixed_size: 0
    .kernarg_segment_align: 8
    .kernarg_segment_size: 156
    .language:       OpenCL C
    .language_version:
      - 2
      - 0
    .max_flat_workgroup_size: 256
    .name:           _ZN9rocsparseL26csrgemm_fill_block_per_rowILj256ELj32ELj512ELj137ELj32Eli21rocsparse_complex_numIfEEEvT5_PKS3_S5_NS_24const_host_device_scalarIT6_EEPKT4_S5_PKS7_SB_S5_SD_S8_SB_S5_SD_SB_PS3_PS7_21rocsparse_index_base_SG_SG_SG_bbb
    .private_segment_fixed_size: 0
    .sgpr_count:     65
    .sgpr_spill_count: 0
    .symbol:         _ZN9rocsparseL26csrgemm_fill_block_per_rowILj256ELj32ELj512ELj137ELj32Eli21rocsparse_complex_numIfEEEvT5_PKS3_S5_NS_24const_host_device_scalarIT6_EEPKT4_S5_PKS7_SB_S5_SD_S8_SB_S5_SD_SB_PS3_PS7_21rocsparse_index_base_SG_SG_SG_bbb.kd
    .uniform_work_group_size: 1
    .uses_dynamic_stack: false
    .vgpr_count:     23
    .vgpr_spill_count: 0
    .wavefront_size: 64
  - .agpr_count:     0
    .args:
      - .offset:         0
        .size:           4
        .value_kind:     by_value
      - .actual_access:  read_only
        .address_space:  global
        .offset:         8
        .size:           8
        .value_kind:     global_buffer
      - .actual_access:  read_only
        .address_space:  global
        .offset:         16
        .size:           8
        .value_kind:     global_buffer
      - .offset:         24
        .size:           8
        .value_kind:     by_value
      - .actual_access:  read_only
        .address_space:  global
        .offset:         32
        .size:           8
        .value_kind:     global_buffer
      - .actual_access:  read_only
        .address_space:  global
        .offset:         40
        .size:           8
        .value_kind:     global_buffer
      - .actual_access:  read_only
        .address_space:  global
        .offset:         48
        .size:           8
        .value_kind:     global_buffer
      - .actual_access:  read_only
        .address_space:  global
        .offset:         56
        .size:           8
        .value_kind:     global_buffer
      - .actual_access:  read_only
        .address_space:  global
        .offset:         64
        .size:           8
        .value_kind:     global_buffer
      - .actual_access:  read_only
        .address_space:  global
        .offset:         72
        .size:           8
        .value_kind:     global_buffer
      - .offset:         80
        .size:           8
        .value_kind:     by_value
      - .actual_access:  read_only
        .address_space:  global
        .offset:         88
        .size:           8
        .value_kind:     global_buffer
      - .actual_access:  read_only
        .address_space:  global
        .offset:         96
        .size:           8
        .value_kind:     global_buffer
      - .actual_access:  read_only
        .address_space:  global
        .offset:         104
        .size:           8
        .value_kind:     global_buffer
      - .actual_access:  read_only
        .address_space:  global
        .offset:         112
        .size:           8
        .value_kind:     global_buffer
      - .actual_access:  write_only
        .address_space:  global
        .offset:         120
        .size:           8
        .value_kind:     global_buffer
      - .actual_access:  write_only
        .address_space:  global
        .offset:         128
        .size:           8
        .value_kind:     global_buffer
      - .offset:         136
        .size:           4
        .value_kind:     by_value
      - .offset:         140
        .size:           4
        .value_kind:     by_value
      - .offset:         144
        .size:           4
        .value_kind:     by_value
      - .offset:         148
        .size:           4
        .value_kind:     by_value
      - .offset:         152
        .size:           1
        .value_kind:     by_value
      - .offset:         153
        .size:           1
        .value_kind:     by_value
      - .offset:         154
        .size:           1
        .value_kind:     by_value
    .group_segment_fixed_size: 0
    .kernarg_segment_align: 8
    .kernarg_segment_size: 156
    .language:       OpenCL C
    .language_version:
      - 2
      - 0
    .max_flat_workgroup_size: 256
    .name:           _ZN9rocsparseL26csrgemm_fill_block_per_rowILj256ELj32ELj512ELj137ELj64Eli21rocsparse_complex_numIfEEEvT5_PKS3_S5_NS_24const_host_device_scalarIT6_EEPKT4_S5_PKS7_SB_S5_SD_S8_SB_S5_SD_SB_PS3_PS7_21rocsparse_index_base_SG_SG_SG_bbb
    .private_segment_fixed_size: 0
    .sgpr_count:     65
    .sgpr_spill_count: 0
    .symbol:         _ZN9rocsparseL26csrgemm_fill_block_per_rowILj256ELj32ELj512ELj137ELj64Eli21rocsparse_complex_numIfEEEvT5_PKS3_S5_NS_24const_host_device_scalarIT6_EEPKT4_S5_PKS7_SB_S5_SD_S8_SB_S5_SD_SB_PS3_PS7_21rocsparse_index_base_SG_SG_SG_bbb.kd
    .uniform_work_group_size: 1
    .uses_dynamic_stack: false
    .vgpr_count:     22
    .vgpr_spill_count: 0
    .wavefront_size: 64
  - .agpr_count:     0
    .args:
      - .offset:         0
        .size:           4
        .value_kind:     by_value
      - .actual_access:  read_only
        .address_space:  global
        .offset:         8
        .size:           8
        .value_kind:     global_buffer
      - .actual_access:  read_only
        .address_space:  global
        .offset:         16
        .size:           8
        .value_kind:     global_buffer
      - .offset:         24
        .size:           8
        .value_kind:     by_value
      - .actual_access:  read_only
        .address_space:  global
        .offset:         32
        .size:           8
        .value_kind:     global_buffer
      - .actual_access:  read_only
        .address_space:  global
        .offset:         40
        .size:           8
        .value_kind:     global_buffer
      - .actual_access:  read_only
        .address_space:  global
        .offset:         48
        .size:           8
        .value_kind:     global_buffer
      - .actual_access:  read_only
        .address_space:  global
        .offset:         56
        .size:           8
        .value_kind:     global_buffer
      - .actual_access:  read_only
        .address_space:  global
        .offset:         64
        .size:           8
        .value_kind:     global_buffer
      - .actual_access:  read_only
        .address_space:  global
        .offset:         72
        .size:           8
        .value_kind:     global_buffer
      - .offset:         80
        .size:           8
        .value_kind:     by_value
      - .actual_access:  read_only
        .address_space:  global
        .offset:         88
        .size:           8
        .value_kind:     global_buffer
      - .actual_access:  read_only
        .address_space:  global
        .offset:         96
        .size:           8
        .value_kind:     global_buffer
      - .actual_access:  read_only
        .address_space:  global
        .offset:         104
        .size:           8
        .value_kind:     global_buffer
      - .actual_access:  read_only
        .address_space:  global
        .offset:         112
        .size:           8
        .value_kind:     global_buffer
      - .actual_access:  write_only
        .address_space:  global
        .offset:         120
        .size:           8
        .value_kind:     global_buffer
      - .actual_access:  write_only
        .address_space:  global
        .offset:         128
        .size:           8
        .value_kind:     global_buffer
      - .offset:         136
        .size:           4
        .value_kind:     by_value
      - .offset:         140
        .size:           4
        .value_kind:     by_value
      - .offset:         144
        .size:           4
        .value_kind:     by_value
      - .offset:         148
        .size:           4
        .value_kind:     by_value
      - .offset:         152
        .size:           1
        .value_kind:     by_value
      - .offset:         153
        .size:           1
        .value_kind:     by_value
      - .offset:         154
        .size:           1
        .value_kind:     by_value
    .group_segment_fixed_size: 0
    .kernarg_segment_align: 8
    .kernarg_segment_size: 156
    .language:       OpenCL C
    .language_version:
      - 2
      - 0
    .max_flat_workgroup_size: 512
    .name:           _ZN9rocsparseL26csrgemm_fill_block_per_rowILj512ELj32ELj1024ELj137ELj32Eli21rocsparse_complex_numIfEEEvT5_PKS3_S5_NS_24const_host_device_scalarIT6_EEPKT4_S5_PKS7_SB_S5_SD_S8_SB_S5_SD_SB_PS3_PS7_21rocsparse_index_base_SG_SG_SG_bbb
    .private_segment_fixed_size: 0
    .sgpr_count:     63
    .sgpr_spill_count: 0
    .symbol:         _ZN9rocsparseL26csrgemm_fill_block_per_rowILj512ELj32ELj1024ELj137ELj32Eli21rocsparse_complex_numIfEEEvT5_PKS3_S5_NS_24const_host_device_scalarIT6_EEPKT4_S5_PKS7_SB_S5_SD_S8_SB_S5_SD_SB_PS3_PS7_21rocsparse_index_base_SG_SG_SG_bbb.kd
    .uniform_work_group_size: 1
    .uses_dynamic_stack: false
    .vgpr_count:     24
    .vgpr_spill_count: 0
    .wavefront_size: 64
  - .agpr_count:     0
    .args:
      - .offset:         0
        .size:           4
        .value_kind:     by_value
      - .actual_access:  read_only
        .address_space:  global
        .offset:         8
        .size:           8
        .value_kind:     global_buffer
      - .actual_access:  read_only
        .address_space:  global
        .offset:         16
        .size:           8
        .value_kind:     global_buffer
      - .offset:         24
        .size:           8
        .value_kind:     by_value
      - .actual_access:  read_only
        .address_space:  global
        .offset:         32
        .size:           8
        .value_kind:     global_buffer
      - .actual_access:  read_only
        .address_space:  global
        .offset:         40
        .size:           8
        .value_kind:     global_buffer
      - .actual_access:  read_only
        .address_space:  global
        .offset:         48
        .size:           8
        .value_kind:     global_buffer
      - .actual_access:  read_only
        .address_space:  global
        .offset:         56
        .size:           8
        .value_kind:     global_buffer
      - .actual_access:  read_only
        .address_space:  global
        .offset:         64
        .size:           8
        .value_kind:     global_buffer
      - .actual_access:  read_only
        .address_space:  global
        .offset:         72
        .size:           8
        .value_kind:     global_buffer
      - .offset:         80
        .size:           8
        .value_kind:     by_value
      - .actual_access:  read_only
        .address_space:  global
        .offset:         88
        .size:           8
        .value_kind:     global_buffer
      - .actual_access:  read_only
        .address_space:  global
        .offset:         96
        .size:           8
        .value_kind:     global_buffer
      - .actual_access:  read_only
        .address_space:  global
        .offset:         104
        .size:           8
        .value_kind:     global_buffer
      - .actual_access:  read_only
        .address_space:  global
        .offset:         112
        .size:           8
        .value_kind:     global_buffer
      - .actual_access:  write_only
        .address_space:  global
        .offset:         120
        .size:           8
        .value_kind:     global_buffer
      - .actual_access:  write_only
        .address_space:  global
        .offset:         128
        .size:           8
        .value_kind:     global_buffer
      - .offset:         136
        .size:           4
        .value_kind:     by_value
      - .offset:         140
        .size:           4
        .value_kind:     by_value
      - .offset:         144
        .size:           4
        .value_kind:     by_value
      - .offset:         148
        .size:           4
        .value_kind:     by_value
      - .offset:         152
        .size:           1
        .value_kind:     by_value
      - .offset:         153
        .size:           1
        .value_kind:     by_value
      - .offset:         154
        .size:           1
        .value_kind:     by_value
    .group_segment_fixed_size: 0
    .kernarg_segment_align: 8
    .kernarg_segment_size: 156
    .language:       OpenCL C
    .language_version:
      - 2
      - 0
    .max_flat_workgroup_size: 512
    .name:           _ZN9rocsparseL26csrgemm_fill_block_per_rowILj512ELj32ELj1024ELj137ELj64Eli21rocsparse_complex_numIfEEEvT5_PKS3_S5_NS_24const_host_device_scalarIT6_EEPKT4_S5_PKS7_SB_S5_SD_S8_SB_S5_SD_SB_PS3_PS7_21rocsparse_index_base_SG_SG_SG_bbb
    .private_segment_fixed_size: 0
    .sgpr_count:     63
    .sgpr_spill_count: 0
    .symbol:         _ZN9rocsparseL26csrgemm_fill_block_per_rowILj512ELj32ELj1024ELj137ELj64Eli21rocsparse_complex_numIfEEEvT5_PKS3_S5_NS_24const_host_device_scalarIT6_EEPKT4_S5_PKS7_SB_S5_SD_S8_SB_S5_SD_SB_PS3_PS7_21rocsparse_index_base_SG_SG_SG_bbb.kd
    .uniform_work_group_size: 1
    .uses_dynamic_stack: false
    .vgpr_count:     23
    .vgpr_spill_count: 0
    .wavefront_size: 64
  - .agpr_count:     0
    .args:
      - .offset:         0
        .size:           4
        .value_kind:     by_value
      - .actual_access:  read_only
        .address_space:  global
        .offset:         8
        .size:           8
        .value_kind:     global_buffer
      - .actual_access:  read_only
        .address_space:  global
        .offset:         16
        .size:           8
        .value_kind:     global_buffer
      - .offset:         24
        .size:           8
        .value_kind:     by_value
      - .actual_access:  read_only
        .address_space:  global
        .offset:         32
        .size:           8
        .value_kind:     global_buffer
      - .actual_access:  read_only
        .address_space:  global
        .offset:         40
        .size:           8
        .value_kind:     global_buffer
      - .actual_access:  read_only
        .address_space:  global
        .offset:         48
        .size:           8
        .value_kind:     global_buffer
      - .actual_access:  read_only
        .address_space:  global
        .offset:         56
        .size:           8
        .value_kind:     global_buffer
      - .actual_access:  read_only
        .address_space:  global
        .offset:         64
        .size:           8
        .value_kind:     global_buffer
      - .actual_access:  read_only
        .address_space:  global
        .offset:         72
        .size:           8
        .value_kind:     global_buffer
      - .offset:         80
        .size:           8
        .value_kind:     by_value
      - .actual_access:  read_only
        .address_space:  global
        .offset:         88
        .size:           8
        .value_kind:     global_buffer
      - .actual_access:  read_only
        .address_space:  global
        .offset:         96
        .size:           8
        .value_kind:     global_buffer
      - .actual_access:  read_only
        .address_space:  global
        .offset:         104
        .size:           8
        .value_kind:     global_buffer
      - .actual_access:  read_only
        .address_space:  global
        .offset:         112
        .size:           8
        .value_kind:     global_buffer
      - .actual_access:  write_only
        .address_space:  global
        .offset:         120
        .size:           8
        .value_kind:     global_buffer
      - .actual_access:  write_only
        .address_space:  global
        .offset:         128
        .size:           8
        .value_kind:     global_buffer
      - .offset:         136
        .size:           4
        .value_kind:     by_value
      - .offset:         140
        .size:           4
        .value_kind:     by_value
      - .offset:         144
        .size:           4
        .value_kind:     by_value
      - .offset:         148
        .size:           4
        .value_kind:     by_value
      - .offset:         152
        .size:           1
        .value_kind:     by_value
      - .offset:         153
        .size:           1
        .value_kind:     by_value
      - .offset:         154
        .size:           1
        .value_kind:     by_value
    .group_segment_fixed_size: 0
    .kernarg_segment_align: 8
    .kernarg_segment_size: 156
    .language:       OpenCL C
    .language_version:
      - 2
      - 0
    .max_flat_workgroup_size: 1024
    .name:           _ZN9rocsparseL26csrgemm_fill_block_per_rowILj1024ELj32ELj2048ELj137ELj32Eli21rocsparse_complex_numIfEEEvT5_PKS3_S5_NS_24const_host_device_scalarIT6_EEPKT4_S5_PKS7_SB_S5_SD_S8_SB_S5_SD_SB_PS3_PS7_21rocsparse_index_base_SG_SG_SG_bbb
    .private_segment_fixed_size: 0
    .sgpr_count:     84
    .sgpr_spill_count: 0
    .symbol:         _ZN9rocsparseL26csrgemm_fill_block_per_rowILj1024ELj32ELj2048ELj137ELj32Eli21rocsparse_complex_numIfEEEvT5_PKS3_S5_NS_24const_host_device_scalarIT6_EEPKT4_S5_PKS7_SB_S5_SD_S8_SB_S5_SD_SB_PS3_PS7_21rocsparse_index_base_SG_SG_SG_bbb.kd
    .uniform_work_group_size: 1
    .uses_dynamic_stack: false
    .vgpr_count:     24
    .vgpr_spill_count: 0
    .wavefront_size: 64
  - .agpr_count:     0
    .args:
      - .offset:         0
        .size:           4
        .value_kind:     by_value
      - .actual_access:  read_only
        .address_space:  global
        .offset:         8
        .size:           8
        .value_kind:     global_buffer
      - .actual_access:  read_only
        .address_space:  global
        .offset:         16
        .size:           8
        .value_kind:     global_buffer
      - .offset:         24
        .size:           8
        .value_kind:     by_value
      - .actual_access:  read_only
        .address_space:  global
        .offset:         32
        .size:           8
        .value_kind:     global_buffer
      - .actual_access:  read_only
        .address_space:  global
        .offset:         40
        .size:           8
        .value_kind:     global_buffer
      - .actual_access:  read_only
        .address_space:  global
        .offset:         48
        .size:           8
        .value_kind:     global_buffer
      - .actual_access:  read_only
        .address_space:  global
        .offset:         56
        .size:           8
        .value_kind:     global_buffer
      - .actual_access:  read_only
        .address_space:  global
        .offset:         64
        .size:           8
        .value_kind:     global_buffer
      - .actual_access:  read_only
        .address_space:  global
        .offset:         72
        .size:           8
        .value_kind:     global_buffer
      - .offset:         80
        .size:           8
        .value_kind:     by_value
      - .actual_access:  read_only
        .address_space:  global
        .offset:         88
        .size:           8
        .value_kind:     global_buffer
      - .actual_access:  read_only
        .address_space:  global
        .offset:         96
        .size:           8
        .value_kind:     global_buffer
      - .actual_access:  read_only
        .address_space:  global
        .offset:         104
        .size:           8
        .value_kind:     global_buffer
      - .actual_access:  read_only
        .address_space:  global
        .offset:         112
        .size:           8
        .value_kind:     global_buffer
      - .actual_access:  write_only
        .address_space:  global
        .offset:         120
        .size:           8
        .value_kind:     global_buffer
      - .actual_access:  write_only
        .address_space:  global
        .offset:         128
        .size:           8
        .value_kind:     global_buffer
      - .offset:         136
        .size:           4
        .value_kind:     by_value
      - .offset:         140
        .size:           4
        .value_kind:     by_value
      - .offset:         144
        .size:           4
        .value_kind:     by_value
      - .offset:         148
        .size:           4
        .value_kind:     by_value
      - .offset:         152
        .size:           1
        .value_kind:     by_value
      - .offset:         153
        .size:           1
        .value_kind:     by_value
      - .offset:         154
        .size:           1
        .value_kind:     by_value
    .group_segment_fixed_size: 0
    .kernarg_segment_align: 8
    .kernarg_segment_size: 156
    .language:       OpenCL C
    .language_version:
      - 2
      - 0
    .max_flat_workgroup_size: 1024
    .name:           _ZN9rocsparseL26csrgemm_fill_block_per_rowILj1024ELj32ELj2048ELj137ELj64Eli21rocsparse_complex_numIfEEEvT5_PKS3_S5_NS_24const_host_device_scalarIT6_EEPKT4_S5_PKS7_SB_S5_SD_S8_SB_S5_SD_SB_PS3_PS7_21rocsparse_index_base_SG_SG_SG_bbb
    .private_segment_fixed_size: 0
    .sgpr_count:     63
    .sgpr_spill_count: 0
    .symbol:         _ZN9rocsparseL26csrgemm_fill_block_per_rowILj1024ELj32ELj2048ELj137ELj64Eli21rocsparse_complex_numIfEEEvT5_PKS3_S5_NS_24const_host_device_scalarIT6_EEPKT4_S5_PKS7_SB_S5_SD_S8_SB_S5_SD_SB_PS3_PS7_21rocsparse_index_base_SG_SG_SG_bbb.kd
    .uniform_work_group_size: 1
    .uses_dynamic_stack: false
    .vgpr_count:     23
    .vgpr_spill_count: 0
    .wavefront_size: 64
  - .agpr_count:     0
    .args:
      - .offset:         0
        .size:           4
        .value_kind:     by_value
      - .actual_access:  read_only
        .address_space:  global
        .offset:         8
        .size:           8
        .value_kind:     global_buffer
      - .actual_access:  read_only
        .address_space:  global
        .offset:         16
        .size:           8
        .value_kind:     global_buffer
      - .offset:         24
        .size:           8
        .value_kind:     by_value
      - .actual_access:  read_only
        .address_space:  global
        .offset:         32
        .size:           8
        .value_kind:     global_buffer
      - .actual_access:  read_only
        .address_space:  global
        .offset:         40
        .size:           8
        .value_kind:     global_buffer
      - .actual_access:  read_only
        .address_space:  global
        .offset:         48
        .size:           8
        .value_kind:     global_buffer
      - .actual_access:  read_only
        .address_space:  global
        .offset:         56
        .size:           8
        .value_kind:     global_buffer
      - .actual_access:  read_only
        .address_space:  global
        .offset:         64
        .size:           8
        .value_kind:     global_buffer
      - .actual_access:  read_only
        .address_space:  global
        .offset:         72
        .size:           8
        .value_kind:     global_buffer
      - .offset:         80
        .size:           8
        .value_kind:     by_value
      - .actual_access:  read_only
        .address_space:  global
        .offset:         88
        .size:           8
        .value_kind:     global_buffer
      - .actual_access:  read_only
        .address_space:  global
        .offset:         96
        .size:           8
        .value_kind:     global_buffer
      - .actual_access:  read_only
        .address_space:  global
        .offset:         104
        .size:           8
        .value_kind:     global_buffer
      - .actual_access:  read_only
        .address_space:  global
        .offset:         112
        .size:           8
        .value_kind:     global_buffer
      - .actual_access:  write_only
        .address_space:  global
        .offset:         120
        .size:           8
        .value_kind:     global_buffer
      - .actual_access:  write_only
        .address_space:  global
        .offset:         128
        .size:           8
        .value_kind:     global_buffer
      - .offset:         136
        .size:           4
        .value_kind:     by_value
      - .offset:         140
        .size:           4
        .value_kind:     by_value
      - .offset:         144
        .size:           4
        .value_kind:     by_value
      - .offset:         148
        .size:           4
        .value_kind:     by_value
      - .offset:         152
        .size:           1
        .value_kind:     by_value
      - .offset:         153
        .size:           1
        .value_kind:     by_value
      - .offset:         154
        .size:           1
        .value_kind:     by_value
    .group_segment_fixed_size: 0
    .kernarg_segment_align: 8
    .kernarg_segment_size: 156
    .language:       OpenCL C
    .language_version:
      - 2
      - 0
    .max_flat_workgroup_size: 1024
    .name:           _ZN9rocsparseL26csrgemm_fill_block_per_rowILj1024ELj64ELj4096ELj137ELj32Eli21rocsparse_complex_numIfEEEvT5_PKS3_S5_NS_24const_host_device_scalarIT6_EEPKT4_S5_PKS7_SB_S5_SD_S8_SB_S5_SD_SB_PS3_PS7_21rocsparse_index_base_SG_SG_SG_bbb
    .private_segment_fixed_size: 0
    .sgpr_count:     84
    .sgpr_spill_count: 0
    .symbol:         _ZN9rocsparseL26csrgemm_fill_block_per_rowILj1024ELj64ELj4096ELj137ELj32Eli21rocsparse_complex_numIfEEEvT5_PKS3_S5_NS_24const_host_device_scalarIT6_EEPKT4_S5_PKS7_SB_S5_SD_S8_SB_S5_SD_SB_PS3_PS7_21rocsparse_index_base_SG_SG_SG_bbb.kd
    .uniform_work_group_size: 1
    .uses_dynamic_stack: false
    .vgpr_count:     23
    .vgpr_spill_count: 0
    .wavefront_size: 64
  - .agpr_count:     0
    .args:
      - .offset:         0
        .size:           4
        .value_kind:     by_value
      - .actual_access:  read_only
        .address_space:  global
        .offset:         8
        .size:           8
        .value_kind:     global_buffer
      - .actual_access:  read_only
        .address_space:  global
        .offset:         16
        .size:           8
        .value_kind:     global_buffer
      - .offset:         24
        .size:           8
        .value_kind:     by_value
      - .actual_access:  read_only
        .address_space:  global
        .offset:         32
        .size:           8
        .value_kind:     global_buffer
      - .actual_access:  read_only
        .address_space:  global
        .offset:         40
        .size:           8
        .value_kind:     global_buffer
      - .actual_access:  read_only
        .address_space:  global
        .offset:         48
        .size:           8
        .value_kind:     global_buffer
      - .actual_access:  read_only
        .address_space:  global
        .offset:         56
        .size:           8
        .value_kind:     global_buffer
      - .actual_access:  read_only
        .address_space:  global
        .offset:         64
        .size:           8
        .value_kind:     global_buffer
      - .actual_access:  read_only
        .address_space:  global
        .offset:         72
        .size:           8
        .value_kind:     global_buffer
      - .offset:         80
        .size:           8
        .value_kind:     by_value
      - .actual_access:  read_only
        .address_space:  global
        .offset:         88
        .size:           8
        .value_kind:     global_buffer
      - .actual_access:  read_only
        .address_space:  global
        .offset:         96
        .size:           8
        .value_kind:     global_buffer
      - .actual_access:  read_only
        .address_space:  global
        .offset:         104
        .size:           8
        .value_kind:     global_buffer
      - .actual_access:  read_only
        .address_space:  global
        .offset:         112
        .size:           8
        .value_kind:     global_buffer
      - .actual_access:  write_only
        .address_space:  global
        .offset:         120
        .size:           8
        .value_kind:     global_buffer
      - .actual_access:  write_only
        .address_space:  global
        .offset:         128
        .size:           8
        .value_kind:     global_buffer
      - .offset:         136
        .size:           4
        .value_kind:     by_value
      - .offset:         140
        .size:           4
        .value_kind:     by_value
      - .offset:         144
        .size:           4
        .value_kind:     by_value
      - .offset:         148
        .size:           4
        .value_kind:     by_value
      - .offset:         152
        .size:           1
        .value_kind:     by_value
      - .offset:         153
        .size:           1
        .value_kind:     by_value
      - .offset:         154
        .size:           1
        .value_kind:     by_value
    .group_segment_fixed_size: 0
    .kernarg_segment_align: 8
    .kernarg_segment_size: 156
    .language:       OpenCL C
    .language_version:
      - 2
      - 0
    .max_flat_workgroup_size: 1024
    .name:           _ZN9rocsparseL26csrgemm_fill_block_per_rowILj1024ELj64ELj4096ELj137ELj64Eli21rocsparse_complex_numIfEEEvT5_PKS3_S5_NS_24const_host_device_scalarIT6_EEPKT4_S5_PKS7_SB_S5_SD_S8_SB_S5_SD_SB_PS3_PS7_21rocsparse_index_base_SG_SG_SG_bbb
    .private_segment_fixed_size: 0
    .sgpr_count:     63
    .sgpr_spill_count: 0
    .symbol:         _ZN9rocsparseL26csrgemm_fill_block_per_rowILj1024ELj64ELj4096ELj137ELj64Eli21rocsparse_complex_numIfEEEvT5_PKS3_S5_NS_24const_host_device_scalarIT6_EEPKT4_S5_PKS7_SB_S5_SD_S8_SB_S5_SD_SB_PS3_PS7_21rocsparse_index_base_SG_SG_SG_bbb.kd
    .uniform_work_group_size: 1
    .uses_dynamic_stack: false
    .vgpr_count:     24
    .vgpr_spill_count: 0
    .wavefront_size: 64
  - .agpr_count:     0
    .args:
      - .offset:         0
        .size:           4
        .value_kind:     by_value
      - .actual_access:  read_only
        .address_space:  global
        .offset:         8
        .size:           8
        .value_kind:     global_buffer
      - .actual_access:  read_only
        .address_space:  global
        .offset:         16
        .size:           8
        .value_kind:     global_buffer
      - .offset:         24
        .size:           8
        .value_kind:     by_value
      - .actual_access:  read_only
        .address_space:  global
        .offset:         32
        .size:           8
        .value_kind:     global_buffer
      - .actual_access:  read_only
        .address_space:  global
        .offset:         40
        .size:           8
        .value_kind:     global_buffer
      - .actual_access:  read_only
        .address_space:  global
        .offset:         48
        .size:           8
        .value_kind:     global_buffer
      - .actual_access:  read_only
        .address_space:  global
        .offset:         56
        .size:           8
        .value_kind:     global_buffer
      - .actual_access:  read_only
        .address_space:  global
        .offset:         64
        .size:           8
        .value_kind:     global_buffer
      - .actual_access:  read_only
        .address_space:  global
        .offset:         72
        .size:           8
        .value_kind:     global_buffer
      - .offset:         80
        .size:           8
        .value_kind:     by_value
      - .actual_access:  read_only
        .address_space:  global
        .offset:         88
        .size:           8
        .value_kind:     global_buffer
      - .actual_access:  read_only
        .address_space:  global
        .offset:         96
        .size:           8
        .value_kind:     global_buffer
      - .actual_access:  read_only
        .address_space:  global
        .offset:         104
        .size:           8
        .value_kind:     global_buffer
      - .actual_access:  read_only
        .address_space:  global
        .offset:         112
        .size:           8
        .value_kind:     global_buffer
      - .actual_access:  write_only
        .address_space:  global
        .offset:         120
        .size:           8
        .value_kind:     global_buffer
      - .actual_access:  write_only
        .address_space:  global
        .offset:         128
        .size:           8
        .value_kind:     global_buffer
      - .offset:         136
        .size:           4
        .value_kind:     by_value
      - .offset:         140
        .size:           4
        .value_kind:     by_value
      - .offset:         144
        .size:           4
        .value_kind:     by_value
      - .offset:         148
        .size:           4
        .value_kind:     by_value
      - .offset:         152
        .size:           1
        .value_kind:     by_value
      - .offset:         153
        .size:           1
        .value_kind:     by_value
      - .offset:         154
        .size:           1
        .value_kind:     by_value
    .group_segment_fixed_size: 0
    .kernarg_segment_align: 8
    .kernarg_segment_size: 156
    .language:       OpenCL C
    .language_version:
      - 2
      - 0
    .max_flat_workgroup_size: 1024
    .name:           _ZN9rocsparseL26csrgemm_fill_block_per_rowILj1024ELj64ELj8192ELj137ELj32Eli21rocsparse_complex_numIfEEEvT5_PKS3_S5_NS_24const_host_device_scalarIT6_EEPKT4_S5_PKS7_SB_S5_SD_S8_SB_S5_SD_SB_PS3_PS7_21rocsparse_index_base_SG_SG_SG_bbb
    .private_segment_fixed_size: 0
    .sgpr_count:     100
    .sgpr_spill_count: 22
    .symbol:         _ZN9rocsparseL26csrgemm_fill_block_per_rowILj1024ELj64ELj8192ELj137ELj32Eli21rocsparse_complex_numIfEEEvT5_PKS3_S5_NS_24const_host_device_scalarIT6_EEPKT4_S5_PKS7_SB_S5_SD_S8_SB_S5_SD_SB_PS3_PS7_21rocsparse_index_base_SG_SG_SG_bbb.kd
    .uniform_work_group_size: 1
    .uses_dynamic_stack: false
    .vgpr_count:     22
    .vgpr_spill_count: 0
    .wavefront_size: 64
  - .agpr_count:     0
    .args:
      - .offset:         0
        .size:           4
        .value_kind:     by_value
      - .actual_access:  read_only
        .address_space:  global
        .offset:         8
        .size:           8
        .value_kind:     global_buffer
      - .actual_access:  read_only
        .address_space:  global
        .offset:         16
        .size:           8
        .value_kind:     global_buffer
      - .offset:         24
        .size:           8
        .value_kind:     by_value
      - .actual_access:  read_only
        .address_space:  global
        .offset:         32
        .size:           8
        .value_kind:     global_buffer
      - .actual_access:  read_only
        .address_space:  global
        .offset:         40
        .size:           8
        .value_kind:     global_buffer
      - .actual_access:  read_only
        .address_space:  global
        .offset:         48
        .size:           8
        .value_kind:     global_buffer
      - .actual_access:  read_only
        .address_space:  global
        .offset:         56
        .size:           8
        .value_kind:     global_buffer
      - .actual_access:  read_only
        .address_space:  global
        .offset:         64
        .size:           8
        .value_kind:     global_buffer
      - .actual_access:  read_only
        .address_space:  global
        .offset:         72
        .size:           8
        .value_kind:     global_buffer
      - .offset:         80
        .size:           8
        .value_kind:     by_value
      - .actual_access:  read_only
        .address_space:  global
        .offset:         88
        .size:           8
        .value_kind:     global_buffer
      - .actual_access:  read_only
        .address_space:  global
        .offset:         96
        .size:           8
        .value_kind:     global_buffer
      - .actual_access:  read_only
        .address_space:  global
        .offset:         104
        .size:           8
        .value_kind:     global_buffer
      - .actual_access:  read_only
        .address_space:  global
        .offset:         112
        .size:           8
        .value_kind:     global_buffer
      - .actual_access:  write_only
        .address_space:  global
        .offset:         120
        .size:           8
        .value_kind:     global_buffer
      - .actual_access:  write_only
        .address_space:  global
        .offset:         128
        .size:           8
        .value_kind:     global_buffer
      - .offset:         136
        .size:           4
        .value_kind:     by_value
      - .offset:         140
        .size:           4
        .value_kind:     by_value
      - .offset:         144
        .size:           4
        .value_kind:     by_value
      - .offset:         148
        .size:           4
        .value_kind:     by_value
      - .offset:         152
        .size:           1
        .value_kind:     by_value
      - .offset:         153
        .size:           1
        .value_kind:     by_value
      - .offset:         154
        .size:           1
        .value_kind:     by_value
    .group_segment_fixed_size: 0
    .kernarg_segment_align: 8
    .kernarg_segment_size: 156
    .language:       OpenCL C
    .language_version:
      - 2
      - 0
    .max_flat_workgroup_size: 1024
    .name:           _ZN9rocsparseL26csrgemm_fill_block_per_rowILj1024ELj64ELj8192ELj137ELj64Eli21rocsparse_complex_numIfEEEvT5_PKS3_S5_NS_24const_host_device_scalarIT6_EEPKT4_S5_PKS7_SB_S5_SD_S8_SB_S5_SD_SB_PS3_PS7_21rocsparse_index_base_SG_SG_SG_bbb
    .private_segment_fixed_size: 0
    .sgpr_count:     67
    .sgpr_spill_count: 0
    .symbol:         _ZN9rocsparseL26csrgemm_fill_block_per_rowILj1024ELj64ELj8192ELj137ELj64Eli21rocsparse_complex_numIfEEEvT5_PKS3_S5_NS_24const_host_device_scalarIT6_EEPKT4_S5_PKS7_SB_S5_SD_S8_SB_S5_SD_SB_PS3_PS7_21rocsparse_index_base_SG_SG_SG_bbb.kd
    .uniform_work_group_size: 1
    .uses_dynamic_stack: false
    .vgpr_count:     22
    .vgpr_spill_count: 0
    .wavefront_size: 64
  - .agpr_count:     0
    .args:
      - .offset:         0
        .size:           4
        .value_kind:     by_value
      - .actual_access:  read_only
        .address_space:  global
        .offset:         8
        .size:           8
        .value_kind:     global_buffer
      - .actual_access:  read_only
        .address_space:  global
        .offset:         16
        .size:           8
        .value_kind:     global_buffer
      - .offset:         24
        .size:           8
        .value_kind:     by_value
      - .actual_access:  read_only
        .address_space:  global
        .offset:         32
        .size:           8
        .value_kind:     global_buffer
      - .actual_access:  read_only
        .address_space:  global
        .offset:         40
        .size:           8
        .value_kind:     global_buffer
      - .actual_access:  read_only
        .address_space:  global
        .offset:         48
        .size:           8
        .value_kind:     global_buffer
      - .actual_access:  read_only
        .address_space:  global
        .offset:         56
        .size:           8
        .value_kind:     global_buffer
      - .actual_access:  read_only
        .address_space:  global
        .offset:         64
        .size:           8
        .value_kind:     global_buffer
      - .actual_access:  read_only
        .address_space:  global
        .offset:         72
        .size:           8
        .value_kind:     global_buffer
      - .offset:         80
        .size:           8
        .value_kind:     by_value
      - .actual_access:  read_only
        .address_space:  global
        .offset:         88
        .size:           8
        .value_kind:     global_buffer
      - .actual_access:  read_only
        .address_space:  global
        .offset:         96
        .size:           8
        .value_kind:     global_buffer
      - .actual_access:  read_only
        .address_space:  global
        .offset:         104
        .size:           8
        .value_kind:     global_buffer
      - .actual_access:  read_only
        .address_space:  global
        .offset:         112
        .size:           8
        .value_kind:     global_buffer
      - .actual_access:  write_only
        .address_space:  global
        .offset:         120
        .size:           8
        .value_kind:     global_buffer
      - .actual_access:  write_only
        .address_space:  global
        .offset:         128
        .size:           8
        .value_kind:     global_buffer
      - .offset:         136
        .size:           4
        .value_kind:     by_value
      - .offset:         140
        .size:           4
        .value_kind:     by_value
      - .offset:         144
        .size:           4
        .value_kind:     by_value
      - .offset:         148
        .size:           4
        .value_kind:     by_value
      - .offset:         152
        .size:           1
        .value_kind:     by_value
      - .offset:         153
        .size:           1
        .value_kind:     by_value
      - .offset:         154
        .size:           1
        .value_kind:     by_value
    .group_segment_fixed_size: 0
    .kernarg_segment_align: 8
    .kernarg_segment_size: 156
    .language:       OpenCL C
    .language_version:
      - 2
      - 0
    .max_flat_workgroup_size: 1024
    .name:           _ZN9rocsparseL26csrgemm_fill_block_per_rowILj1024ELj64ELj16384ELj137ELj32Eli21rocsparse_complex_numIfEEEvT5_PKS3_S5_NS_24const_host_device_scalarIT6_EEPKT4_S5_PKS7_SB_S5_SD_S8_SB_S5_SD_SB_PS3_PS7_21rocsparse_index_base_SG_SG_SG_bbb
    .private_segment_fixed_size: 0
    .sgpr_count:     100
    .sgpr_spill_count: 22
    .symbol:         _ZN9rocsparseL26csrgemm_fill_block_per_rowILj1024ELj64ELj16384ELj137ELj32Eli21rocsparse_complex_numIfEEEvT5_PKS3_S5_NS_24const_host_device_scalarIT6_EEPKT4_S5_PKS7_SB_S5_SD_S8_SB_S5_SD_SB_PS3_PS7_21rocsparse_index_base_SG_SG_SG_bbb.kd
    .uniform_work_group_size: 1
    .uses_dynamic_stack: false
    .vgpr_count:     24
    .vgpr_spill_count: 0
    .wavefront_size: 64
  - .agpr_count:     0
    .args:
      - .offset:         0
        .size:           4
        .value_kind:     by_value
      - .actual_access:  read_only
        .address_space:  global
        .offset:         8
        .size:           8
        .value_kind:     global_buffer
      - .actual_access:  read_only
        .address_space:  global
        .offset:         16
        .size:           8
        .value_kind:     global_buffer
      - .offset:         24
        .size:           8
        .value_kind:     by_value
      - .actual_access:  read_only
        .address_space:  global
        .offset:         32
        .size:           8
        .value_kind:     global_buffer
      - .actual_access:  read_only
        .address_space:  global
        .offset:         40
        .size:           8
        .value_kind:     global_buffer
      - .actual_access:  read_only
        .address_space:  global
        .offset:         48
        .size:           8
        .value_kind:     global_buffer
      - .actual_access:  read_only
        .address_space:  global
        .offset:         56
        .size:           8
        .value_kind:     global_buffer
      - .actual_access:  read_only
        .address_space:  global
        .offset:         64
        .size:           8
        .value_kind:     global_buffer
      - .actual_access:  read_only
        .address_space:  global
        .offset:         72
        .size:           8
        .value_kind:     global_buffer
      - .offset:         80
        .size:           8
        .value_kind:     by_value
      - .actual_access:  read_only
        .address_space:  global
        .offset:         88
        .size:           8
        .value_kind:     global_buffer
      - .actual_access:  read_only
        .address_space:  global
        .offset:         96
        .size:           8
        .value_kind:     global_buffer
      - .actual_access:  read_only
        .address_space:  global
        .offset:         104
        .size:           8
        .value_kind:     global_buffer
      - .actual_access:  read_only
        .address_space:  global
        .offset:         112
        .size:           8
        .value_kind:     global_buffer
      - .actual_access:  write_only
        .address_space:  global
        .offset:         120
        .size:           8
        .value_kind:     global_buffer
      - .actual_access:  write_only
        .address_space:  global
        .offset:         128
        .size:           8
        .value_kind:     global_buffer
      - .offset:         136
        .size:           4
        .value_kind:     by_value
      - .offset:         140
        .size:           4
        .value_kind:     by_value
      - .offset:         144
        .size:           4
        .value_kind:     by_value
      - .offset:         148
        .size:           4
        .value_kind:     by_value
      - .offset:         152
        .size:           1
        .value_kind:     by_value
      - .offset:         153
        .size:           1
        .value_kind:     by_value
      - .offset:         154
        .size:           1
        .value_kind:     by_value
    .group_segment_fixed_size: 0
    .kernarg_segment_align: 8
    .kernarg_segment_size: 156
    .language:       OpenCL C
    .language_version:
      - 2
      - 0
    .max_flat_workgroup_size: 1024
    .name:           _ZN9rocsparseL26csrgemm_fill_block_per_rowILj1024ELj64ELj16384ELj137ELj64Eli21rocsparse_complex_numIfEEEvT5_PKS3_S5_NS_24const_host_device_scalarIT6_EEPKT4_S5_PKS7_SB_S5_SD_S8_SB_S5_SD_SB_PS3_PS7_21rocsparse_index_base_SG_SG_SG_bbb
    .private_segment_fixed_size: 0
    .sgpr_count:     67
    .sgpr_spill_count: 0
    .symbol:         _ZN9rocsparseL26csrgemm_fill_block_per_rowILj1024ELj64ELj16384ELj137ELj64Eli21rocsparse_complex_numIfEEEvT5_PKS3_S5_NS_24const_host_device_scalarIT6_EEPKT4_S5_PKS7_SB_S5_SD_S8_SB_S5_SD_SB_PS3_PS7_21rocsparse_index_base_SG_SG_SG_bbb.kd
    .uniform_work_group_size: 1
    .uses_dynamic_stack: false
    .vgpr_count:     24
    .vgpr_spill_count: 0
    .wavefront_size: 64
  - .agpr_count:     0
    .args:
      - .offset:         0
        .size:           4
        .value_kind:     by_value
      - .actual_access:  read_only
        .address_space:  global
        .offset:         8
        .size:           8
        .value_kind:     global_buffer
      - .actual_access:  read_only
        .address_space:  global
        .offset:         16
        .size:           8
        .value_kind:     global_buffer
      - .offset:         24
        .size:           8
        .value_kind:     by_value
      - .actual_access:  read_only
        .address_space:  global
        .offset:         32
        .size:           8
        .value_kind:     global_buffer
      - .actual_access:  read_only
        .address_space:  global
        .offset:         40
        .size:           8
        .value_kind:     global_buffer
      - .actual_access:  read_only
        .address_space:  global
        .offset:         48
        .size:           8
        .value_kind:     global_buffer
      - .actual_access:  read_only
        .address_space:  global
        .offset:         56
        .size:           8
        .value_kind:     global_buffer
      - .actual_access:  read_only
        .address_space:  global
        .offset:         64
        .size:           8
        .value_kind:     global_buffer
      - .actual_access:  read_only
        .address_space:  global
        .offset:         72
        .size:           8
        .value_kind:     global_buffer
      - .offset:         80
        .size:           8
        .value_kind:     by_value
      - .actual_access:  read_only
        .address_space:  global
        .offset:         88
        .size:           8
        .value_kind:     global_buffer
      - .actual_access:  read_only
        .address_space:  global
        .offset:         96
        .size:           8
        .value_kind:     global_buffer
      - .actual_access:  read_only
        .address_space:  global
        .offset:         104
        .size:           8
        .value_kind:     global_buffer
      - .actual_access:  read_only
        .address_space:  global
        .offset:         112
        .size:           8
        .value_kind:     global_buffer
      - .actual_access:  write_only
        .address_space:  global
        .offset:         120
        .size:           8
        .value_kind:     global_buffer
      - .actual_access:  write_only
        .address_space:  global
        .offset:         128
        .size:           8
        .value_kind:     global_buffer
      - .offset:         136
        .size:           4
        .value_kind:     by_value
      - .offset:         140
        .size:           4
        .value_kind:     by_value
      - .offset:         144
        .size:           4
        .value_kind:     by_value
      - .offset:         148
        .size:           4
        .value_kind:     by_value
      - .offset:         152
        .size:           1
        .value_kind:     by_value
      - .offset:         153
        .size:           1
        .value_kind:     by_value
      - .offset:         154
        .size:           1
        .value_kind:     by_value
    .group_segment_fixed_size: 0
    .kernarg_segment_align: 8
    .kernarg_segment_size: 156
    .language:       OpenCL C
    .language_version:
      - 2
      - 0
    .max_flat_workgroup_size: 1024
    .name:           _ZN9rocsparseL26csrgemm_fill_block_per_rowILj1024ELj64ELj32768ELj137ELj32Eli21rocsparse_complex_numIfEEEvT5_PKS3_S5_NS_24const_host_device_scalarIT6_EEPKT4_S5_PKS7_SB_S5_SD_S8_SB_S5_SD_SB_PS3_PS7_21rocsparse_index_base_SG_SG_SG_bbb
    .private_segment_fixed_size: 0
    .sgpr_count:     100
    .sgpr_spill_count: 22
    .symbol:         _ZN9rocsparseL26csrgemm_fill_block_per_rowILj1024ELj64ELj32768ELj137ELj32Eli21rocsparse_complex_numIfEEEvT5_PKS3_S5_NS_24const_host_device_scalarIT6_EEPKT4_S5_PKS7_SB_S5_SD_S8_SB_S5_SD_SB_PS3_PS7_21rocsparse_index_base_SG_SG_SG_bbb.kd
    .uniform_work_group_size: 1
    .uses_dynamic_stack: false
    .vgpr_count:     24
    .vgpr_spill_count: 0
    .wavefront_size: 64
  - .agpr_count:     0
    .args:
      - .offset:         0
        .size:           4
        .value_kind:     by_value
      - .actual_access:  read_only
        .address_space:  global
        .offset:         8
        .size:           8
        .value_kind:     global_buffer
      - .actual_access:  read_only
        .address_space:  global
        .offset:         16
        .size:           8
        .value_kind:     global_buffer
      - .offset:         24
        .size:           8
        .value_kind:     by_value
      - .actual_access:  read_only
        .address_space:  global
        .offset:         32
        .size:           8
        .value_kind:     global_buffer
      - .actual_access:  read_only
        .address_space:  global
        .offset:         40
        .size:           8
        .value_kind:     global_buffer
      - .actual_access:  read_only
        .address_space:  global
        .offset:         48
        .size:           8
        .value_kind:     global_buffer
      - .actual_access:  read_only
        .address_space:  global
        .offset:         56
        .size:           8
        .value_kind:     global_buffer
      - .actual_access:  read_only
        .address_space:  global
        .offset:         64
        .size:           8
        .value_kind:     global_buffer
      - .actual_access:  read_only
        .address_space:  global
        .offset:         72
        .size:           8
        .value_kind:     global_buffer
      - .offset:         80
        .size:           8
        .value_kind:     by_value
      - .actual_access:  read_only
        .address_space:  global
        .offset:         88
        .size:           8
        .value_kind:     global_buffer
      - .actual_access:  read_only
        .address_space:  global
        .offset:         96
        .size:           8
        .value_kind:     global_buffer
      - .actual_access:  read_only
        .address_space:  global
        .offset:         104
        .size:           8
        .value_kind:     global_buffer
      - .actual_access:  read_only
        .address_space:  global
        .offset:         112
        .size:           8
        .value_kind:     global_buffer
      - .actual_access:  write_only
        .address_space:  global
        .offset:         120
        .size:           8
        .value_kind:     global_buffer
      - .actual_access:  write_only
        .address_space:  global
        .offset:         128
        .size:           8
        .value_kind:     global_buffer
      - .offset:         136
        .size:           4
        .value_kind:     by_value
      - .offset:         140
        .size:           4
        .value_kind:     by_value
      - .offset:         144
        .size:           4
        .value_kind:     by_value
      - .offset:         148
        .size:           4
        .value_kind:     by_value
      - .offset:         152
        .size:           1
        .value_kind:     by_value
      - .offset:         153
        .size:           1
        .value_kind:     by_value
      - .offset:         154
        .size:           1
        .value_kind:     by_value
    .group_segment_fixed_size: 0
    .kernarg_segment_align: 8
    .kernarg_segment_size: 156
    .language:       OpenCL C
    .language_version:
      - 2
      - 0
    .max_flat_workgroup_size: 1024
    .name:           _ZN9rocsparseL26csrgemm_fill_block_per_rowILj1024ELj64ELj32768ELj137ELj64Eli21rocsparse_complex_numIfEEEvT5_PKS3_S5_NS_24const_host_device_scalarIT6_EEPKT4_S5_PKS7_SB_S5_SD_S8_SB_S5_SD_SB_PS3_PS7_21rocsparse_index_base_SG_SG_SG_bbb
    .private_segment_fixed_size: 0
    .sgpr_count:     67
    .sgpr_spill_count: 0
    .symbol:         _ZN9rocsparseL26csrgemm_fill_block_per_rowILj1024ELj64ELj32768ELj137ELj64Eli21rocsparse_complex_numIfEEEvT5_PKS3_S5_NS_24const_host_device_scalarIT6_EEPKT4_S5_PKS7_SB_S5_SD_S8_SB_S5_SD_SB_PS3_PS7_21rocsparse_index_base_SG_SG_SG_bbb.kd
    .uniform_work_group_size: 1
    .uses_dynamic_stack: false
    .vgpr_count:     24
    .vgpr_spill_count: 0
    .wavefront_size: 64
  - .agpr_count:     0
    .args:
      - .offset:         0
        .size:           4
        .value_kind:     by_value
      - .actual_access:  read_only
        .address_space:  global
        .offset:         8
        .size:           8
        .value_kind:     global_buffer
      - .actual_access:  read_only
        .address_space:  global
        .offset:         16
        .size:           8
        .value_kind:     global_buffer
      - .offset:         24
        .size:           8
        .value_kind:     by_value
      - .actual_access:  read_only
        .address_space:  global
        .offset:         32
        .size:           8
        .value_kind:     global_buffer
      - .actual_access:  read_only
        .address_space:  global
        .offset:         40
        .size:           8
        .value_kind:     global_buffer
      - .actual_access:  read_only
        .address_space:  global
        .offset:         48
        .size:           8
        .value_kind:     global_buffer
      - .actual_access:  read_only
        .address_space:  global
        .offset:         56
        .size:           8
        .value_kind:     global_buffer
      - .actual_access:  read_only
        .address_space:  global
        .offset:         64
        .size:           8
        .value_kind:     global_buffer
      - .actual_access:  read_only
        .address_space:  global
        .offset:         72
        .size:           8
        .value_kind:     global_buffer
      - .offset:         80
        .size:           8
        .value_kind:     by_value
      - .actual_access:  read_only
        .address_space:  global
        .offset:         88
        .size:           8
        .value_kind:     global_buffer
      - .actual_access:  read_only
        .address_space:  global
        .offset:         96
        .size:           8
        .value_kind:     global_buffer
      - .actual_access:  read_only
        .address_space:  global
        .offset:         104
        .size:           8
        .value_kind:     global_buffer
      - .actual_access:  read_only
        .address_space:  global
        .offset:         112
        .size:           8
        .value_kind:     global_buffer
      - .actual_access:  write_only
        .address_space:  global
        .offset:         120
        .size:           8
        .value_kind:     global_buffer
      - .actual_access:  write_only
        .address_space:  global
        .offset:         128
        .size:           8
        .value_kind:     global_buffer
      - .address_space:  global
        .offset:         136
        .size:           8
        .value_kind:     global_buffer
      - .offset:         144
        .size:           4
        .value_kind:     by_value
      - .offset:         148
        .size:           4
        .value_kind:     by_value
      - .offset:         152
        .size:           4
        .value_kind:     by_value
      - .offset:         156
        .size:           4
        .value_kind:     by_value
      - .offset:         160
        .size:           1
        .value_kind:     by_value
      - .offset:         161
        .size:           1
        .value_kind:     by_value
      - .offset:         162
        .size:           1
        .value_kind:     by_value
    .group_segment_fixed_size: 18436
    .kernarg_segment_align: 8
    .kernarg_segment_size: 164
    .language:       OpenCL C
    .language_version:
      - 2
      - 0
    .max_flat_workgroup_size: 512
    .name:           _ZN9rocsparseL36csrgemm_fill_block_per_row_multipassILj512ELj16ELj2048ELj32Eli21rocsparse_complex_numIfEEEvT4_PKS3_S5_NS_24const_host_device_scalarIT5_EEPKT3_S5_PKS7_SB_S5_SD_S8_SB_S5_SD_SB_PS3_PS7_PS9_21rocsparse_index_base_SH_SH_SH_bbb
    .private_segment_fixed_size: 0
    .sgpr_count:     100
    .sgpr_spill_count: 13
    .symbol:         _ZN9rocsparseL36csrgemm_fill_block_per_row_multipassILj512ELj16ELj2048ELj32Eli21rocsparse_complex_numIfEEEvT4_PKS3_S5_NS_24const_host_device_scalarIT5_EEPKT3_S5_PKS7_SB_S5_SD_S8_SB_S5_SD_SB_PS3_PS7_PS9_21rocsparse_index_base_SH_SH_SH_bbb.kd
    .uniform_work_group_size: 1
    .uses_dynamic_stack: false
    .vgpr_count:     40
    .vgpr_spill_count: 0
    .wavefront_size: 64
  - .agpr_count:     0
    .args:
      - .offset:         0
        .size:           4
        .value_kind:     by_value
      - .actual_access:  read_only
        .address_space:  global
        .offset:         8
        .size:           8
        .value_kind:     global_buffer
      - .actual_access:  read_only
        .address_space:  global
        .offset:         16
        .size:           8
        .value_kind:     global_buffer
      - .offset:         24
        .size:           8
        .value_kind:     by_value
      - .actual_access:  read_only
        .address_space:  global
        .offset:         32
        .size:           8
        .value_kind:     global_buffer
      - .actual_access:  read_only
        .address_space:  global
        .offset:         40
        .size:           8
        .value_kind:     global_buffer
      - .actual_access:  read_only
        .address_space:  global
        .offset:         48
        .size:           8
        .value_kind:     global_buffer
      - .actual_access:  read_only
        .address_space:  global
        .offset:         56
        .size:           8
        .value_kind:     global_buffer
      - .actual_access:  read_only
        .address_space:  global
        .offset:         64
        .size:           8
        .value_kind:     global_buffer
      - .actual_access:  read_only
        .address_space:  global
        .offset:         72
        .size:           8
        .value_kind:     global_buffer
      - .offset:         80
        .size:           8
        .value_kind:     by_value
      - .actual_access:  read_only
        .address_space:  global
        .offset:         88
        .size:           8
        .value_kind:     global_buffer
      - .actual_access:  read_only
        .address_space:  global
        .offset:         96
        .size:           8
        .value_kind:     global_buffer
      - .actual_access:  read_only
        .address_space:  global
        .offset:         104
        .size:           8
        .value_kind:     global_buffer
      - .actual_access:  read_only
        .address_space:  global
        .offset:         112
        .size:           8
        .value_kind:     global_buffer
      - .actual_access:  write_only
        .address_space:  global
        .offset:         120
        .size:           8
        .value_kind:     global_buffer
      - .actual_access:  write_only
        .address_space:  global
        .offset:         128
        .size:           8
        .value_kind:     global_buffer
      - .address_space:  global
        .offset:         136
        .size:           8
        .value_kind:     global_buffer
      - .offset:         144
        .size:           4
        .value_kind:     by_value
      - .offset:         148
        .size:           4
        .value_kind:     by_value
      - .offset:         152
        .size:           4
        .value_kind:     by_value
      - .offset:         156
        .size:           4
        .value_kind:     by_value
      - .offset:         160
        .size:           1
        .value_kind:     by_value
      - .offset:         161
        .size:           1
        .value_kind:     by_value
      - .offset:         162
        .size:           1
        .value_kind:     by_value
    .group_segment_fixed_size: 18436
    .kernarg_segment_align: 8
    .kernarg_segment_size: 164
    .language:       OpenCL C
    .language_version:
      - 2
      - 0
    .max_flat_workgroup_size: 512
    .name:           _ZN9rocsparseL36csrgemm_fill_block_per_row_multipassILj512ELj16ELj2048ELj64Eli21rocsparse_complex_numIfEEEvT4_PKS3_S5_NS_24const_host_device_scalarIT5_EEPKT3_S5_PKS7_SB_S5_SD_S8_SB_S5_SD_SB_PS3_PS7_PS9_21rocsparse_index_base_SH_SH_SH_bbb
    .private_segment_fixed_size: 0
    .sgpr_count:     92
    .sgpr_spill_count: 0
    .symbol:         _ZN9rocsparseL36csrgemm_fill_block_per_row_multipassILj512ELj16ELj2048ELj64Eli21rocsparse_complex_numIfEEEvT4_PKS3_S5_NS_24const_host_device_scalarIT5_EEPKT3_S5_PKS7_SB_S5_SD_S8_SB_S5_SD_SB_PS3_PS7_PS9_21rocsparse_index_base_SH_SH_SH_bbb.kd
    .uniform_work_group_size: 1
    .uses_dynamic_stack: false
    .vgpr_count:     39
    .vgpr_spill_count: 0
    .wavefront_size: 64
  - .agpr_count:     0
    .args:
      - .offset:         0
        .size:           4
        .value_kind:     by_value
      - .actual_access:  read_only
        .address_space:  global
        .offset:         8
        .size:           8
        .value_kind:     global_buffer
      - .actual_access:  write_only
        .address_space:  global
        .offset:         16
        .size:           8
        .value_kind:     global_buffer
      - .actual_access:  write_only
        .address_space:  global
        .offset:         24
        .size:           8
        .value_kind:     global_buffer
      - .offset:         32
        .size:           4
        .value_kind:     by_value
      - .offset:         40
        .size:           4
        .value_kind:     hidden_block_count_x
      - .offset:         44
        .size:           4
        .value_kind:     hidden_block_count_y
      - .offset:         48
        .size:           4
        .value_kind:     hidden_block_count_z
      - .offset:         52
        .size:           2
        .value_kind:     hidden_group_size_x
      - .offset:         54
        .size:           2
        .value_kind:     hidden_group_size_y
      - .offset:         56
        .size:           2
        .value_kind:     hidden_group_size_z
      - .offset:         58
        .size:           2
        .value_kind:     hidden_remainder_x
      - .offset:         60
        .size:           2
        .value_kind:     hidden_remainder_y
      - .offset:         62
        .size:           2
        .value_kind:     hidden_remainder_z
      - .offset:         80
        .size:           8
        .value_kind:     hidden_global_offset_x
      - .offset:         88
        .size:           8
        .value_kind:     hidden_global_offset_y
      - .offset:         96
        .size:           8
        .value_kind:     hidden_global_offset_z
      - .offset:         104
        .size:           2
        .value_kind:     hidden_grid_dims
    .group_segment_fixed_size: 11264
    .kernarg_segment_align: 8
    .kernarg_segment_size: 296
    .language:       OpenCL C
    .language_version:
      - 2
      - 0
    .max_flat_workgroup_size: 256
    .name:           _ZN9rocsparseL26csrgemm_group_reduce_part2ILj256ELj11E21rocsparse_complex_numIdEliEEvT3_PKT2_PS3_Pij
    .private_segment_fixed_size: 0
    .sgpr_count:     64
    .sgpr_spill_count: 0
    .symbol:         _ZN9rocsparseL26csrgemm_group_reduce_part2ILj256ELj11E21rocsparse_complex_numIdEliEEvT3_PKT2_PS3_Pij.kd
    .uniform_work_group_size: 1
    .uses_dynamic_stack: false
    .vgpr_count:     22
    .vgpr_spill_count: 0
    .wavefront_size: 64
  - .agpr_count:     0
    .args:
      - .offset:         0
        .size:           4
        .value_kind:     by_value
      - .offset:         4
        .size:           4
        .value_kind:     by_value
      - .actual_access:  read_only
        .address_space:  global
        .offset:         8
        .size:           8
        .value_kind:     global_buffer
      - .actual_access:  read_only
        .address_space:  global
        .offset:         16
        .size:           8
        .value_kind:     global_buffer
      - .offset:         24
        .size:           16
        .value_kind:     by_value
      - .actual_access:  read_only
        .address_space:  global
        .offset:         40
        .size:           8
        .value_kind:     global_buffer
      - .actual_access:  read_only
        .address_space:  global
        .offset:         48
        .size:           8
        .value_kind:     global_buffer
      - .actual_access:  read_only
        .address_space:  global
        .offset:         56
        .size:           8
        .value_kind:     global_buffer
      - .actual_access:  read_only
        .address_space:  global
        .offset:         64
        .size:           8
        .value_kind:     global_buffer
      - .actual_access:  read_only
        .address_space:  global
        .offset:         72
        .size:           8
        .value_kind:     global_buffer
      - .actual_access:  read_only
        .address_space:  global
        .offset:         80
        .size:           8
        .value_kind:     global_buffer
      - .offset:         88
        .size:           16
        .value_kind:     by_value
      - .actual_access:  read_only
        .address_space:  global
        .offset:         104
        .size:           8
        .value_kind:     global_buffer
      - .actual_access:  read_only
        .address_space:  global
        .offset:         112
        .size:           8
        .value_kind:     global_buffer
      - .actual_access:  read_only
        .address_space:  global
        .offset:         120
        .size:           8
        .value_kind:     global_buffer
      - .actual_access:  read_only
        .address_space:  global
        .offset:         128
        .size:           8
        .value_kind:     global_buffer
      - .actual_access:  write_only
        .address_space:  global
        .offset:         136
        .size:           8
        .value_kind:     global_buffer
      - .actual_access:  write_only
        .address_space:  global
        .offset:         144
        .size:           8
        .value_kind:     global_buffer
      - .offset:         152
        .size:           4
        .value_kind:     by_value
      - .offset:         156
        .size:           4
        .value_kind:     by_value
      - .offset:         160
        .size:           4
        .value_kind:     by_value
      - .offset:         164
        .size:           4
        .value_kind:     by_value
      - .offset:         168
        .size:           1
        .value_kind:     by_value
      - .offset:         169
        .size:           1
        .value_kind:     by_value
      - .offset:         170
        .size:           1
        .value_kind:     by_value
    .group_segment_fixed_size: 10240
    .kernarg_segment_align: 8
    .kernarg_segment_size: 172
    .language:       OpenCL C
    .language_version:
      - 2
      - 0
    .max_flat_workgroup_size: 256
    .name:           _ZN9rocsparseL23csrgemm_fill_wf_per_rowILj256ELj8ELj16ELj137Eli21rocsparse_complex_numIdEEEvT4_S3_PKS3_S5_NS_24const_host_device_scalarIT5_EEPKT3_S5_PKS7_SB_S5_SD_S8_SB_S5_SD_SB_PS3_PS7_21rocsparse_index_base_SG_SG_SG_bbb
    .private_segment_fixed_size: 24
    .sgpr_count:     66
    .sgpr_spill_count: 0
    .symbol:         _ZN9rocsparseL23csrgemm_fill_wf_per_rowILj256ELj8ELj16ELj137Eli21rocsparse_complex_numIdEEEvT4_S3_PKS3_S5_NS_24const_host_device_scalarIT5_EEPKT3_S5_PKS7_SB_S5_SD_S8_SB_S5_SD_SB_PS3_PS7_21rocsparse_index_base_SG_SG_SG_bbb.kd
    .uniform_work_group_size: 1
    .uses_dynamic_stack: false
    .vgpr_count:     40
    .vgpr_spill_count: 0
    .wavefront_size: 64
  - .agpr_count:     0
    .args:
      - .offset:         0
        .size:           4
        .value_kind:     by_value
      - .offset:         4
        .size:           4
        .value_kind:     by_value
      - .actual_access:  read_only
        .address_space:  global
        .offset:         8
        .size:           8
        .value_kind:     global_buffer
      - .actual_access:  read_only
        .address_space:  global
        .offset:         16
        .size:           8
        .value_kind:     global_buffer
      - .offset:         24
        .size:           16
        .value_kind:     by_value
      - .actual_access:  read_only
        .address_space:  global
        .offset:         40
        .size:           8
        .value_kind:     global_buffer
      - .actual_access:  read_only
        .address_space:  global
        .offset:         48
        .size:           8
        .value_kind:     global_buffer
      - .actual_access:  read_only
        .address_space:  global
        .offset:         56
        .size:           8
        .value_kind:     global_buffer
      - .actual_access:  read_only
        .address_space:  global
        .offset:         64
        .size:           8
        .value_kind:     global_buffer
      - .actual_access:  read_only
        .address_space:  global
        .offset:         72
        .size:           8
        .value_kind:     global_buffer
      - .actual_access:  read_only
        .address_space:  global
        .offset:         80
        .size:           8
        .value_kind:     global_buffer
      - .offset:         88
        .size:           16
        .value_kind:     by_value
      - .actual_access:  read_only
        .address_space:  global
        .offset:         104
        .size:           8
        .value_kind:     global_buffer
      - .actual_access:  read_only
        .address_space:  global
        .offset:         112
        .size:           8
        .value_kind:     global_buffer
      - .actual_access:  read_only
        .address_space:  global
        .offset:         120
        .size:           8
        .value_kind:     global_buffer
      - .actual_access:  read_only
        .address_space:  global
        .offset:         128
        .size:           8
        .value_kind:     global_buffer
      - .actual_access:  write_only
        .address_space:  global
        .offset:         136
        .size:           8
        .value_kind:     global_buffer
      - .actual_access:  write_only
        .address_space:  global
        .offset:         144
        .size:           8
        .value_kind:     global_buffer
      - .offset:         152
        .size:           4
        .value_kind:     by_value
      - .offset:         156
        .size:           4
        .value_kind:     by_value
      - .offset:         160
        .size:           4
        .value_kind:     by_value
      - .offset:         164
        .size:           4
        .value_kind:     by_value
      - .offset:         168
        .size:           1
        .value_kind:     by_value
      - .offset:         169
        .size:           1
        .value_kind:     by_value
      - .offset:         170
        .size:           1
        .value_kind:     by_value
    .group_segment_fixed_size: 10240
    .kernarg_segment_align: 8
    .kernarg_segment_size: 172
    .language:       OpenCL C
    .language_version:
      - 2
      - 0
    .max_flat_workgroup_size: 256
    .name:           _ZN9rocsparseL23csrgemm_fill_wf_per_rowILj256ELj16ELj32ELj137Eli21rocsparse_complex_numIdEEEvT4_S3_PKS3_S5_NS_24const_host_device_scalarIT5_EEPKT3_S5_PKS7_SB_S5_SD_S8_SB_S5_SD_SB_PS3_PS7_21rocsparse_index_base_SG_SG_SG_bbb
    .private_segment_fixed_size: 24
    .sgpr_count:     66
    .sgpr_spill_count: 0
    .symbol:         _ZN9rocsparseL23csrgemm_fill_wf_per_rowILj256ELj16ELj32ELj137Eli21rocsparse_complex_numIdEEEvT4_S3_PKS3_S5_NS_24const_host_device_scalarIT5_EEPKT3_S5_PKS7_SB_S5_SD_S8_SB_S5_SD_SB_PS3_PS7_21rocsparse_index_base_SG_SG_SG_bbb.kd
    .uniform_work_group_size: 1
    .uses_dynamic_stack: false
    .vgpr_count:     40
    .vgpr_spill_count: 0
    .wavefront_size: 64
  - .agpr_count:     0
    .args:
      - .offset:         0
        .size:           4
        .value_kind:     by_value
      - .actual_access:  read_only
        .address_space:  global
        .offset:         8
        .size:           8
        .value_kind:     global_buffer
      - .actual_access:  read_only
        .address_space:  global
        .offset:         16
        .size:           8
        .value_kind:     global_buffer
      - .offset:         24
        .size:           16
        .value_kind:     by_value
      - .actual_access:  read_only
        .address_space:  global
        .offset:         40
        .size:           8
        .value_kind:     global_buffer
      - .actual_access:  read_only
        .address_space:  global
        .offset:         48
        .size:           8
        .value_kind:     global_buffer
      - .actual_access:  read_only
        .address_space:  global
        .offset:         56
        .size:           8
        .value_kind:     global_buffer
      - .actual_access:  read_only
        .address_space:  global
        .offset:         64
        .size:           8
        .value_kind:     global_buffer
      - .actual_access:  read_only
        .address_space:  global
        .offset:         72
        .size:           8
        .value_kind:     global_buffer
      - .actual_access:  read_only
        .address_space:  global
        .offset:         80
        .size:           8
        .value_kind:     global_buffer
      - .offset:         88
        .size:           16
        .value_kind:     by_value
      - .actual_access:  read_only
        .address_space:  global
        .offset:         104
        .size:           8
        .value_kind:     global_buffer
      - .actual_access:  read_only
        .address_space:  global
        .offset:         112
        .size:           8
        .value_kind:     global_buffer
      - .actual_access:  read_only
        .address_space:  global
        .offset:         120
        .size:           8
        .value_kind:     global_buffer
      - .actual_access:  read_only
        .address_space:  global
        .offset:         128
        .size:           8
        .value_kind:     global_buffer
      - .actual_access:  write_only
        .address_space:  global
        .offset:         136
        .size:           8
        .value_kind:     global_buffer
      - .actual_access:  write_only
        .address_space:  global
        .offset:         144
        .size:           8
        .value_kind:     global_buffer
      - .offset:         152
        .size:           4
        .value_kind:     by_value
      - .offset:         156
        .size:           4
        .value_kind:     by_value
      - .offset:         160
        .size:           4
        .value_kind:     by_value
      - .offset:         164
        .size:           4
        .value_kind:     by_value
      - .offset:         168
        .size:           1
        .value_kind:     by_value
      - .offset:         169
        .size:           1
        .value_kind:     by_value
      - .offset:         170
        .size:           1
        .value_kind:     by_value
    .group_segment_fixed_size: 0
    .kernarg_segment_align: 8
    .kernarg_segment_size: 172
    .language:       OpenCL C
    .language_version:
      - 2
      - 0
    .max_flat_workgroup_size: 128
    .name:           _ZN9rocsparseL26csrgemm_fill_block_per_rowILj128ELj16ELj256ELj137ELj32Eli21rocsparse_complex_numIdEEEvT5_PKS3_S5_NS_24const_host_device_scalarIT6_EEPKT4_S5_PKS7_SB_S5_SD_S8_SB_S5_SD_SB_PS3_PS7_21rocsparse_index_base_SG_SG_SG_bbb
    .private_segment_fixed_size: 40
    .sgpr_count:     66
    .sgpr_spill_count: 0
    .symbol:         _ZN9rocsparseL26csrgemm_fill_block_per_rowILj128ELj16ELj256ELj137ELj32Eli21rocsparse_complex_numIdEEEvT5_PKS3_S5_NS_24const_host_device_scalarIT6_EEPKT4_S5_PKS7_SB_S5_SD_S8_SB_S5_SD_SB_PS3_PS7_21rocsparse_index_base_SG_SG_SG_bbb.kd
    .uniform_work_group_size: 1
    .uses_dynamic_stack: false
    .vgpr_count:     36
    .vgpr_spill_count: 0
    .wavefront_size: 64
  - .agpr_count:     0
    .args:
      - .offset:         0
        .size:           4
        .value_kind:     by_value
      - .actual_access:  read_only
        .address_space:  global
        .offset:         8
        .size:           8
        .value_kind:     global_buffer
      - .actual_access:  read_only
        .address_space:  global
        .offset:         16
        .size:           8
        .value_kind:     global_buffer
      - .offset:         24
        .size:           16
        .value_kind:     by_value
      - .actual_access:  read_only
        .address_space:  global
        .offset:         40
        .size:           8
        .value_kind:     global_buffer
      - .actual_access:  read_only
        .address_space:  global
        .offset:         48
        .size:           8
        .value_kind:     global_buffer
      - .actual_access:  read_only
        .address_space:  global
        .offset:         56
        .size:           8
        .value_kind:     global_buffer
      - .actual_access:  read_only
        .address_space:  global
        .offset:         64
        .size:           8
        .value_kind:     global_buffer
      - .actual_access:  read_only
        .address_space:  global
        .offset:         72
        .size:           8
        .value_kind:     global_buffer
      - .actual_access:  read_only
        .address_space:  global
        .offset:         80
        .size:           8
        .value_kind:     global_buffer
      - .offset:         88
        .size:           16
        .value_kind:     by_value
      - .actual_access:  read_only
        .address_space:  global
        .offset:         104
        .size:           8
        .value_kind:     global_buffer
      - .actual_access:  read_only
        .address_space:  global
        .offset:         112
        .size:           8
        .value_kind:     global_buffer
      - .actual_access:  read_only
        .address_space:  global
        .offset:         120
        .size:           8
        .value_kind:     global_buffer
      - .actual_access:  read_only
        .address_space:  global
        .offset:         128
        .size:           8
        .value_kind:     global_buffer
      - .actual_access:  write_only
        .address_space:  global
        .offset:         136
        .size:           8
        .value_kind:     global_buffer
      - .actual_access:  write_only
        .address_space:  global
        .offset:         144
        .size:           8
        .value_kind:     global_buffer
      - .offset:         152
        .size:           4
        .value_kind:     by_value
      - .offset:         156
        .size:           4
        .value_kind:     by_value
      - .offset:         160
        .size:           4
        .value_kind:     by_value
      - .offset:         164
        .size:           4
        .value_kind:     by_value
      - .offset:         168
        .size:           1
        .value_kind:     by_value
      - .offset:         169
        .size:           1
        .value_kind:     by_value
      - .offset:         170
        .size:           1
        .value_kind:     by_value
    .group_segment_fixed_size: 0
    .kernarg_segment_align: 8
    .kernarg_segment_size: 172
    .language:       OpenCL C
    .language_version:
      - 2
      - 0
    .max_flat_workgroup_size: 128
    .name:           _ZN9rocsparseL26csrgemm_fill_block_per_rowILj128ELj16ELj256ELj137ELj64Eli21rocsparse_complex_numIdEEEvT5_PKS3_S5_NS_24const_host_device_scalarIT6_EEPKT4_S5_PKS7_SB_S5_SD_S8_SB_S5_SD_SB_PS3_PS7_21rocsparse_index_base_SG_SG_SG_bbb
    .private_segment_fixed_size: 40
    .sgpr_count:     66
    .sgpr_spill_count: 0
    .symbol:         _ZN9rocsparseL26csrgemm_fill_block_per_rowILj128ELj16ELj256ELj137ELj64Eli21rocsparse_complex_numIdEEEvT5_PKS3_S5_NS_24const_host_device_scalarIT6_EEPKT4_S5_PKS7_SB_S5_SD_S8_SB_S5_SD_SB_PS3_PS7_21rocsparse_index_base_SG_SG_SG_bbb.kd
    .uniform_work_group_size: 1
    .uses_dynamic_stack: false
    .vgpr_count:     38
    .vgpr_spill_count: 0
    .wavefront_size: 64
  - .agpr_count:     0
    .args:
      - .offset:         0
        .size:           4
        .value_kind:     by_value
      - .actual_access:  read_only
        .address_space:  global
        .offset:         8
        .size:           8
        .value_kind:     global_buffer
      - .actual_access:  read_only
        .address_space:  global
        .offset:         16
        .size:           8
        .value_kind:     global_buffer
      - .offset:         24
        .size:           16
        .value_kind:     by_value
      - .actual_access:  read_only
        .address_space:  global
        .offset:         40
        .size:           8
        .value_kind:     global_buffer
      - .actual_access:  read_only
        .address_space:  global
        .offset:         48
        .size:           8
        .value_kind:     global_buffer
      - .actual_access:  read_only
        .address_space:  global
        .offset:         56
        .size:           8
        .value_kind:     global_buffer
      - .actual_access:  read_only
        .address_space:  global
        .offset:         64
        .size:           8
        .value_kind:     global_buffer
      - .actual_access:  read_only
        .address_space:  global
        .offset:         72
        .size:           8
        .value_kind:     global_buffer
      - .actual_access:  read_only
        .address_space:  global
        .offset:         80
        .size:           8
        .value_kind:     global_buffer
      - .offset:         88
        .size:           16
        .value_kind:     by_value
      - .actual_access:  read_only
        .address_space:  global
        .offset:         104
        .size:           8
        .value_kind:     global_buffer
      - .actual_access:  read_only
        .address_space:  global
        .offset:         112
        .size:           8
        .value_kind:     global_buffer
      - .actual_access:  read_only
        .address_space:  global
        .offset:         120
        .size:           8
        .value_kind:     global_buffer
      - .actual_access:  read_only
        .address_space:  global
        .offset:         128
        .size:           8
        .value_kind:     global_buffer
      - .actual_access:  write_only
        .address_space:  global
        .offset:         136
        .size:           8
        .value_kind:     global_buffer
      - .actual_access:  write_only
        .address_space:  global
        .offset:         144
        .size:           8
        .value_kind:     global_buffer
      - .offset:         152
        .size:           4
        .value_kind:     by_value
      - .offset:         156
        .size:           4
        .value_kind:     by_value
      - .offset:         160
        .size:           4
        .value_kind:     by_value
      - .offset:         164
        .size:           4
        .value_kind:     by_value
      - .offset:         168
        .size:           1
        .value_kind:     by_value
      - .offset:         169
        .size:           1
        .value_kind:     by_value
      - .offset:         170
        .size:           1
        .value_kind:     by_value
    .group_segment_fixed_size: 0
    .kernarg_segment_align: 8
    .kernarg_segment_size: 172
    .language:       OpenCL C
    .language_version:
      - 2
      - 0
    .max_flat_workgroup_size: 256
    .name:           _ZN9rocsparseL26csrgemm_fill_block_per_rowILj256ELj32ELj512ELj137ELj32Eli21rocsparse_complex_numIdEEEvT5_PKS3_S5_NS_24const_host_device_scalarIT6_EEPKT4_S5_PKS7_SB_S5_SD_S8_SB_S5_SD_SB_PS3_PS7_21rocsparse_index_base_SG_SG_SG_bbb
    .private_segment_fixed_size: 40
    .sgpr_count:     66
    .sgpr_spill_count: 0
    .symbol:         _ZN9rocsparseL26csrgemm_fill_block_per_rowILj256ELj32ELj512ELj137ELj32Eli21rocsparse_complex_numIdEEEvT5_PKS3_S5_NS_24const_host_device_scalarIT6_EEPKT4_S5_PKS7_SB_S5_SD_S8_SB_S5_SD_SB_PS3_PS7_21rocsparse_index_base_SG_SG_SG_bbb.kd
    .uniform_work_group_size: 1
    .uses_dynamic_stack: false
    .vgpr_count:     38
    .vgpr_spill_count: 0
    .wavefront_size: 64
  - .agpr_count:     0
    .args:
      - .offset:         0
        .size:           4
        .value_kind:     by_value
      - .actual_access:  read_only
        .address_space:  global
        .offset:         8
        .size:           8
        .value_kind:     global_buffer
      - .actual_access:  read_only
        .address_space:  global
        .offset:         16
        .size:           8
        .value_kind:     global_buffer
      - .offset:         24
        .size:           16
        .value_kind:     by_value
      - .actual_access:  read_only
        .address_space:  global
        .offset:         40
        .size:           8
        .value_kind:     global_buffer
      - .actual_access:  read_only
        .address_space:  global
        .offset:         48
        .size:           8
        .value_kind:     global_buffer
      - .actual_access:  read_only
        .address_space:  global
        .offset:         56
        .size:           8
        .value_kind:     global_buffer
      - .actual_access:  read_only
        .address_space:  global
        .offset:         64
        .size:           8
        .value_kind:     global_buffer
      - .actual_access:  read_only
        .address_space:  global
        .offset:         72
        .size:           8
        .value_kind:     global_buffer
      - .actual_access:  read_only
        .address_space:  global
        .offset:         80
        .size:           8
        .value_kind:     global_buffer
      - .offset:         88
        .size:           16
        .value_kind:     by_value
      - .actual_access:  read_only
        .address_space:  global
        .offset:         104
        .size:           8
        .value_kind:     global_buffer
      - .actual_access:  read_only
        .address_space:  global
        .offset:         112
        .size:           8
        .value_kind:     global_buffer
      - .actual_access:  read_only
        .address_space:  global
        .offset:         120
        .size:           8
        .value_kind:     global_buffer
      - .actual_access:  read_only
        .address_space:  global
        .offset:         128
        .size:           8
        .value_kind:     global_buffer
      - .actual_access:  write_only
        .address_space:  global
        .offset:         136
        .size:           8
        .value_kind:     global_buffer
      - .actual_access:  write_only
        .address_space:  global
        .offset:         144
        .size:           8
        .value_kind:     global_buffer
      - .offset:         152
        .size:           4
        .value_kind:     by_value
      - .offset:         156
        .size:           4
        .value_kind:     by_value
      - .offset:         160
        .size:           4
        .value_kind:     by_value
      - .offset:         164
        .size:           4
        .value_kind:     by_value
      - .offset:         168
        .size:           1
        .value_kind:     by_value
      - .offset:         169
        .size:           1
        .value_kind:     by_value
      - .offset:         170
        .size:           1
        .value_kind:     by_value
    .group_segment_fixed_size: 0
    .kernarg_segment_align: 8
    .kernarg_segment_size: 172
    .language:       OpenCL C
    .language_version:
      - 2
      - 0
    .max_flat_workgroup_size: 256
    .name:           _ZN9rocsparseL26csrgemm_fill_block_per_rowILj256ELj32ELj512ELj137ELj64Eli21rocsparse_complex_numIdEEEvT5_PKS3_S5_NS_24const_host_device_scalarIT6_EEPKT4_S5_PKS7_SB_S5_SD_S8_SB_S5_SD_SB_PS3_PS7_21rocsparse_index_base_SG_SG_SG_bbb
    .private_segment_fixed_size: 40
    .sgpr_count:     66
    .sgpr_spill_count: 0
    .symbol:         _ZN9rocsparseL26csrgemm_fill_block_per_rowILj256ELj32ELj512ELj137ELj64Eli21rocsparse_complex_numIdEEEvT5_PKS3_S5_NS_24const_host_device_scalarIT6_EEPKT4_S5_PKS7_SB_S5_SD_S8_SB_S5_SD_SB_PS3_PS7_21rocsparse_index_base_SG_SG_SG_bbb.kd
    .uniform_work_group_size: 1
    .uses_dynamic_stack: false
    .vgpr_count:     36
    .vgpr_spill_count: 0
    .wavefront_size: 64
  - .agpr_count:     0
    .args:
      - .offset:         0
        .size:           4
        .value_kind:     by_value
      - .actual_access:  read_only
        .address_space:  global
        .offset:         8
        .size:           8
        .value_kind:     global_buffer
      - .actual_access:  read_only
        .address_space:  global
        .offset:         16
        .size:           8
        .value_kind:     global_buffer
      - .offset:         24
        .size:           16
        .value_kind:     by_value
      - .actual_access:  read_only
        .address_space:  global
        .offset:         40
        .size:           8
        .value_kind:     global_buffer
      - .actual_access:  read_only
        .address_space:  global
        .offset:         48
        .size:           8
        .value_kind:     global_buffer
      - .actual_access:  read_only
        .address_space:  global
        .offset:         56
        .size:           8
        .value_kind:     global_buffer
      - .actual_access:  read_only
        .address_space:  global
        .offset:         64
        .size:           8
        .value_kind:     global_buffer
      - .actual_access:  read_only
        .address_space:  global
        .offset:         72
        .size:           8
        .value_kind:     global_buffer
      - .actual_access:  read_only
        .address_space:  global
        .offset:         80
        .size:           8
        .value_kind:     global_buffer
      - .offset:         88
        .size:           16
        .value_kind:     by_value
      - .actual_access:  read_only
        .address_space:  global
        .offset:         104
        .size:           8
        .value_kind:     global_buffer
      - .actual_access:  read_only
        .address_space:  global
        .offset:         112
        .size:           8
        .value_kind:     global_buffer
      - .actual_access:  read_only
        .address_space:  global
        .offset:         120
        .size:           8
        .value_kind:     global_buffer
      - .actual_access:  read_only
        .address_space:  global
        .offset:         128
        .size:           8
        .value_kind:     global_buffer
      - .actual_access:  write_only
        .address_space:  global
        .offset:         136
        .size:           8
        .value_kind:     global_buffer
      - .actual_access:  write_only
        .address_space:  global
        .offset:         144
        .size:           8
        .value_kind:     global_buffer
      - .offset:         152
        .size:           4
        .value_kind:     by_value
      - .offset:         156
        .size:           4
        .value_kind:     by_value
      - .offset:         160
        .size:           4
        .value_kind:     by_value
      - .offset:         164
        .size:           4
        .value_kind:     by_value
      - .offset:         168
        .size:           1
        .value_kind:     by_value
      - .offset:         169
        .size:           1
        .value_kind:     by_value
      - .offset:         170
        .size:           1
        .value_kind:     by_value
    .group_segment_fixed_size: 0
    .kernarg_segment_align: 8
    .kernarg_segment_size: 172
    .language:       OpenCL C
    .language_version:
      - 2
      - 0
    .max_flat_workgroup_size: 512
    .name:           _ZN9rocsparseL26csrgemm_fill_block_per_rowILj512ELj32ELj1024ELj137ELj32Eli21rocsparse_complex_numIdEEEvT5_PKS3_S5_NS_24const_host_device_scalarIT6_EEPKT4_S5_PKS7_SB_S5_SD_S8_SB_S5_SD_SB_PS3_PS7_21rocsparse_index_base_SG_SG_SG_bbb
    .private_segment_fixed_size: 40
    .sgpr_count:     66
    .sgpr_spill_count: 0
    .symbol:         _ZN9rocsparseL26csrgemm_fill_block_per_rowILj512ELj32ELj1024ELj137ELj32Eli21rocsparse_complex_numIdEEEvT5_PKS3_S5_NS_24const_host_device_scalarIT6_EEPKT4_S5_PKS7_SB_S5_SD_S8_SB_S5_SD_SB_PS3_PS7_21rocsparse_index_base_SG_SG_SG_bbb.kd
    .uniform_work_group_size: 1
    .uses_dynamic_stack: false
    .vgpr_count:     38
    .vgpr_spill_count: 0
    .wavefront_size: 64
  - .agpr_count:     0
    .args:
      - .offset:         0
        .size:           4
        .value_kind:     by_value
      - .actual_access:  read_only
        .address_space:  global
        .offset:         8
        .size:           8
        .value_kind:     global_buffer
      - .actual_access:  read_only
        .address_space:  global
        .offset:         16
        .size:           8
        .value_kind:     global_buffer
      - .offset:         24
        .size:           16
        .value_kind:     by_value
      - .actual_access:  read_only
        .address_space:  global
        .offset:         40
        .size:           8
        .value_kind:     global_buffer
      - .actual_access:  read_only
        .address_space:  global
        .offset:         48
        .size:           8
        .value_kind:     global_buffer
      - .actual_access:  read_only
        .address_space:  global
        .offset:         56
        .size:           8
        .value_kind:     global_buffer
      - .actual_access:  read_only
        .address_space:  global
        .offset:         64
        .size:           8
        .value_kind:     global_buffer
      - .actual_access:  read_only
        .address_space:  global
        .offset:         72
        .size:           8
        .value_kind:     global_buffer
      - .actual_access:  read_only
        .address_space:  global
        .offset:         80
        .size:           8
        .value_kind:     global_buffer
      - .offset:         88
        .size:           16
        .value_kind:     by_value
      - .actual_access:  read_only
        .address_space:  global
        .offset:         104
        .size:           8
        .value_kind:     global_buffer
      - .actual_access:  read_only
        .address_space:  global
        .offset:         112
        .size:           8
        .value_kind:     global_buffer
      - .actual_access:  read_only
        .address_space:  global
        .offset:         120
        .size:           8
        .value_kind:     global_buffer
      - .actual_access:  read_only
        .address_space:  global
        .offset:         128
        .size:           8
        .value_kind:     global_buffer
      - .actual_access:  write_only
        .address_space:  global
        .offset:         136
        .size:           8
        .value_kind:     global_buffer
      - .actual_access:  write_only
        .address_space:  global
        .offset:         144
        .size:           8
        .value_kind:     global_buffer
      - .offset:         152
        .size:           4
        .value_kind:     by_value
      - .offset:         156
        .size:           4
        .value_kind:     by_value
      - .offset:         160
        .size:           4
        .value_kind:     by_value
      - .offset:         164
        .size:           4
        .value_kind:     by_value
      - .offset:         168
        .size:           1
        .value_kind:     by_value
      - .offset:         169
        .size:           1
        .value_kind:     by_value
      - .offset:         170
        .size:           1
        .value_kind:     by_value
    .group_segment_fixed_size: 0
    .kernarg_segment_align: 8
    .kernarg_segment_size: 172
    .language:       OpenCL C
    .language_version:
      - 2
      - 0
    .max_flat_workgroup_size: 512
    .name:           _ZN9rocsparseL26csrgemm_fill_block_per_rowILj512ELj32ELj1024ELj137ELj64Eli21rocsparse_complex_numIdEEEvT5_PKS3_S5_NS_24const_host_device_scalarIT6_EEPKT4_S5_PKS7_SB_S5_SD_S8_SB_S5_SD_SB_PS3_PS7_21rocsparse_index_base_SG_SG_SG_bbb
    .private_segment_fixed_size: 40
    .sgpr_count:     66
    .sgpr_spill_count: 0
    .symbol:         _ZN9rocsparseL26csrgemm_fill_block_per_rowILj512ELj32ELj1024ELj137ELj64Eli21rocsparse_complex_numIdEEEvT5_PKS3_S5_NS_24const_host_device_scalarIT6_EEPKT4_S5_PKS7_SB_S5_SD_S8_SB_S5_SD_SB_PS3_PS7_21rocsparse_index_base_SG_SG_SG_bbb.kd
    .uniform_work_group_size: 1
    .uses_dynamic_stack: false
    .vgpr_count:     38
    .vgpr_spill_count: 0
    .wavefront_size: 64
  - .agpr_count:     0
    .args:
      - .offset:         0
        .size:           4
        .value_kind:     by_value
      - .actual_access:  read_only
        .address_space:  global
        .offset:         8
        .size:           8
        .value_kind:     global_buffer
      - .actual_access:  read_only
        .address_space:  global
        .offset:         16
        .size:           8
        .value_kind:     global_buffer
      - .offset:         24
        .size:           16
        .value_kind:     by_value
      - .actual_access:  read_only
        .address_space:  global
        .offset:         40
        .size:           8
        .value_kind:     global_buffer
      - .actual_access:  read_only
        .address_space:  global
        .offset:         48
        .size:           8
        .value_kind:     global_buffer
      - .actual_access:  read_only
        .address_space:  global
        .offset:         56
        .size:           8
        .value_kind:     global_buffer
      - .actual_access:  read_only
        .address_space:  global
        .offset:         64
        .size:           8
        .value_kind:     global_buffer
      - .actual_access:  read_only
        .address_space:  global
        .offset:         72
        .size:           8
        .value_kind:     global_buffer
      - .actual_access:  read_only
        .address_space:  global
        .offset:         80
        .size:           8
        .value_kind:     global_buffer
      - .offset:         88
        .size:           16
        .value_kind:     by_value
      - .actual_access:  read_only
        .address_space:  global
        .offset:         104
        .size:           8
        .value_kind:     global_buffer
      - .actual_access:  read_only
        .address_space:  global
        .offset:         112
        .size:           8
        .value_kind:     global_buffer
      - .actual_access:  read_only
        .address_space:  global
        .offset:         120
        .size:           8
        .value_kind:     global_buffer
      - .actual_access:  read_only
        .address_space:  global
        .offset:         128
        .size:           8
        .value_kind:     global_buffer
      - .actual_access:  write_only
        .address_space:  global
        .offset:         136
        .size:           8
        .value_kind:     global_buffer
      - .actual_access:  write_only
        .address_space:  global
        .offset:         144
        .size:           8
        .value_kind:     global_buffer
      - .offset:         152
        .size:           4
        .value_kind:     by_value
      - .offset:         156
        .size:           4
        .value_kind:     by_value
      - .offset:         160
        .size:           4
        .value_kind:     by_value
      - .offset:         164
        .size:           4
        .value_kind:     by_value
      - .offset:         168
        .size:           1
        .value_kind:     by_value
      - .offset:         169
        .size:           1
        .value_kind:     by_value
      - .offset:         170
        .size:           1
        .value_kind:     by_value
    .group_segment_fixed_size: 0
    .kernarg_segment_align: 8
    .kernarg_segment_size: 172
    .language:       OpenCL C
    .language_version:
      - 2
      - 0
    .max_flat_workgroup_size: 1024
    .name:           _ZN9rocsparseL26csrgemm_fill_block_per_rowILj1024ELj32ELj2048ELj137ELj32Eli21rocsparse_complex_numIdEEEvT5_PKS3_S5_NS_24const_host_device_scalarIT6_EEPKT4_S5_PKS7_SB_S5_SD_S8_SB_S5_SD_SB_PS3_PS7_21rocsparse_index_base_SG_SG_SG_bbb
    .private_segment_fixed_size: 40
    .sgpr_count:     90
    .sgpr_spill_count: 0
    .symbol:         _ZN9rocsparseL26csrgemm_fill_block_per_rowILj1024ELj32ELj2048ELj137ELj32Eli21rocsparse_complex_numIdEEEvT5_PKS3_S5_NS_24const_host_device_scalarIT6_EEPKT4_S5_PKS7_SB_S5_SD_S8_SB_S5_SD_SB_PS3_PS7_21rocsparse_index_base_SG_SG_SG_bbb.kd
    .uniform_work_group_size: 1
    .uses_dynamic_stack: false
    .vgpr_count:     38
    .vgpr_spill_count: 0
    .wavefront_size: 64
  - .agpr_count:     0
    .args:
      - .offset:         0
        .size:           4
        .value_kind:     by_value
      - .actual_access:  read_only
        .address_space:  global
        .offset:         8
        .size:           8
        .value_kind:     global_buffer
      - .actual_access:  read_only
        .address_space:  global
        .offset:         16
        .size:           8
        .value_kind:     global_buffer
      - .offset:         24
        .size:           16
        .value_kind:     by_value
      - .actual_access:  read_only
        .address_space:  global
        .offset:         40
        .size:           8
        .value_kind:     global_buffer
      - .actual_access:  read_only
        .address_space:  global
        .offset:         48
        .size:           8
        .value_kind:     global_buffer
      - .actual_access:  read_only
        .address_space:  global
        .offset:         56
        .size:           8
        .value_kind:     global_buffer
      - .actual_access:  read_only
        .address_space:  global
        .offset:         64
        .size:           8
        .value_kind:     global_buffer
      - .actual_access:  read_only
        .address_space:  global
        .offset:         72
        .size:           8
        .value_kind:     global_buffer
      - .actual_access:  read_only
        .address_space:  global
        .offset:         80
        .size:           8
        .value_kind:     global_buffer
      - .offset:         88
        .size:           16
        .value_kind:     by_value
      - .actual_access:  read_only
        .address_space:  global
        .offset:         104
        .size:           8
        .value_kind:     global_buffer
      - .actual_access:  read_only
        .address_space:  global
        .offset:         112
        .size:           8
        .value_kind:     global_buffer
      - .actual_access:  read_only
        .address_space:  global
        .offset:         120
        .size:           8
        .value_kind:     global_buffer
      - .actual_access:  read_only
        .address_space:  global
        .offset:         128
        .size:           8
        .value_kind:     global_buffer
      - .actual_access:  write_only
        .address_space:  global
        .offset:         136
        .size:           8
        .value_kind:     global_buffer
      - .actual_access:  write_only
        .address_space:  global
        .offset:         144
        .size:           8
        .value_kind:     global_buffer
      - .offset:         152
        .size:           4
        .value_kind:     by_value
      - .offset:         156
        .size:           4
        .value_kind:     by_value
      - .offset:         160
        .size:           4
        .value_kind:     by_value
      - .offset:         164
        .size:           4
        .value_kind:     by_value
      - .offset:         168
        .size:           1
        .value_kind:     by_value
      - .offset:         169
        .size:           1
        .value_kind:     by_value
      - .offset:         170
        .size:           1
        .value_kind:     by_value
    .group_segment_fixed_size: 0
    .kernarg_segment_align: 8
    .kernarg_segment_size: 172
    .language:       OpenCL C
    .language_version:
      - 2
      - 0
    .max_flat_workgroup_size: 1024
    .name:           _ZN9rocsparseL26csrgemm_fill_block_per_rowILj1024ELj32ELj2048ELj137ELj64Eli21rocsparse_complex_numIdEEEvT5_PKS3_S5_NS_24const_host_device_scalarIT6_EEPKT4_S5_PKS7_SB_S5_SD_S8_SB_S5_SD_SB_PS3_PS7_21rocsparse_index_base_SG_SG_SG_bbb
    .private_segment_fixed_size: 40
    .sgpr_count:     66
    .sgpr_spill_count: 0
    .symbol:         _ZN9rocsparseL26csrgemm_fill_block_per_rowILj1024ELj32ELj2048ELj137ELj64Eli21rocsparse_complex_numIdEEEvT5_PKS3_S5_NS_24const_host_device_scalarIT6_EEPKT4_S5_PKS7_SB_S5_SD_S8_SB_S5_SD_SB_PS3_PS7_21rocsparse_index_base_SG_SG_SG_bbb.kd
    .uniform_work_group_size: 1
    .uses_dynamic_stack: false
    .vgpr_count:     38
    .vgpr_spill_count: 0
    .wavefront_size: 64
  - .agpr_count:     0
    .args:
      - .offset:         0
        .size:           4
        .value_kind:     by_value
      - .actual_access:  read_only
        .address_space:  global
        .offset:         8
        .size:           8
        .value_kind:     global_buffer
      - .actual_access:  read_only
        .address_space:  global
        .offset:         16
        .size:           8
        .value_kind:     global_buffer
      - .offset:         24
        .size:           16
        .value_kind:     by_value
      - .actual_access:  read_only
        .address_space:  global
        .offset:         40
        .size:           8
        .value_kind:     global_buffer
      - .actual_access:  read_only
        .address_space:  global
        .offset:         48
        .size:           8
        .value_kind:     global_buffer
      - .actual_access:  read_only
        .address_space:  global
        .offset:         56
        .size:           8
        .value_kind:     global_buffer
      - .actual_access:  read_only
        .address_space:  global
        .offset:         64
        .size:           8
        .value_kind:     global_buffer
      - .actual_access:  read_only
        .address_space:  global
        .offset:         72
        .size:           8
        .value_kind:     global_buffer
      - .actual_access:  read_only
        .address_space:  global
        .offset:         80
        .size:           8
        .value_kind:     global_buffer
      - .offset:         88
        .size:           16
        .value_kind:     by_value
      - .actual_access:  read_only
        .address_space:  global
        .offset:         104
        .size:           8
        .value_kind:     global_buffer
      - .actual_access:  read_only
        .address_space:  global
        .offset:         112
        .size:           8
        .value_kind:     global_buffer
      - .actual_access:  read_only
        .address_space:  global
        .offset:         120
        .size:           8
        .value_kind:     global_buffer
      - .actual_access:  read_only
        .address_space:  global
        .offset:         128
        .size:           8
        .value_kind:     global_buffer
      - .actual_access:  write_only
        .address_space:  global
        .offset:         136
        .size:           8
        .value_kind:     global_buffer
      - .actual_access:  write_only
        .address_space:  global
        .offset:         144
        .size:           8
        .value_kind:     global_buffer
      - .offset:         152
        .size:           4
        .value_kind:     by_value
      - .offset:         156
        .size:           4
        .value_kind:     by_value
      - .offset:         160
        .size:           4
        .value_kind:     by_value
      - .offset:         164
        .size:           4
        .value_kind:     by_value
      - .offset:         168
        .size:           1
        .value_kind:     by_value
      - .offset:         169
        .size:           1
        .value_kind:     by_value
      - .offset:         170
        .size:           1
        .value_kind:     by_value
    .group_segment_fixed_size: 0
    .kernarg_segment_align: 8
    .kernarg_segment_size: 172
    .language:       OpenCL C
    .language_version:
      - 2
      - 0
    .max_flat_workgroup_size: 1024
    .name:           _ZN9rocsparseL26csrgemm_fill_block_per_rowILj1024ELj64ELj4096ELj137ELj32Eli21rocsparse_complex_numIdEEEvT5_PKS3_S5_NS_24const_host_device_scalarIT6_EEPKT4_S5_PKS7_SB_S5_SD_S8_SB_S5_SD_SB_PS3_PS7_21rocsparse_index_base_SG_SG_SG_bbb
    .private_segment_fixed_size: 40
    .sgpr_count:     106
    .sgpr_spill_count: 28
    .symbol:         _ZN9rocsparseL26csrgemm_fill_block_per_rowILj1024ELj64ELj4096ELj137ELj32Eli21rocsparse_complex_numIdEEEvT5_PKS3_S5_NS_24const_host_device_scalarIT6_EEPKT4_S5_PKS7_SB_S5_SD_S8_SB_S5_SD_SB_PS3_PS7_21rocsparse_index_base_SG_SG_SG_bbb.kd
    .uniform_work_group_size: 1
    .uses_dynamic_stack: false
    .vgpr_count:     39
    .vgpr_spill_count: 0
    .wavefront_size: 64
  - .agpr_count:     0
    .args:
      - .offset:         0
        .size:           4
        .value_kind:     by_value
      - .actual_access:  read_only
        .address_space:  global
        .offset:         8
        .size:           8
        .value_kind:     global_buffer
      - .actual_access:  read_only
        .address_space:  global
        .offset:         16
        .size:           8
        .value_kind:     global_buffer
      - .offset:         24
        .size:           16
        .value_kind:     by_value
      - .actual_access:  read_only
        .address_space:  global
        .offset:         40
        .size:           8
        .value_kind:     global_buffer
      - .actual_access:  read_only
        .address_space:  global
        .offset:         48
        .size:           8
        .value_kind:     global_buffer
      - .actual_access:  read_only
        .address_space:  global
        .offset:         56
        .size:           8
        .value_kind:     global_buffer
      - .actual_access:  read_only
        .address_space:  global
        .offset:         64
        .size:           8
        .value_kind:     global_buffer
      - .actual_access:  read_only
        .address_space:  global
        .offset:         72
        .size:           8
        .value_kind:     global_buffer
      - .actual_access:  read_only
        .address_space:  global
        .offset:         80
        .size:           8
        .value_kind:     global_buffer
      - .offset:         88
        .size:           16
        .value_kind:     by_value
      - .actual_access:  read_only
        .address_space:  global
        .offset:         104
        .size:           8
        .value_kind:     global_buffer
      - .actual_access:  read_only
        .address_space:  global
        .offset:         112
        .size:           8
        .value_kind:     global_buffer
      - .actual_access:  read_only
        .address_space:  global
        .offset:         120
        .size:           8
        .value_kind:     global_buffer
      - .actual_access:  read_only
        .address_space:  global
        .offset:         128
        .size:           8
        .value_kind:     global_buffer
      - .actual_access:  write_only
        .address_space:  global
        .offset:         136
        .size:           8
        .value_kind:     global_buffer
      - .actual_access:  write_only
        .address_space:  global
        .offset:         144
        .size:           8
        .value_kind:     global_buffer
      - .offset:         152
        .size:           4
        .value_kind:     by_value
      - .offset:         156
        .size:           4
        .value_kind:     by_value
      - .offset:         160
        .size:           4
        .value_kind:     by_value
      - .offset:         164
        .size:           4
        .value_kind:     by_value
      - .offset:         168
        .size:           1
        .value_kind:     by_value
      - .offset:         169
        .size:           1
        .value_kind:     by_value
      - .offset:         170
        .size:           1
        .value_kind:     by_value
    .group_segment_fixed_size: 0
    .kernarg_segment_align: 8
    .kernarg_segment_size: 172
    .language:       OpenCL C
    .language_version:
      - 2
      - 0
    .max_flat_workgroup_size: 1024
    .name:           _ZN9rocsparseL26csrgemm_fill_block_per_rowILj1024ELj64ELj4096ELj137ELj64Eli21rocsparse_complex_numIdEEEvT5_PKS3_S5_NS_24const_host_device_scalarIT6_EEPKT4_S5_PKS7_SB_S5_SD_S8_SB_S5_SD_SB_PS3_PS7_21rocsparse_index_base_SG_SG_SG_bbb
    .private_segment_fixed_size: 40
    .sgpr_count:     73
    .sgpr_spill_count: 0
    .symbol:         _ZN9rocsparseL26csrgemm_fill_block_per_rowILj1024ELj64ELj4096ELj137ELj64Eli21rocsparse_complex_numIdEEEvT5_PKS3_S5_NS_24const_host_device_scalarIT6_EEPKT4_S5_PKS7_SB_S5_SD_S8_SB_S5_SD_SB_PS3_PS7_21rocsparse_index_base_SG_SG_SG_bbb.kd
    .uniform_work_group_size: 1
    .uses_dynamic_stack: false
    .vgpr_count:     38
    .vgpr_spill_count: 0
    .wavefront_size: 64
  - .agpr_count:     0
    .args:
      - .offset:         0
        .size:           4
        .value_kind:     by_value
      - .actual_access:  read_only
        .address_space:  global
        .offset:         8
        .size:           8
        .value_kind:     global_buffer
      - .actual_access:  read_only
        .address_space:  global
        .offset:         16
        .size:           8
        .value_kind:     global_buffer
      - .offset:         24
        .size:           16
        .value_kind:     by_value
      - .actual_access:  read_only
        .address_space:  global
        .offset:         40
        .size:           8
        .value_kind:     global_buffer
      - .actual_access:  read_only
        .address_space:  global
        .offset:         48
        .size:           8
        .value_kind:     global_buffer
      - .actual_access:  read_only
        .address_space:  global
        .offset:         56
        .size:           8
        .value_kind:     global_buffer
      - .actual_access:  read_only
        .address_space:  global
        .offset:         64
        .size:           8
        .value_kind:     global_buffer
      - .actual_access:  read_only
        .address_space:  global
        .offset:         72
        .size:           8
        .value_kind:     global_buffer
      - .actual_access:  read_only
        .address_space:  global
        .offset:         80
        .size:           8
        .value_kind:     global_buffer
      - .offset:         88
        .size:           16
        .value_kind:     by_value
      - .actual_access:  read_only
        .address_space:  global
        .offset:         104
        .size:           8
        .value_kind:     global_buffer
      - .actual_access:  read_only
        .address_space:  global
        .offset:         112
        .size:           8
        .value_kind:     global_buffer
      - .actual_access:  read_only
        .address_space:  global
        .offset:         120
        .size:           8
        .value_kind:     global_buffer
      - .actual_access:  read_only
        .address_space:  global
        .offset:         128
        .size:           8
        .value_kind:     global_buffer
      - .actual_access:  write_only
        .address_space:  global
        .offset:         136
        .size:           8
        .value_kind:     global_buffer
      - .actual_access:  write_only
        .address_space:  global
        .offset:         144
        .size:           8
        .value_kind:     global_buffer
      - .offset:         152
        .size:           4
        .value_kind:     by_value
      - .offset:         156
        .size:           4
        .value_kind:     by_value
      - .offset:         160
        .size:           4
        .value_kind:     by_value
      - .offset:         164
        .size:           4
        .value_kind:     by_value
      - .offset:         168
        .size:           1
        .value_kind:     by_value
      - .offset:         169
        .size:           1
        .value_kind:     by_value
      - .offset:         170
        .size:           1
        .value_kind:     by_value
    .group_segment_fixed_size: 0
    .kernarg_segment_align: 8
    .kernarg_segment_size: 172
    .language:       OpenCL C
    .language_version:
      - 2
      - 0
    .max_flat_workgroup_size: 1024
    .name:           _ZN9rocsparseL26csrgemm_fill_block_per_rowILj1024ELj64ELj8192ELj137ELj32Eli21rocsparse_complex_numIdEEEvT5_PKS3_S5_NS_24const_host_device_scalarIT6_EEPKT4_S5_PKS7_SB_S5_SD_S8_SB_S5_SD_SB_PS3_PS7_21rocsparse_index_base_SG_SG_SG_bbb
    .private_segment_fixed_size: 40
    .sgpr_count:     106
    .sgpr_spill_count: 18
    .symbol:         _ZN9rocsparseL26csrgemm_fill_block_per_rowILj1024ELj64ELj8192ELj137ELj32Eli21rocsparse_complex_numIdEEEvT5_PKS3_S5_NS_24const_host_device_scalarIT6_EEPKT4_S5_PKS7_SB_S5_SD_S8_SB_S5_SD_SB_PS3_PS7_21rocsparse_index_base_SG_SG_SG_bbb.kd
    .uniform_work_group_size: 1
    .uses_dynamic_stack: false
    .vgpr_count:     37
    .vgpr_spill_count: 0
    .wavefront_size: 64
  - .agpr_count:     0
    .args:
      - .offset:         0
        .size:           4
        .value_kind:     by_value
      - .actual_access:  read_only
        .address_space:  global
        .offset:         8
        .size:           8
        .value_kind:     global_buffer
      - .actual_access:  read_only
        .address_space:  global
        .offset:         16
        .size:           8
        .value_kind:     global_buffer
      - .offset:         24
        .size:           16
        .value_kind:     by_value
      - .actual_access:  read_only
        .address_space:  global
        .offset:         40
        .size:           8
        .value_kind:     global_buffer
      - .actual_access:  read_only
        .address_space:  global
        .offset:         48
        .size:           8
        .value_kind:     global_buffer
      - .actual_access:  read_only
        .address_space:  global
        .offset:         56
        .size:           8
        .value_kind:     global_buffer
      - .actual_access:  read_only
        .address_space:  global
        .offset:         64
        .size:           8
        .value_kind:     global_buffer
      - .actual_access:  read_only
        .address_space:  global
        .offset:         72
        .size:           8
        .value_kind:     global_buffer
      - .actual_access:  read_only
        .address_space:  global
        .offset:         80
        .size:           8
        .value_kind:     global_buffer
      - .offset:         88
        .size:           16
        .value_kind:     by_value
      - .actual_access:  read_only
        .address_space:  global
        .offset:         104
        .size:           8
        .value_kind:     global_buffer
      - .actual_access:  read_only
        .address_space:  global
        .offset:         112
        .size:           8
        .value_kind:     global_buffer
      - .actual_access:  read_only
        .address_space:  global
        .offset:         120
        .size:           8
        .value_kind:     global_buffer
      - .actual_access:  read_only
        .address_space:  global
        .offset:         128
        .size:           8
        .value_kind:     global_buffer
      - .actual_access:  write_only
        .address_space:  global
        .offset:         136
        .size:           8
        .value_kind:     global_buffer
      - .actual_access:  write_only
        .address_space:  global
        .offset:         144
        .size:           8
        .value_kind:     global_buffer
      - .offset:         152
        .size:           4
        .value_kind:     by_value
      - .offset:         156
        .size:           4
        .value_kind:     by_value
      - .offset:         160
        .size:           4
        .value_kind:     by_value
      - .offset:         164
        .size:           4
        .value_kind:     by_value
      - .offset:         168
        .size:           1
        .value_kind:     by_value
      - .offset:         169
        .size:           1
        .value_kind:     by_value
      - .offset:         170
        .size:           1
        .value_kind:     by_value
    .group_segment_fixed_size: 0
    .kernarg_segment_align: 8
    .kernarg_segment_size: 172
    .language:       OpenCL C
    .language_version:
      - 2
      - 0
    .max_flat_workgroup_size: 1024
    .name:           _ZN9rocsparseL26csrgemm_fill_block_per_rowILj1024ELj64ELj8192ELj137ELj64Eli21rocsparse_complex_numIdEEEvT5_PKS3_S5_NS_24const_host_device_scalarIT6_EEPKT4_S5_PKS7_SB_S5_SD_S8_SB_S5_SD_SB_PS3_PS7_21rocsparse_index_base_SG_SG_SG_bbb
    .private_segment_fixed_size: 40
    .sgpr_count:     73
    .sgpr_spill_count: 0
    .symbol:         _ZN9rocsparseL26csrgemm_fill_block_per_rowILj1024ELj64ELj8192ELj137ELj64Eli21rocsparse_complex_numIdEEEvT5_PKS3_S5_NS_24const_host_device_scalarIT6_EEPKT4_S5_PKS7_SB_S5_SD_S8_SB_S5_SD_SB_PS3_PS7_21rocsparse_index_base_SG_SG_SG_bbb.kd
    .uniform_work_group_size: 1
    .uses_dynamic_stack: false
    .vgpr_count:     36
    .vgpr_spill_count: 0
    .wavefront_size: 64
  - .agpr_count:     0
    .args:
      - .offset:         0
        .size:           4
        .value_kind:     by_value
      - .actual_access:  read_only
        .address_space:  global
        .offset:         8
        .size:           8
        .value_kind:     global_buffer
      - .actual_access:  read_only
        .address_space:  global
        .offset:         16
        .size:           8
        .value_kind:     global_buffer
      - .offset:         24
        .size:           16
        .value_kind:     by_value
      - .actual_access:  read_only
        .address_space:  global
        .offset:         40
        .size:           8
        .value_kind:     global_buffer
      - .actual_access:  read_only
        .address_space:  global
        .offset:         48
        .size:           8
        .value_kind:     global_buffer
      - .actual_access:  read_only
        .address_space:  global
        .offset:         56
        .size:           8
        .value_kind:     global_buffer
      - .actual_access:  read_only
        .address_space:  global
        .offset:         64
        .size:           8
        .value_kind:     global_buffer
      - .actual_access:  read_only
        .address_space:  global
        .offset:         72
        .size:           8
        .value_kind:     global_buffer
      - .actual_access:  read_only
        .address_space:  global
        .offset:         80
        .size:           8
        .value_kind:     global_buffer
      - .offset:         88
        .size:           16
        .value_kind:     by_value
      - .actual_access:  read_only
        .address_space:  global
        .offset:         104
        .size:           8
        .value_kind:     global_buffer
      - .actual_access:  read_only
        .address_space:  global
        .offset:         112
        .size:           8
        .value_kind:     global_buffer
      - .actual_access:  read_only
        .address_space:  global
        .offset:         120
        .size:           8
        .value_kind:     global_buffer
      - .actual_access:  read_only
        .address_space:  global
        .offset:         128
        .size:           8
        .value_kind:     global_buffer
      - .actual_access:  write_only
        .address_space:  global
        .offset:         136
        .size:           8
        .value_kind:     global_buffer
      - .actual_access:  write_only
        .address_space:  global
        .offset:         144
        .size:           8
        .value_kind:     global_buffer
      - .offset:         152
        .size:           4
        .value_kind:     by_value
      - .offset:         156
        .size:           4
        .value_kind:     by_value
      - .offset:         160
        .size:           4
        .value_kind:     by_value
      - .offset:         164
        .size:           4
        .value_kind:     by_value
      - .offset:         168
        .size:           1
        .value_kind:     by_value
      - .offset:         169
        .size:           1
        .value_kind:     by_value
      - .offset:         170
        .size:           1
        .value_kind:     by_value
    .group_segment_fixed_size: 0
    .kernarg_segment_align: 8
    .kernarg_segment_size: 172
    .language:       OpenCL C
    .language_version:
      - 2
      - 0
    .max_flat_workgroup_size: 1024
    .name:           _ZN9rocsparseL26csrgemm_fill_block_per_rowILj1024ELj64ELj16384ELj137ELj32Eli21rocsparse_complex_numIdEEEvT5_PKS3_S5_NS_24const_host_device_scalarIT6_EEPKT4_S5_PKS7_SB_S5_SD_S8_SB_S5_SD_SB_PS3_PS7_21rocsparse_index_base_SG_SG_SG_bbb
    .private_segment_fixed_size: 40
    .sgpr_count:     106
    .sgpr_spill_count: 28
    .symbol:         _ZN9rocsparseL26csrgemm_fill_block_per_rowILj1024ELj64ELj16384ELj137ELj32Eli21rocsparse_complex_numIdEEEvT5_PKS3_S5_NS_24const_host_device_scalarIT6_EEPKT4_S5_PKS7_SB_S5_SD_S8_SB_S5_SD_SB_PS3_PS7_21rocsparse_index_base_SG_SG_SG_bbb.kd
    .uniform_work_group_size: 1
    .uses_dynamic_stack: false
    .vgpr_count:     37
    .vgpr_spill_count: 0
    .wavefront_size: 64
  - .agpr_count:     0
    .args:
      - .offset:         0
        .size:           4
        .value_kind:     by_value
      - .actual_access:  read_only
        .address_space:  global
        .offset:         8
        .size:           8
        .value_kind:     global_buffer
      - .actual_access:  read_only
        .address_space:  global
        .offset:         16
        .size:           8
        .value_kind:     global_buffer
      - .offset:         24
        .size:           16
        .value_kind:     by_value
      - .actual_access:  read_only
        .address_space:  global
        .offset:         40
        .size:           8
        .value_kind:     global_buffer
      - .actual_access:  read_only
        .address_space:  global
        .offset:         48
        .size:           8
        .value_kind:     global_buffer
      - .actual_access:  read_only
        .address_space:  global
        .offset:         56
        .size:           8
        .value_kind:     global_buffer
      - .actual_access:  read_only
        .address_space:  global
        .offset:         64
        .size:           8
        .value_kind:     global_buffer
      - .actual_access:  read_only
        .address_space:  global
        .offset:         72
        .size:           8
        .value_kind:     global_buffer
      - .actual_access:  read_only
        .address_space:  global
        .offset:         80
        .size:           8
        .value_kind:     global_buffer
      - .offset:         88
        .size:           16
        .value_kind:     by_value
      - .actual_access:  read_only
        .address_space:  global
        .offset:         104
        .size:           8
        .value_kind:     global_buffer
      - .actual_access:  read_only
        .address_space:  global
        .offset:         112
        .size:           8
        .value_kind:     global_buffer
      - .actual_access:  read_only
        .address_space:  global
        .offset:         120
        .size:           8
        .value_kind:     global_buffer
      - .actual_access:  read_only
        .address_space:  global
        .offset:         128
        .size:           8
        .value_kind:     global_buffer
      - .actual_access:  write_only
        .address_space:  global
        .offset:         136
        .size:           8
        .value_kind:     global_buffer
      - .actual_access:  write_only
        .address_space:  global
        .offset:         144
        .size:           8
        .value_kind:     global_buffer
      - .offset:         152
        .size:           4
        .value_kind:     by_value
      - .offset:         156
        .size:           4
        .value_kind:     by_value
      - .offset:         160
        .size:           4
        .value_kind:     by_value
      - .offset:         164
        .size:           4
        .value_kind:     by_value
      - .offset:         168
        .size:           1
        .value_kind:     by_value
      - .offset:         169
        .size:           1
        .value_kind:     by_value
      - .offset:         170
        .size:           1
        .value_kind:     by_value
    .group_segment_fixed_size: 0
    .kernarg_segment_align: 8
    .kernarg_segment_size: 172
    .language:       OpenCL C
    .language_version:
      - 2
      - 0
    .max_flat_workgroup_size: 1024
    .name:           _ZN9rocsparseL26csrgemm_fill_block_per_rowILj1024ELj64ELj16384ELj137ELj64Eli21rocsparse_complex_numIdEEEvT5_PKS3_S5_NS_24const_host_device_scalarIT6_EEPKT4_S5_PKS7_SB_S5_SD_S8_SB_S5_SD_SB_PS3_PS7_21rocsparse_index_base_SG_SG_SG_bbb
    .private_segment_fixed_size: 40
    .sgpr_count:     73
    .sgpr_spill_count: 0
    .symbol:         _ZN9rocsparseL26csrgemm_fill_block_per_rowILj1024ELj64ELj16384ELj137ELj64Eli21rocsparse_complex_numIdEEEvT5_PKS3_S5_NS_24const_host_device_scalarIT6_EEPKT4_S5_PKS7_SB_S5_SD_S8_SB_S5_SD_SB_PS3_PS7_21rocsparse_index_base_SG_SG_SG_bbb.kd
    .uniform_work_group_size: 1
    .uses_dynamic_stack: false
    .vgpr_count:     38
    .vgpr_spill_count: 0
    .wavefront_size: 64
  - .agpr_count:     0
    .args:
      - .offset:         0
        .size:           4
        .value_kind:     by_value
      - .actual_access:  read_only
        .address_space:  global
        .offset:         8
        .size:           8
        .value_kind:     global_buffer
      - .actual_access:  read_only
        .address_space:  global
        .offset:         16
        .size:           8
        .value_kind:     global_buffer
      - .offset:         24
        .size:           16
        .value_kind:     by_value
      - .actual_access:  read_only
        .address_space:  global
        .offset:         40
        .size:           8
        .value_kind:     global_buffer
      - .actual_access:  read_only
        .address_space:  global
        .offset:         48
        .size:           8
        .value_kind:     global_buffer
      - .actual_access:  read_only
        .address_space:  global
        .offset:         56
        .size:           8
        .value_kind:     global_buffer
      - .actual_access:  read_only
        .address_space:  global
        .offset:         64
        .size:           8
        .value_kind:     global_buffer
      - .actual_access:  read_only
        .address_space:  global
        .offset:         72
        .size:           8
        .value_kind:     global_buffer
      - .actual_access:  read_only
        .address_space:  global
        .offset:         80
        .size:           8
        .value_kind:     global_buffer
      - .offset:         88
        .size:           16
        .value_kind:     by_value
      - .actual_access:  read_only
        .address_space:  global
        .offset:         104
        .size:           8
        .value_kind:     global_buffer
      - .actual_access:  read_only
        .address_space:  global
        .offset:         112
        .size:           8
        .value_kind:     global_buffer
      - .actual_access:  read_only
        .address_space:  global
        .offset:         120
        .size:           8
        .value_kind:     global_buffer
      - .actual_access:  read_only
        .address_space:  global
        .offset:         128
        .size:           8
        .value_kind:     global_buffer
      - .actual_access:  write_only
        .address_space:  global
        .offset:         136
        .size:           8
        .value_kind:     global_buffer
      - .actual_access:  write_only
        .address_space:  global
        .offset:         144
        .size:           8
        .value_kind:     global_buffer
      - .offset:         152
        .size:           4
        .value_kind:     by_value
      - .offset:         156
        .size:           4
        .value_kind:     by_value
      - .offset:         160
        .size:           4
        .value_kind:     by_value
      - .offset:         164
        .size:           4
        .value_kind:     by_value
      - .offset:         168
        .size:           1
        .value_kind:     by_value
      - .offset:         169
        .size:           1
        .value_kind:     by_value
      - .offset:         170
        .size:           1
        .value_kind:     by_value
    .group_segment_fixed_size: 0
    .kernarg_segment_align: 8
    .kernarg_segment_size: 172
    .language:       OpenCL C
    .language_version:
      - 2
      - 0
    .max_flat_workgroup_size: 1024
    .name:           _ZN9rocsparseL26csrgemm_fill_block_per_rowILj1024ELj64ELj32768ELj137ELj32Eli21rocsparse_complex_numIdEEEvT5_PKS3_S5_NS_24const_host_device_scalarIT6_EEPKT4_S5_PKS7_SB_S5_SD_S8_SB_S5_SD_SB_PS3_PS7_21rocsparse_index_base_SG_SG_SG_bbb
    .private_segment_fixed_size: 40
    .sgpr_count:     106
    .sgpr_spill_count: 28
    .symbol:         _ZN9rocsparseL26csrgemm_fill_block_per_rowILj1024ELj64ELj32768ELj137ELj32Eli21rocsparse_complex_numIdEEEvT5_PKS3_S5_NS_24const_host_device_scalarIT6_EEPKT4_S5_PKS7_SB_S5_SD_S8_SB_S5_SD_SB_PS3_PS7_21rocsparse_index_base_SG_SG_SG_bbb.kd
    .uniform_work_group_size: 1
    .uses_dynamic_stack: false
    .vgpr_count:     37
    .vgpr_spill_count: 0
    .wavefront_size: 64
  - .agpr_count:     0
    .args:
      - .offset:         0
        .size:           4
        .value_kind:     by_value
      - .actual_access:  read_only
        .address_space:  global
        .offset:         8
        .size:           8
        .value_kind:     global_buffer
      - .actual_access:  read_only
        .address_space:  global
        .offset:         16
        .size:           8
        .value_kind:     global_buffer
      - .offset:         24
        .size:           16
        .value_kind:     by_value
      - .actual_access:  read_only
        .address_space:  global
        .offset:         40
        .size:           8
        .value_kind:     global_buffer
      - .actual_access:  read_only
        .address_space:  global
        .offset:         48
        .size:           8
        .value_kind:     global_buffer
      - .actual_access:  read_only
        .address_space:  global
        .offset:         56
        .size:           8
        .value_kind:     global_buffer
      - .actual_access:  read_only
        .address_space:  global
        .offset:         64
        .size:           8
        .value_kind:     global_buffer
      - .actual_access:  read_only
        .address_space:  global
        .offset:         72
        .size:           8
        .value_kind:     global_buffer
      - .actual_access:  read_only
        .address_space:  global
        .offset:         80
        .size:           8
        .value_kind:     global_buffer
      - .offset:         88
        .size:           16
        .value_kind:     by_value
      - .actual_access:  read_only
        .address_space:  global
        .offset:         104
        .size:           8
        .value_kind:     global_buffer
      - .actual_access:  read_only
        .address_space:  global
        .offset:         112
        .size:           8
        .value_kind:     global_buffer
      - .actual_access:  read_only
        .address_space:  global
        .offset:         120
        .size:           8
        .value_kind:     global_buffer
      - .actual_access:  read_only
        .address_space:  global
        .offset:         128
        .size:           8
        .value_kind:     global_buffer
      - .actual_access:  write_only
        .address_space:  global
        .offset:         136
        .size:           8
        .value_kind:     global_buffer
      - .actual_access:  write_only
        .address_space:  global
        .offset:         144
        .size:           8
        .value_kind:     global_buffer
      - .offset:         152
        .size:           4
        .value_kind:     by_value
      - .offset:         156
        .size:           4
        .value_kind:     by_value
      - .offset:         160
        .size:           4
        .value_kind:     by_value
      - .offset:         164
        .size:           4
        .value_kind:     by_value
      - .offset:         168
        .size:           1
        .value_kind:     by_value
      - .offset:         169
        .size:           1
        .value_kind:     by_value
      - .offset:         170
        .size:           1
        .value_kind:     by_value
    .group_segment_fixed_size: 0
    .kernarg_segment_align: 8
    .kernarg_segment_size: 172
    .language:       OpenCL C
    .language_version:
      - 2
      - 0
    .max_flat_workgroup_size: 1024
    .name:           _ZN9rocsparseL26csrgemm_fill_block_per_rowILj1024ELj64ELj32768ELj137ELj64Eli21rocsparse_complex_numIdEEEvT5_PKS3_S5_NS_24const_host_device_scalarIT6_EEPKT4_S5_PKS7_SB_S5_SD_S8_SB_S5_SD_SB_PS3_PS7_21rocsparse_index_base_SG_SG_SG_bbb
    .private_segment_fixed_size: 40
    .sgpr_count:     73
    .sgpr_spill_count: 0
    .symbol:         _ZN9rocsparseL26csrgemm_fill_block_per_rowILj1024ELj64ELj32768ELj137ELj64Eli21rocsparse_complex_numIdEEEvT5_PKS3_S5_NS_24const_host_device_scalarIT6_EEPKT4_S5_PKS7_SB_S5_SD_S8_SB_S5_SD_SB_PS3_PS7_21rocsparse_index_base_SG_SG_SG_bbb.kd
    .uniform_work_group_size: 1
    .uses_dynamic_stack: false
    .vgpr_count:     38
    .vgpr_spill_count: 0
    .wavefront_size: 64
  - .agpr_count:     0
    .args:
      - .offset:         0
        .size:           4
        .value_kind:     by_value
      - .actual_access:  read_only
        .address_space:  global
        .offset:         8
        .size:           8
        .value_kind:     global_buffer
      - .actual_access:  read_only
        .address_space:  global
        .offset:         16
        .size:           8
        .value_kind:     global_buffer
      - .offset:         24
        .size:           16
        .value_kind:     by_value
      - .actual_access:  read_only
        .address_space:  global
        .offset:         40
        .size:           8
        .value_kind:     global_buffer
      - .actual_access:  read_only
        .address_space:  global
        .offset:         48
        .size:           8
        .value_kind:     global_buffer
      - .actual_access:  read_only
        .address_space:  global
        .offset:         56
        .size:           8
        .value_kind:     global_buffer
      - .actual_access:  read_only
        .address_space:  global
        .offset:         64
        .size:           8
        .value_kind:     global_buffer
      - .actual_access:  read_only
        .address_space:  global
        .offset:         72
        .size:           8
        .value_kind:     global_buffer
      - .actual_access:  read_only
        .address_space:  global
        .offset:         80
        .size:           8
        .value_kind:     global_buffer
      - .offset:         88
        .size:           16
        .value_kind:     by_value
      - .actual_access:  read_only
        .address_space:  global
        .offset:         104
        .size:           8
        .value_kind:     global_buffer
      - .actual_access:  read_only
        .address_space:  global
        .offset:         112
        .size:           8
        .value_kind:     global_buffer
      - .actual_access:  read_only
        .address_space:  global
        .offset:         120
        .size:           8
        .value_kind:     global_buffer
      - .actual_access:  read_only
        .address_space:  global
        .offset:         128
        .size:           8
        .value_kind:     global_buffer
      - .actual_access:  write_only
        .address_space:  global
        .offset:         136
        .size:           8
        .value_kind:     global_buffer
      - .actual_access:  write_only
        .address_space:  global
        .offset:         144
        .size:           8
        .value_kind:     global_buffer
      - .address_space:  global
        .offset:         152
        .size:           8
        .value_kind:     global_buffer
      - .offset:         160
        .size:           4
        .value_kind:     by_value
      - .offset:         164
        .size:           4
        .value_kind:     by_value
      - .offset:         168
        .size:           4
        .value_kind:     by_value
      - .offset:         172
        .size:           4
        .value_kind:     by_value
      - .offset:         176
        .size:           1
        .value_kind:     by_value
      - .offset:         177
        .size:           1
        .value_kind:     by_value
      - .offset:         178
        .size:           1
        .value_kind:     by_value
    .group_segment_fixed_size: 51208
    .kernarg_segment_align: 8
    .kernarg_segment_size: 180
    .language:       OpenCL C
    .language_version:
      - 2
      - 0
    .max_flat_workgroup_size: 512
    .name:           _ZN9rocsparseL36csrgemm_fill_block_per_row_multipassILj512ELj16ELj2048ELj32Eli21rocsparse_complex_numIdEEEvT4_PKS3_S5_NS_24const_host_device_scalarIT5_EEPKT3_S5_PKS7_SB_S5_SD_S8_SB_S5_SD_SB_PS3_PS7_PS9_21rocsparse_index_base_SH_SH_SH_bbb
    .private_segment_fixed_size: 0
    .sgpr_count:     100
    .sgpr_spill_count: 9
    .symbol:         _ZN9rocsparseL36csrgemm_fill_block_per_row_multipassILj512ELj16ELj2048ELj32Eli21rocsparse_complex_numIdEEEvT4_PKS3_S5_NS_24const_host_device_scalarIT5_EEPKT3_S5_PKS7_SB_S5_SD_S8_SB_S5_SD_SB_PS3_PS7_PS9_21rocsparse_index_base_SH_SH_SH_bbb.kd
    .uniform_work_group_size: 1
    .uses_dynamic_stack: false
    .vgpr_count:     56
    .vgpr_spill_count: 0
    .wavefront_size: 64
  - .agpr_count:     0
    .args:
      - .offset:         0
        .size:           4
        .value_kind:     by_value
      - .actual_access:  read_only
        .address_space:  global
        .offset:         8
        .size:           8
        .value_kind:     global_buffer
      - .actual_access:  read_only
        .address_space:  global
        .offset:         16
        .size:           8
        .value_kind:     global_buffer
      - .offset:         24
        .size:           16
        .value_kind:     by_value
      - .actual_access:  read_only
        .address_space:  global
        .offset:         40
        .size:           8
        .value_kind:     global_buffer
      - .actual_access:  read_only
        .address_space:  global
        .offset:         48
        .size:           8
        .value_kind:     global_buffer
      - .actual_access:  read_only
        .address_space:  global
        .offset:         56
        .size:           8
        .value_kind:     global_buffer
      - .actual_access:  read_only
        .address_space:  global
        .offset:         64
        .size:           8
        .value_kind:     global_buffer
      - .actual_access:  read_only
        .address_space:  global
        .offset:         72
        .size:           8
        .value_kind:     global_buffer
      - .actual_access:  read_only
        .address_space:  global
        .offset:         80
        .size:           8
        .value_kind:     global_buffer
      - .offset:         88
        .size:           16
        .value_kind:     by_value
      - .actual_access:  read_only
        .address_space:  global
        .offset:         104
        .size:           8
        .value_kind:     global_buffer
      - .actual_access:  read_only
        .address_space:  global
        .offset:         112
        .size:           8
        .value_kind:     global_buffer
      - .actual_access:  read_only
        .address_space:  global
        .offset:         120
        .size:           8
        .value_kind:     global_buffer
      - .actual_access:  read_only
        .address_space:  global
        .offset:         128
        .size:           8
        .value_kind:     global_buffer
      - .actual_access:  write_only
        .address_space:  global
        .offset:         136
        .size:           8
        .value_kind:     global_buffer
      - .actual_access:  write_only
        .address_space:  global
        .offset:         144
        .size:           8
        .value_kind:     global_buffer
      - .address_space:  global
        .offset:         152
        .size:           8
        .value_kind:     global_buffer
      - .offset:         160
        .size:           4
        .value_kind:     by_value
      - .offset:         164
        .size:           4
        .value_kind:     by_value
      - .offset:         168
        .size:           4
        .value_kind:     by_value
      - .offset:         172
        .size:           4
        .value_kind:     by_value
      - .offset:         176
        .size:           1
        .value_kind:     by_value
      - .offset:         177
        .size:           1
        .value_kind:     by_value
      - .offset:         178
        .size:           1
        .value_kind:     by_value
    .group_segment_fixed_size: 51208
    .kernarg_segment_align: 8
    .kernarg_segment_size: 180
    .language:       OpenCL C
    .language_version:
      - 2
      - 0
    .max_flat_workgroup_size: 512
    .name:           _ZN9rocsparseL36csrgemm_fill_block_per_row_multipassILj512ELj16ELj2048ELj64Eli21rocsparse_complex_numIdEEEvT4_PKS3_S5_NS_24const_host_device_scalarIT5_EEPKT3_S5_PKS7_SB_S5_SD_S8_SB_S5_SD_SB_PS3_PS7_PS9_21rocsparse_index_base_SH_SH_SH_bbb
    .private_segment_fixed_size: 0
    .sgpr_count:     88
    .sgpr_spill_count: 0
    .symbol:         _ZN9rocsparseL36csrgemm_fill_block_per_row_multipassILj512ELj16ELj2048ELj64Eli21rocsparse_complex_numIdEEEvT4_PKS3_S5_NS_24const_host_device_scalarIT5_EEPKT3_S5_PKS7_SB_S5_SD_S8_SB_S5_SD_SB_PS3_PS7_PS9_21rocsparse_index_base_SH_SH_SH_bbb.kd
    .uniform_work_group_size: 1
    .uses_dynamic_stack: false
    .vgpr_count:     55
    .vgpr_spill_count: 0
    .wavefront_size: 64
amdhsa.target:   amdgcn-amd-amdhsa--gfx90a
amdhsa.version:
  - 1
  - 2
...

	.end_amdgpu_metadata
